;; amdgpu-corpus repo=ROCm/rccl kind=compiled arch=gfx1100 opt=O3
	.text
	.amdgcn_target "amdgcn-amd-amdhsa--gfx1100"
	.amdhsa_code_object_version 6
	.p2align	2                               ; -- Begin function __ockl_fprintf_append_string_n
	.type	__ockl_fprintf_append_string_n,@function
__ockl_fprintf_append_string_n:         ; @__ockl_fprintf_append_string_n
; %bb.0:
	s_waitcnt vmcnt(0) expcnt(0) lgkmcnt(0)
	v_dual_mov_b32 v8, v3 :: v_dual_mov_b32 v7, v2
	v_or_b32_e32 v2, 2, v0
	v_cmp_eq_u32_e32 vcc_lo, 0, v6
	v_mbcnt_lo_u32_b32 v33, -1, 0
	s_mov_b32 s11, 0
	s_mov_b32 s0, exec_lo
	v_cndmask_b32_e32 v0, v2, v0, vcc_lo
	v_cmpx_ne_u64_e32 0, v[7:8]
	s_xor_b32 s10, exec_lo, s0
	s_cbranch_execz .LBB0_86
; %bb.1:
	s_load_b64 s[2:3], s[8:9], 0x50
	v_dual_mov_b32 v11, 2 :: v_dual_and_b32 v6, 2, v0
	v_mov_b32_e32 v10, 0
	v_and_b32_e32 v0, -3, v0
	v_mov_b32_e32 v12, 1
	s_mov_b32 s12, 0
	s_branch .LBB0_3
.LBB0_2:                                ;   in Loop: Header=BB0_3 Depth=1
	s_or_b32 exec_lo, exec_lo, s1
	v_sub_co_u32 v4, vcc_lo, v4, v29
	v_sub_co_ci_u32_e32 v5, vcc_lo, v5, v30, vcc_lo
	v_add_co_u32 v7, s0, v7, v29
	s_delay_alu instid0(VALU_DEP_1) | instskip(NEXT) | instid1(VALU_DEP_3)
	v_add_co_ci_u32_e64 v8, s0, v8, v30, s0
	v_cmp_eq_u64_e32 vcc_lo, 0, v[4:5]
	s_or_b32 s12, vcc_lo, s12
	s_delay_alu instid0(SALU_CYCLE_1)
	s_and_not1_b32 exec_lo, exec_lo, s12
	s_cbranch_execz .LBB0_85
.LBB0_3:                                ; =>This Loop Header: Depth=1
                                        ;     Child Loop BB0_6 Depth 2
                                        ;     Child Loop BB0_14 Depth 2
	;; [unrolled: 1-line block ×11, first 2 shown]
	v_cmp_gt_u64_e32 vcc_lo, 56, v[4:5]
	s_mov_b32 s1, exec_lo
                                        ; implicit-def: $vgpr2_vgpr3
                                        ; implicit-def: $sgpr4
	v_dual_cndmask_b32 v30, 0, v5 :: v_dual_cndmask_b32 v29, 56, v4
	v_cmpx_gt_u64_e32 8, v[4:5]
	s_xor_b32 s1, exec_lo, s1
	s_cbranch_execz .LBB0_9
; %bb.4:                                ;   in Loop: Header=BB0_3 Depth=1
	s_waitcnt vmcnt(0)
	v_mov_b32_e32 v2, 0
	v_mov_b32_e32 v3, 0
	s_mov_b64 s[4:5], 0
	s_mov_b32 s6, exec_lo
	v_cmpx_ne_u64_e32 0, v[4:5]
	s_cbranch_execz .LBB0_8
; %bb.5:                                ;   in Loop: Header=BB0_3 Depth=1
	v_lshlrev_b64 v[13:14], 3, v[29:30]
	v_dual_mov_b32 v2, 0 :: v_dual_mov_b32 v15, v8
	v_dual_mov_b32 v3, 0 :: v_dual_mov_b32 v14, v7
	s_mov_b32 s7, 0
	.p2align	6
.LBB0_6:                                ;   Parent Loop BB0_3 Depth=1
                                        ; =>  This Inner Loop Header: Depth=2
	flat_load_u8 v9, v[14:15]
	v_mov_b32_e32 v17, s11
	v_add_co_u32 v14, vcc_lo, v14, 1
	v_add_co_ci_u32_e32 v15, vcc_lo, 0, v15, vcc_lo
	s_waitcnt vmcnt(0) lgkmcnt(0)
	v_and_b32_e32 v16, 0xffff, v9
	s_delay_alu instid0(VALU_DEP_1) | instskip(SKIP_3) | instid1(VALU_DEP_2)
	v_lshlrev_b64 v[16:17], s4, v[16:17]
	s_add_u32 s4, s4, 8
	s_addc_u32 s5, s5, 0
	v_cmp_eq_u32_e64 s0, s4, v13
	v_or_b32_e32 v3, v17, v3
	s_delay_alu instid0(VALU_DEP_3) | instskip(NEXT) | instid1(VALU_DEP_3)
	v_or_b32_e32 v2, v16, v2
	s_or_b32 s7, s0, s7
	s_delay_alu instid0(SALU_CYCLE_1)
	s_and_not1_b32 exec_lo, exec_lo, s7
	s_cbranch_execnz .LBB0_6
; %bb.7:                                ;   in Loop: Header=BB0_3 Depth=1
	s_or_b32 exec_lo, exec_lo, s7
.LBB0_8:                                ;   in Loop: Header=BB0_3 Depth=1
	s_delay_alu instid0(SALU_CYCLE_1)
	s_or_b32 exec_lo, exec_lo, s6
	s_mov_b32 s4, 0
.LBB0_9:                                ;   in Loop: Header=BB0_3 Depth=1
	s_or_saveexec_b32 s0, s1
	v_dual_mov_b32 v9, s4 :: v_dual_mov_b32 v26, v8
	v_mov_b32_e32 v25, v7
	s_xor_b32 exec_lo, exec_lo, s0
	s_cbranch_execz .LBB0_11
; %bb.10:                               ;   in Loop: Header=BB0_3 Depth=1
	s_waitcnt vmcnt(0)
	flat_load_b64 v[2:3], v[7:8]
	v_add_co_u32 v25, vcc_lo, v7, 8
	v_add_co_ci_u32_e32 v26, vcc_lo, 0, v8, vcc_lo
	s_waitcnt vmcnt(0) lgkmcnt(0)
	v_and_b32_e32 v9, 0xff, v3
	v_and_b32_e32 v13, 0xff00, v3
	;; [unrolled: 1-line block ×4, first 2 shown]
	v_or3_b32 v2, v2, 0, 0
	s_delay_alu instid0(VALU_DEP_4) | instskip(SKIP_1) | instid1(VALU_DEP_2)
	v_or_b32_e32 v13, v9, v13
	v_add_nc_u32_e32 v9, -8, v29
	v_or3_b32 v3, v13, v14, v3
.LBB0_11:                               ;   in Loop: Header=BB0_3 Depth=1
	s_or_b32 exec_lo, exec_lo, s0
                                        ; implicit-def: $vgpr13_vgpr14
                                        ; implicit-def: $sgpr1
	s_delay_alu instid0(SALU_CYCLE_1) | instskip(NEXT) | instid1(VALU_DEP_2)
	s_mov_b32 s0, exec_lo
	v_cmpx_gt_u32_e32 8, v9
	s_xor_b32 s6, exec_lo, s0
	s_cbranch_execz .LBB0_17
; %bb.12:                               ;   in Loop: Header=BB0_3 Depth=1
	v_mov_b32_e32 v13, 0
	v_mov_b32_e32 v14, 0
	s_mov_b32 s7, exec_lo
	v_cmpx_ne_u32_e32 0, v9
	s_cbranch_execz .LBB0_16
; %bb.13:                               ;   in Loop: Header=BB0_3 Depth=1
	v_mov_b32_e32 v13, 0
	v_mov_b32_e32 v14, 0
	s_mov_b64 s[0:1], 0
	s_mov_b32 s13, 0
	s_mov_b64 s[4:5], 0
	.p2align	6
.LBB0_14:                               ;   Parent Loop BB0_3 Depth=1
                                        ; =>  This Inner Loop Header: Depth=2
	s_delay_alu instid0(SALU_CYCLE_1)
	v_add_co_u32 v15, vcc_lo, v25, s4
	v_add_co_ci_u32_e32 v16, vcc_lo, s5, v26, vcc_lo
	s_add_u32 s4, s4, 1
	s_addc_u32 s5, s5, 0
	v_cmp_eq_u32_e32 vcc_lo, s4, v9
	flat_load_u8 v15, v[15:16]
	s_waitcnt vmcnt(0) lgkmcnt(0)
	v_dual_mov_b32 v16, s11 :: v_dual_and_b32 v15, 0xffff, v15
	s_delay_alu instid0(VALU_DEP_1) | instskip(SKIP_3) | instid1(VALU_DEP_1)
	v_lshlrev_b64 v[15:16], s0, v[15:16]
	s_add_u32 s0, s0, 8
	s_addc_u32 s1, s1, 0
	s_or_b32 s13, vcc_lo, s13
	v_or_b32_e32 v14, v16, v14
	s_delay_alu instid0(VALU_DEP_2)
	v_or_b32_e32 v13, v15, v13
	s_and_not1_b32 exec_lo, exec_lo, s13
	s_cbranch_execnz .LBB0_14
; %bb.15:                               ;   in Loop: Header=BB0_3 Depth=1
	s_or_b32 exec_lo, exec_lo, s13
.LBB0_16:                               ;   in Loop: Header=BB0_3 Depth=1
	s_delay_alu instid0(SALU_CYCLE_1)
	s_or_b32 exec_lo, exec_lo, s7
	s_mov_b32 s1, 0
                                        ; implicit-def: $vgpr9
.LBB0_17:                               ;   in Loop: Header=BB0_3 Depth=1
	s_or_saveexec_b32 s0, s6
	v_mov_b32_e32 v17, s1
	s_xor_b32 exec_lo, exec_lo, s0
	s_cbranch_execz .LBB0_19
; %bb.18:                               ;   in Loop: Header=BB0_3 Depth=1
	flat_load_b64 v[13:14], v[25:26]
	v_add_co_u32 v25, vcc_lo, v25, 8
	v_add_nc_u32_e32 v17, -8, v9
	v_add_co_ci_u32_e32 v26, vcc_lo, 0, v26, vcc_lo
	s_waitcnt vmcnt(0) lgkmcnt(0)
	v_and_b32_e32 v15, 0xff, v14
	v_and_b32_e32 v16, 0xff00, v14
	;; [unrolled: 1-line block ×4, first 2 shown]
	v_or3_b32 v13, v13, 0, 0
	s_delay_alu instid0(VALU_DEP_4) | instskip(NEXT) | instid1(VALU_DEP_1)
	v_or_b32_e32 v15, v15, v16
	v_or3_b32 v14, v15, v18, v14
.LBB0_19:                               ;   in Loop: Header=BB0_3 Depth=1
	s_or_b32 exec_lo, exec_lo, s0
                                        ; implicit-def: $sgpr1
	s_delay_alu instid0(SALU_CYCLE_1)
	s_mov_b32 s0, exec_lo
	v_cmpx_gt_u32_e32 8, v17
	s_xor_b32 s6, exec_lo, s0
	s_cbranch_execz .LBB0_25
; %bb.20:                               ;   in Loop: Header=BB0_3 Depth=1
	v_mov_b32_e32 v15, 0
	v_mov_b32_e32 v16, 0
	s_mov_b32 s7, exec_lo
	v_cmpx_ne_u32_e32 0, v17
	s_cbranch_execz .LBB0_24
; %bb.21:                               ;   in Loop: Header=BB0_3 Depth=1
	v_mov_b32_e32 v15, 0
	v_mov_b32_e32 v16, 0
	s_mov_b64 s[0:1], 0
	s_mov_b32 s13, 0
	s_mov_b64 s[4:5], 0
	.p2align	6
.LBB0_22:                               ;   Parent Loop BB0_3 Depth=1
                                        ; =>  This Inner Loop Header: Depth=2
	s_delay_alu instid0(SALU_CYCLE_1)
	v_add_co_u32 v18, vcc_lo, v25, s4
	v_add_co_ci_u32_e32 v19, vcc_lo, s5, v26, vcc_lo
	s_add_u32 s4, s4, 1
	s_addc_u32 s5, s5, 0
	v_cmp_eq_u32_e32 vcc_lo, s4, v17
	flat_load_u8 v9, v[18:19]
	s_waitcnt vmcnt(0) lgkmcnt(0)
	v_dual_mov_b32 v19, s11 :: v_dual_and_b32 v18, 0xffff, v9
	s_delay_alu instid0(VALU_DEP_1) | instskip(SKIP_3) | instid1(VALU_DEP_1)
	v_lshlrev_b64 v[18:19], s0, v[18:19]
	s_add_u32 s0, s0, 8
	s_addc_u32 s1, s1, 0
	s_or_b32 s13, vcc_lo, s13
	v_or_b32_e32 v16, v19, v16
	s_delay_alu instid0(VALU_DEP_2)
	v_or_b32_e32 v15, v18, v15
	s_and_not1_b32 exec_lo, exec_lo, s13
	s_cbranch_execnz .LBB0_22
; %bb.23:                               ;   in Loop: Header=BB0_3 Depth=1
	s_or_b32 exec_lo, exec_lo, s13
.LBB0_24:                               ;   in Loop: Header=BB0_3 Depth=1
	s_delay_alu instid0(SALU_CYCLE_1)
	s_or_b32 exec_lo, exec_lo, s7
	s_mov_b32 s1, 0
                                        ; implicit-def: $vgpr17
.LBB0_25:                               ;   in Loop: Header=BB0_3 Depth=1
	s_or_saveexec_b32 s0, s6
	v_mov_b32_e32 v9, s1
	s_xor_b32 exec_lo, exec_lo, s0
	s_cbranch_execz .LBB0_27
; %bb.26:                               ;   in Loop: Header=BB0_3 Depth=1
	flat_load_b64 v[15:16], v[25:26]
	v_add_co_u32 v25, vcc_lo, v25, 8
	v_add_co_ci_u32_e32 v26, vcc_lo, 0, v26, vcc_lo
	s_waitcnt vmcnt(0) lgkmcnt(0)
	v_and_b32_e32 v9, 0xff, v16
	v_and_b32_e32 v18, 0xff00, v16
	;; [unrolled: 1-line block ×4, first 2 shown]
	v_or3_b32 v15, v15, 0, 0
	s_delay_alu instid0(VALU_DEP_4) | instskip(SKIP_1) | instid1(VALU_DEP_2)
	v_or_b32_e32 v18, v9, v18
	v_add_nc_u32_e32 v9, -8, v17
	v_or3_b32 v16, v18, v19, v16
.LBB0_27:                               ;   in Loop: Header=BB0_3 Depth=1
	s_or_b32 exec_lo, exec_lo, s0
                                        ; implicit-def: $vgpr17_vgpr18
                                        ; implicit-def: $sgpr1
	s_delay_alu instid0(SALU_CYCLE_1) | instskip(NEXT) | instid1(VALU_DEP_1)
	s_mov_b32 s0, exec_lo
	v_cmpx_gt_u32_e32 8, v9
	s_xor_b32 s6, exec_lo, s0
	s_cbranch_execz .LBB0_33
; %bb.28:                               ;   in Loop: Header=BB0_3 Depth=1
	v_mov_b32_e32 v17, 0
	v_mov_b32_e32 v18, 0
	s_mov_b32 s7, exec_lo
	v_cmpx_ne_u32_e32 0, v9
	s_cbranch_execz .LBB0_32
; %bb.29:                               ;   in Loop: Header=BB0_3 Depth=1
	v_mov_b32_e32 v17, 0
	v_mov_b32_e32 v18, 0
	s_mov_b64 s[0:1], 0
	s_mov_b32 s13, 0
	s_mov_b64 s[4:5], 0
	.p2align	6
.LBB0_30:                               ;   Parent Loop BB0_3 Depth=1
                                        ; =>  This Inner Loop Header: Depth=2
	s_delay_alu instid0(SALU_CYCLE_1)
	v_add_co_u32 v19, vcc_lo, v25, s4
	v_add_co_ci_u32_e32 v20, vcc_lo, s5, v26, vcc_lo
	s_add_u32 s4, s4, 1
	s_addc_u32 s5, s5, 0
	v_cmp_eq_u32_e32 vcc_lo, s4, v9
	flat_load_u8 v19, v[19:20]
	s_waitcnt vmcnt(0) lgkmcnt(0)
	v_dual_mov_b32 v20, s11 :: v_dual_and_b32 v19, 0xffff, v19
	s_delay_alu instid0(VALU_DEP_1) | instskip(SKIP_3) | instid1(VALU_DEP_1)
	v_lshlrev_b64 v[19:20], s0, v[19:20]
	s_add_u32 s0, s0, 8
	s_addc_u32 s1, s1, 0
	s_or_b32 s13, vcc_lo, s13
	v_or_b32_e32 v18, v20, v18
	s_delay_alu instid0(VALU_DEP_2)
	v_or_b32_e32 v17, v19, v17
	s_and_not1_b32 exec_lo, exec_lo, s13
	s_cbranch_execnz .LBB0_30
; %bb.31:                               ;   in Loop: Header=BB0_3 Depth=1
	s_or_b32 exec_lo, exec_lo, s13
.LBB0_32:                               ;   in Loop: Header=BB0_3 Depth=1
	s_delay_alu instid0(SALU_CYCLE_1)
	s_or_b32 exec_lo, exec_lo, s7
	s_mov_b32 s1, 0
                                        ; implicit-def: $vgpr9
.LBB0_33:                               ;   in Loop: Header=BB0_3 Depth=1
	s_or_saveexec_b32 s0, s6
	v_mov_b32_e32 v21, s1
	s_xor_b32 exec_lo, exec_lo, s0
	s_cbranch_execz .LBB0_35
; %bb.34:                               ;   in Loop: Header=BB0_3 Depth=1
	flat_load_b64 v[17:18], v[25:26]
	v_add_co_u32 v25, vcc_lo, v25, 8
	v_add_nc_u32_e32 v21, -8, v9
	v_add_co_ci_u32_e32 v26, vcc_lo, 0, v26, vcc_lo
	s_waitcnt vmcnt(0) lgkmcnt(0)
	v_and_b32_e32 v19, 0xff, v18
	v_and_b32_e32 v20, 0xff00, v18
	;; [unrolled: 1-line block ×4, first 2 shown]
	v_or3_b32 v17, v17, 0, 0
	s_delay_alu instid0(VALU_DEP_4) | instskip(NEXT) | instid1(VALU_DEP_1)
	v_or_b32_e32 v19, v19, v20
	v_or3_b32 v18, v19, v22, v18
.LBB0_35:                               ;   in Loop: Header=BB0_3 Depth=1
	s_or_b32 exec_lo, exec_lo, s0
                                        ; implicit-def: $sgpr1
	s_delay_alu instid0(SALU_CYCLE_1)
	s_mov_b32 s0, exec_lo
	v_cmpx_gt_u32_e32 8, v21
	s_xor_b32 s6, exec_lo, s0
	s_cbranch_execz .LBB0_41
; %bb.36:                               ;   in Loop: Header=BB0_3 Depth=1
	v_mov_b32_e32 v19, 0
	v_mov_b32_e32 v20, 0
	s_mov_b32 s7, exec_lo
	v_cmpx_ne_u32_e32 0, v21
	s_cbranch_execz .LBB0_40
; %bb.37:                               ;   in Loop: Header=BB0_3 Depth=1
	v_mov_b32_e32 v19, 0
	v_mov_b32_e32 v20, 0
	s_mov_b64 s[0:1], 0
	s_mov_b32 s13, 0
	s_mov_b64 s[4:5], 0
	.p2align	6
.LBB0_38:                               ;   Parent Loop BB0_3 Depth=1
                                        ; =>  This Inner Loop Header: Depth=2
	s_delay_alu instid0(SALU_CYCLE_1)
	v_add_co_u32 v22, vcc_lo, v25, s4
	v_add_co_ci_u32_e32 v23, vcc_lo, s5, v26, vcc_lo
	s_add_u32 s4, s4, 1
	s_addc_u32 s5, s5, 0
	v_cmp_eq_u32_e32 vcc_lo, s4, v21
	flat_load_u8 v9, v[22:23]
	s_waitcnt vmcnt(0) lgkmcnt(0)
	v_dual_mov_b32 v23, s11 :: v_dual_and_b32 v22, 0xffff, v9
	s_delay_alu instid0(VALU_DEP_1) | instskip(SKIP_3) | instid1(VALU_DEP_1)
	v_lshlrev_b64 v[22:23], s0, v[22:23]
	s_add_u32 s0, s0, 8
	s_addc_u32 s1, s1, 0
	s_or_b32 s13, vcc_lo, s13
	v_or_b32_e32 v20, v23, v20
	s_delay_alu instid0(VALU_DEP_2)
	v_or_b32_e32 v19, v22, v19
	s_and_not1_b32 exec_lo, exec_lo, s13
	s_cbranch_execnz .LBB0_38
; %bb.39:                               ;   in Loop: Header=BB0_3 Depth=1
	s_or_b32 exec_lo, exec_lo, s13
.LBB0_40:                               ;   in Loop: Header=BB0_3 Depth=1
	s_delay_alu instid0(SALU_CYCLE_1)
	s_or_b32 exec_lo, exec_lo, s7
	s_mov_b32 s1, 0
                                        ; implicit-def: $vgpr21
.LBB0_41:                               ;   in Loop: Header=BB0_3 Depth=1
	s_or_saveexec_b32 s0, s6
	v_mov_b32_e32 v9, s1
	s_xor_b32 exec_lo, exec_lo, s0
	s_cbranch_execz .LBB0_43
; %bb.42:                               ;   in Loop: Header=BB0_3 Depth=1
	flat_load_b64 v[19:20], v[25:26]
	v_add_co_u32 v25, vcc_lo, v25, 8
	v_add_co_ci_u32_e32 v26, vcc_lo, 0, v26, vcc_lo
	s_waitcnt vmcnt(0) lgkmcnt(0)
	v_and_b32_e32 v9, 0xff, v20
	v_and_b32_e32 v22, 0xff00, v20
	;; [unrolled: 1-line block ×4, first 2 shown]
	v_or3_b32 v19, v19, 0, 0
	s_delay_alu instid0(VALU_DEP_4) | instskip(SKIP_1) | instid1(VALU_DEP_2)
	v_or_b32_e32 v22, v9, v22
	v_add_nc_u32_e32 v9, -8, v21
	v_or3_b32 v20, v22, v23, v20
.LBB0_43:                               ;   in Loop: Header=BB0_3 Depth=1
	s_or_b32 exec_lo, exec_lo, s0
                                        ; implicit-def: $vgpr21_vgpr22
                                        ; implicit-def: $sgpr1
	s_delay_alu instid0(SALU_CYCLE_1) | instskip(NEXT) | instid1(VALU_DEP_1)
	s_mov_b32 s0, exec_lo
	v_cmpx_gt_u32_e32 8, v9
	s_xor_b32 s6, exec_lo, s0
	s_cbranch_execz .LBB0_49
; %bb.44:                               ;   in Loop: Header=BB0_3 Depth=1
	v_mov_b32_e32 v21, 0
	v_mov_b32_e32 v22, 0
	s_mov_b32 s7, exec_lo
	v_cmpx_ne_u32_e32 0, v9
	s_cbranch_execz .LBB0_48
; %bb.45:                               ;   in Loop: Header=BB0_3 Depth=1
	v_mov_b32_e32 v21, 0
	v_mov_b32_e32 v22, 0
	s_mov_b64 s[0:1], 0
	s_mov_b32 s13, 0
	s_mov_b64 s[4:5], 0
	.p2align	6
.LBB0_46:                               ;   Parent Loop BB0_3 Depth=1
                                        ; =>  This Inner Loop Header: Depth=2
	s_delay_alu instid0(SALU_CYCLE_1)
	v_add_co_u32 v23, vcc_lo, v25, s4
	v_add_co_ci_u32_e32 v24, vcc_lo, s5, v26, vcc_lo
	s_add_u32 s4, s4, 1
	s_addc_u32 s5, s5, 0
	v_cmp_eq_u32_e32 vcc_lo, s4, v9
	flat_load_u8 v23, v[23:24]
	s_waitcnt vmcnt(0) lgkmcnt(0)
	v_dual_mov_b32 v24, s11 :: v_dual_and_b32 v23, 0xffff, v23
	s_delay_alu instid0(VALU_DEP_1) | instskip(SKIP_3) | instid1(VALU_DEP_1)
	v_lshlrev_b64 v[23:24], s0, v[23:24]
	s_add_u32 s0, s0, 8
	s_addc_u32 s1, s1, 0
	s_or_b32 s13, vcc_lo, s13
	v_or_b32_e32 v22, v24, v22
	s_delay_alu instid0(VALU_DEP_2)
	v_or_b32_e32 v21, v23, v21
	s_and_not1_b32 exec_lo, exec_lo, s13
	s_cbranch_execnz .LBB0_46
; %bb.47:                               ;   in Loop: Header=BB0_3 Depth=1
	s_or_b32 exec_lo, exec_lo, s13
.LBB0_48:                               ;   in Loop: Header=BB0_3 Depth=1
	s_delay_alu instid0(SALU_CYCLE_1)
	s_or_b32 exec_lo, exec_lo, s7
	s_mov_b32 s1, 0
                                        ; implicit-def: $vgpr9
.LBB0_49:                               ;   in Loop: Header=BB0_3 Depth=1
	s_or_saveexec_b32 s0, s6
	v_mov_b32_e32 v27, s1
	s_xor_b32 exec_lo, exec_lo, s0
	s_cbranch_execz .LBB0_51
; %bb.50:                               ;   in Loop: Header=BB0_3 Depth=1
	flat_load_b64 v[21:22], v[25:26]
	v_add_co_u32 v25, vcc_lo, v25, 8
	v_add_nc_u32_e32 v27, -8, v9
	v_add_co_ci_u32_e32 v26, vcc_lo, 0, v26, vcc_lo
	s_waitcnt vmcnt(0) lgkmcnt(0)
	v_and_b32_e32 v23, 0xff, v22
	v_and_b32_e32 v24, 0xff00, v22
	;; [unrolled: 1-line block ×4, first 2 shown]
	v_or3_b32 v21, v21, 0, 0
	s_delay_alu instid0(VALU_DEP_4) | instskip(NEXT) | instid1(VALU_DEP_1)
	v_or_b32_e32 v23, v23, v24
	v_or3_b32 v22, v23, v28, v22
.LBB0_51:                               ;   in Loop: Header=BB0_3 Depth=1
	s_or_b32 exec_lo, exec_lo, s0
	s_delay_alu instid0(SALU_CYCLE_1)
	s_mov_b32 s0, exec_lo
	v_cmpx_gt_u32_e32 8, v27
	s_xor_b32 s4, exec_lo, s0
	s_cbranch_execz .LBB0_57
; %bb.52:                               ;   in Loop: Header=BB0_3 Depth=1
	v_mov_b32_e32 v23, 0
	v_mov_b32_e32 v24, 0
	s_mov_b32 s5, exec_lo
	v_cmpx_ne_u32_e32 0, v27
	s_cbranch_execz .LBB0_56
; %bb.53:                               ;   in Loop: Header=BB0_3 Depth=1
	v_mov_b32_e32 v23, 0
	v_mov_b32_e32 v24, 0
	s_mov_b64 s[0:1], 0
	s_mov_b32 s6, 0
	.p2align	6
.LBB0_54:                               ;   Parent Loop BB0_3 Depth=1
                                        ; =>  This Inner Loop Header: Depth=2
	flat_load_u8 v9, v[25:26]
	v_dual_mov_b32 v32, s11 :: v_dual_add_nc_u32 v27, -1, v27
	v_add_co_u32 v25, vcc_lo, v25, 1
	v_add_co_ci_u32_e32 v26, vcc_lo, 0, v26, vcc_lo
	s_delay_alu instid0(VALU_DEP_3) | instskip(SKIP_2) | instid1(VALU_DEP_1)
	v_cmp_eq_u32_e32 vcc_lo, 0, v27
	s_waitcnt vmcnt(0) lgkmcnt(0)
	v_and_b32_e32 v31, 0xffff, v9
	v_lshlrev_b64 v[31:32], s0, v[31:32]
	s_add_u32 s0, s0, 8
	s_addc_u32 s1, s1, 0
	s_or_b32 s6, vcc_lo, s6
	s_delay_alu instid0(VALU_DEP_1) | instskip(NEXT) | instid1(VALU_DEP_2)
	v_or_b32_e32 v24, v32, v24
	v_or_b32_e32 v23, v31, v23
	s_and_not1_b32 exec_lo, exec_lo, s6
	s_cbranch_execnz .LBB0_54
; %bb.55:                               ;   in Loop: Header=BB0_3 Depth=1
	s_or_b32 exec_lo, exec_lo, s6
.LBB0_56:                               ;   in Loop: Header=BB0_3 Depth=1
	s_delay_alu instid0(SALU_CYCLE_1)
	s_or_b32 exec_lo, exec_lo, s5
                                        ; implicit-def: $vgpr25_vgpr26
.LBB0_57:                               ;   in Loop: Header=BB0_3 Depth=1
	s_and_not1_saveexec_b32 s0, s4
	s_cbranch_execz .LBB0_59
; %bb.58:                               ;   in Loop: Header=BB0_3 Depth=1
	flat_load_b64 v[23:24], v[25:26]
	s_waitcnt vmcnt(0) lgkmcnt(0)
	v_and_b32_e32 v9, 0xff, v24
	v_and_b32_e32 v25, 0xff00, v24
	;; [unrolled: 1-line block ×4, first 2 shown]
	v_or3_b32 v23, v23, 0, 0
	s_delay_alu instid0(VALU_DEP_4) | instskip(NEXT) | instid1(VALU_DEP_1)
	v_or_b32_e32 v9, v9, v25
	v_or3_b32 v24, v9, v26, v24
.LBB0_59:                               ;   in Loop: Header=BB0_3 Depth=1
	s_or_b32 exec_lo, exec_lo, s0
	v_readfirstlane_b32 s0, v33
	v_mov_b32_e32 v31, 0
	v_mov_b32_e32 v32, 0
	s_delay_alu instid0(VALU_DEP_3) | instskip(NEXT) | instid1(VALU_DEP_1)
	v_cmp_eq_u32_e64 s0, s0, v33
	s_and_saveexec_b32 s1, s0
	s_cbranch_execz .LBB0_65
; %bb.60:                               ;   in Loop: Header=BB0_3 Depth=1
	s_waitcnt lgkmcnt(0)
	global_load_b64 v[27:28], v10, s[2:3] offset:24 glc
	s_waitcnt vmcnt(0)
	buffer_gl1_inv
	buffer_gl0_inv
	s_clause 0x1
	global_load_b64 v[25:26], v10, s[2:3] offset:40
	global_load_b64 v[31:32], v10, s[2:3]
	s_mov_b32 s4, exec_lo
	s_waitcnt vmcnt(1)
	v_and_b32_e32 v9, v26, v28
	v_and_b32_e32 v25, v25, v27
	s_delay_alu instid0(VALU_DEP_2) | instskip(NEXT) | instid1(VALU_DEP_2)
	v_mul_lo_u32 v9, v9, 24
	v_mul_hi_u32 v26, v25, 24
	v_mul_lo_u32 v25, v25, 24
	s_delay_alu instid0(VALU_DEP_2) | instskip(SKIP_1) | instid1(VALU_DEP_2)
	v_add_nc_u32_e32 v9, v26, v9
	s_waitcnt vmcnt(0)
	v_add_co_u32 v25, vcc_lo, v31, v25
	s_delay_alu instid0(VALU_DEP_2)
	v_add_co_ci_u32_e32 v26, vcc_lo, v32, v9, vcc_lo
	global_load_b64 v[25:26], v[25:26], off glc
	s_waitcnt vmcnt(0)
	global_atomic_cmpswap_b64 v[31:32], v10, v[25:28], s[2:3] offset:24 glc
	s_waitcnt vmcnt(0)
	buffer_gl1_inv
	buffer_gl0_inv
	v_cmpx_ne_u64_e64 v[31:32], v[27:28]
	s_cbranch_execz .LBB0_64
; %bb.61:                               ;   in Loop: Header=BB0_3 Depth=1
	s_mov_b32 s5, 0
	.p2align	6
.LBB0_62:                               ;   Parent Loop BB0_3 Depth=1
                                        ; =>  This Inner Loop Header: Depth=2
	s_sleep 1
	s_clause 0x1
	global_load_b64 v[25:26], v10, s[2:3] offset:40
	global_load_b64 v[34:35], v10, s[2:3]
	v_dual_mov_b32 v27, v31 :: v_dual_mov_b32 v28, v32
	s_waitcnt vmcnt(1)
	s_delay_alu instid0(VALU_DEP_1) | instskip(SKIP_1) | instid1(VALU_DEP_1)
	v_and_b32_e32 v9, v25, v27
	s_waitcnt vmcnt(0)
	v_mad_u64_u32 v[31:32], null, v9, 24, v[34:35]
	s_delay_alu instid0(VALU_DEP_1) | instskip(NEXT) | instid1(VALU_DEP_1)
	v_dual_mov_b32 v9, v32 :: v_dual_and_b32 v34, v26, v28
	v_mad_u64_u32 v[25:26], null, v34, 24, v[9:10]
	s_delay_alu instid0(VALU_DEP_1)
	v_mov_b32_e32 v32, v25
	global_load_b64 v[25:26], v[31:32], off glc
	s_waitcnt vmcnt(0)
	global_atomic_cmpswap_b64 v[31:32], v10, v[25:28], s[2:3] offset:24 glc
	s_waitcnt vmcnt(0)
	buffer_gl1_inv
	buffer_gl0_inv
	v_cmp_eq_u64_e32 vcc_lo, v[31:32], v[27:28]
	s_or_b32 s5, vcc_lo, s5
	s_delay_alu instid0(SALU_CYCLE_1)
	s_and_not1_b32 exec_lo, exec_lo, s5
	s_cbranch_execnz .LBB0_62
; %bb.63:                               ;   in Loop: Header=BB0_3 Depth=1
	s_or_b32 exec_lo, exec_lo, s5
.LBB0_64:                               ;   in Loop: Header=BB0_3 Depth=1
	s_delay_alu instid0(SALU_CYCLE_1)
	s_or_b32 exec_lo, exec_lo, s4
.LBB0_65:                               ;   in Loop: Header=BB0_3 Depth=1
	s_delay_alu instid0(SALU_CYCLE_1)
	s_or_b32 exec_lo, exec_lo, s1
	s_waitcnt lgkmcnt(0)
	s_clause 0x1
	global_load_b64 v[34:35], v10, s[2:3] offset:40
	global_load_b128 v[25:28], v10, s[2:3]
	v_readfirstlane_b32 s4, v31
	v_readfirstlane_b32 s5, v32
	s_mov_b32 s1, exec_lo
	s_waitcnt vmcnt(1)
	v_readfirstlane_b32 s6, v34
	v_readfirstlane_b32 s7, v35
	s_delay_alu instid0(VALU_DEP_1) | instskip(NEXT) | instid1(SALU_CYCLE_1)
	s_and_b64 s[6:7], s[4:5], s[6:7]
	s_mul_i32 s13, s7, 24
	s_mul_hi_u32 s14, s6, 24
	s_mul_i32 s15, s6, 24
	s_add_i32 s14, s14, s13
	s_waitcnt vmcnt(0)
	v_add_co_u32 v31, vcc_lo, v25, s15
	v_add_co_ci_u32_e32 v32, vcc_lo, s14, v26, vcc_lo
	s_and_saveexec_b32 s13, s0
	s_cbranch_execz .LBB0_67
; %bb.66:                               ;   in Loop: Header=BB0_3 Depth=1
	v_mov_b32_e32 v9, s1
	global_store_b128 v[31:32], v[9:12], off offset:8
.LBB0_67:                               ;   in Loop: Header=BB0_3 Depth=1
	s_or_b32 exec_lo, exec_lo, s13
	v_cmp_lt_u64_e32 vcc_lo, 56, v[4:5]
	v_or_b32_e32 v9, 0, v1
	v_or_b32_e32 v34, v0, v6
	v_lshl_add_u32 v35, v29, 2, 28
	s_lshl_b64 s[6:7], s[6:7], 12
	s_delay_alu instid0(SALU_CYCLE_1) | instskip(NEXT) | instid1(VALU_DEP_1)
	v_add_co_u32 v27, s1, v27, s6
	v_add_co_ci_u32_e64 v28, s1, s7, v28, s1
	v_dual_cndmask_b32 v1, v9, v1 :: v_dual_cndmask_b32 v0, v34, v0
	v_and_b32_e32 v9, 0x1e0, v35
	v_lshlrev_b32_e32 v34, 6, v33
	v_readfirstlane_b32 s6, v27
	v_readfirstlane_b32 s7, v28
	s_delay_alu instid0(VALU_DEP_4)
	v_and_or_b32 v0, 0xffffff1f, v0, v9
	s_clause 0x3
	global_store_b128 v34, v[0:3], s[6:7]
	global_store_b128 v34, v[13:16], s[6:7] offset:16
	global_store_b128 v34, v[17:20], s[6:7] offset:32
	;; [unrolled: 1-line block ×3, first 2 shown]
	s_and_saveexec_b32 s1, s0
	s_cbranch_execz .LBB0_75
; %bb.68:                               ;   in Loop: Header=BB0_3 Depth=1
	s_clause 0x1
	global_load_b64 v[17:18], v10, s[2:3] offset:32 glc
	global_load_b64 v[0:1], v10, s[2:3] offset:40
	v_dual_mov_b32 v15, s4 :: v_dual_mov_b32 v16, s5
	s_waitcnt vmcnt(0)
	v_readfirstlane_b32 s6, v0
	v_readfirstlane_b32 s7, v1
	s_delay_alu instid0(VALU_DEP_1) | instskip(NEXT) | instid1(SALU_CYCLE_1)
	s_and_b64 s[6:7], s[6:7], s[4:5]
	s_mul_i32 s7, s7, 24
	s_mul_hi_u32 s13, s6, 24
	s_mul_i32 s6, s6, 24
	s_add_i32 s13, s13, s7
	v_add_co_u32 v13, vcc_lo, v25, s6
	v_add_co_ci_u32_e32 v14, vcc_lo, s13, v26, vcc_lo
	s_mov_b32 s6, exec_lo
	global_store_b64 v[13:14], v[17:18], off
	s_waitcnt_vscnt null, 0x0
	global_atomic_cmpswap_b64 v[2:3], v10, v[15:18], s[2:3] offset:32 glc
	s_waitcnt vmcnt(0)
	v_cmpx_ne_u64_e64 v[2:3], v[17:18]
	s_cbranch_execz .LBB0_71
; %bb.69:                               ;   in Loop: Header=BB0_3 Depth=1
	s_mov_b32 s7, 0
.LBB0_70:                               ;   Parent Loop BB0_3 Depth=1
                                        ; =>  This Inner Loop Header: Depth=2
	v_dual_mov_b32 v0, s4 :: v_dual_mov_b32 v1, s5
	s_sleep 1
	global_store_b64 v[13:14], v[2:3], off
	s_waitcnt_vscnt null, 0x0
	global_atomic_cmpswap_b64 v[0:1], v10, v[0:3], s[2:3] offset:32 glc
	s_waitcnt vmcnt(0)
	v_cmp_eq_u64_e32 vcc_lo, v[0:1], v[2:3]
	v_dual_mov_b32 v3, v1 :: v_dual_mov_b32 v2, v0
	s_or_b32 s7, vcc_lo, s7
	s_delay_alu instid0(SALU_CYCLE_1)
	s_and_not1_b32 exec_lo, exec_lo, s7
	s_cbranch_execnz .LBB0_70
.LBB0_71:                               ;   in Loop: Header=BB0_3 Depth=1
	s_or_b32 exec_lo, exec_lo, s6
	global_load_b64 v[0:1], v10, s[2:3] offset:16
	s_mov_b32 s7, exec_lo
	s_mov_b32 s6, exec_lo
	v_mbcnt_lo_u32_b32 v2, s7, 0
	s_delay_alu instid0(VALU_DEP_1)
	v_cmpx_eq_u32_e32 0, v2
	s_cbranch_execz .LBB0_73
; %bb.72:                               ;   in Loop: Header=BB0_3 Depth=1
	s_bcnt1_i32_b32 s7, s7
	s_delay_alu instid0(SALU_CYCLE_1)
	v_mov_b32_e32 v9, s7
	s_waitcnt vmcnt(0)
	global_atomic_add_u64 v[0:1], v[9:10], off offset:8
.LBB0_73:                               ;   in Loop: Header=BB0_3 Depth=1
	s_or_b32 exec_lo, exec_lo, s6
	s_waitcnt vmcnt(0)
	global_load_b64 v[2:3], v[0:1], off offset:16
	s_waitcnt vmcnt(0)
	v_cmp_eq_u64_e32 vcc_lo, 0, v[2:3]
	s_cbranch_vccnz .LBB0_75
; %bb.74:                               ;   in Loop: Header=BB0_3 Depth=1
	global_load_b32 v9, v[0:1], off offset:24
	s_waitcnt vmcnt(0)
	v_and_b32_e32 v0, 0xffffff, v9
	s_waitcnt_vscnt null, 0x0
	global_store_b64 v[2:3], v[9:10], off
	v_readfirstlane_b32 m0, v0
	s_sendmsg sendmsg(MSG_INTERRUPT)
.LBB0_75:                               ;   in Loop: Header=BB0_3 Depth=1
	s_or_b32 exec_lo, exec_lo, s1
	v_add_co_u32 v0, vcc_lo, v27, v34
	v_add_co_ci_u32_e32 v1, vcc_lo, 0, v28, vcc_lo
	s_branch .LBB0_79
	.p2align	6
.LBB0_76:                               ;   in Loop: Header=BB0_79 Depth=2
	s_or_b32 exec_lo, exec_lo, s1
	s_delay_alu instid0(VALU_DEP_1) | instskip(NEXT) | instid1(VALU_DEP_1)
	v_readfirstlane_b32 s1, v2
	s_cmp_eq_u32 s1, 0
	s_cbranch_scc1 .LBB0_78
; %bb.77:                               ;   in Loop: Header=BB0_79 Depth=2
	s_sleep 1
	s_cbranch_execnz .LBB0_79
	s_branch .LBB0_81
	.p2align	6
.LBB0_78:                               ;   in Loop: Header=BB0_3 Depth=1
	s_branch .LBB0_81
.LBB0_79:                               ;   Parent Loop BB0_3 Depth=1
                                        ; =>  This Inner Loop Header: Depth=2
	v_mov_b32_e32 v2, 1
	s_and_saveexec_b32 s1, s0
	s_cbranch_execz .LBB0_76
; %bb.80:                               ;   in Loop: Header=BB0_79 Depth=2
	global_load_b32 v2, v[31:32], off offset:20 glc
	s_waitcnt vmcnt(0)
	buffer_gl1_inv
	buffer_gl0_inv
	v_and_b32_e32 v2, 1, v2
	s_branch .LBB0_76
.LBB0_81:                               ;   in Loop: Header=BB0_3 Depth=1
	global_load_b128 v[0:3], v[0:1], off
	s_and_saveexec_b32 s1, s0
	s_cbranch_execz .LBB0_2
; %bb.82:                               ;   in Loop: Header=BB0_3 Depth=1
	s_clause 0x2
	global_load_b64 v[2:3], v10, s[2:3] offset:40
	global_load_b64 v[17:18], v10, s[2:3] offset:24 glc
	global_load_b64 v[15:16], v10, s[2:3]
	s_waitcnt vmcnt(2)
	v_add_co_u32 v9, vcc_lo, v2, 1
	v_add_co_ci_u32_e32 v19, vcc_lo, 0, v3, vcc_lo
	s_delay_alu instid0(VALU_DEP_2) | instskip(NEXT) | instid1(VALU_DEP_2)
	v_add_co_u32 v13, vcc_lo, v9, s4
	v_add_co_ci_u32_e32 v14, vcc_lo, s5, v19, vcc_lo
	s_delay_alu instid0(VALU_DEP_1) | instskip(SKIP_1) | instid1(VALU_DEP_1)
	v_cmp_eq_u64_e32 vcc_lo, 0, v[13:14]
	v_dual_cndmask_b32 v14, v14, v19 :: v_dual_cndmask_b32 v13, v13, v9
	v_and_b32_e32 v3, v14, v3
	s_delay_alu instid0(VALU_DEP_2) | instskip(NEXT) | instid1(VALU_DEP_2)
	v_and_b32_e32 v2, v13, v2
	v_mul_lo_u32 v3, v3, 24
	s_delay_alu instid0(VALU_DEP_2) | instskip(SKIP_1) | instid1(VALU_DEP_2)
	v_mul_hi_u32 v9, v2, 24
	v_mul_lo_u32 v2, v2, 24
	v_add_nc_u32_e32 v3, v9, v3
	s_waitcnt vmcnt(0)
	s_delay_alu instid0(VALU_DEP_2) | instskip(SKIP_1) | instid1(VALU_DEP_3)
	v_add_co_u32 v2, vcc_lo, v15, v2
	v_mov_b32_e32 v15, v17
	v_add_co_ci_u32_e32 v3, vcc_lo, v16, v3, vcc_lo
	v_mov_b32_e32 v16, v18
	global_store_b64 v[2:3], v[17:18], off
	s_waitcnt_vscnt null, 0x0
	global_atomic_cmpswap_b64 v[15:16], v10, v[13:16], s[2:3] offset:24 glc
	s_waitcnt vmcnt(0)
	v_cmp_ne_u64_e32 vcc_lo, v[15:16], v[17:18]
	s_and_b32 exec_lo, exec_lo, vcc_lo
	s_cbranch_execz .LBB0_2
; %bb.83:                               ;   in Loop: Header=BB0_3 Depth=1
	s_mov_b32 s0, 0
.LBB0_84:                               ;   Parent Loop BB0_3 Depth=1
                                        ; =>  This Inner Loop Header: Depth=2
	s_sleep 1
	global_store_b64 v[2:3], v[15:16], off
	s_waitcnt_vscnt null, 0x0
	global_atomic_cmpswap_b64 v[17:18], v10, v[13:16], s[2:3] offset:24 glc
	s_waitcnt vmcnt(0)
	v_cmp_eq_u64_e32 vcc_lo, v[17:18], v[15:16]
	v_dual_mov_b32 v15, v17 :: v_dual_mov_b32 v16, v18
	s_or_b32 s0, vcc_lo, s0
	s_delay_alu instid0(SALU_CYCLE_1)
	s_and_not1_b32 exec_lo, exec_lo, s0
	s_cbranch_execnz .LBB0_84
	s_branch .LBB0_2
.LBB0_85:
	s_or_b32 exec_lo, exec_lo, s12
                                        ; implicit-def: $vgpr0
                                        ; implicit-def: $vgpr33
                                        ; implicit-def: $vgpr1
.LBB0_86:
	s_and_not1_saveexec_b32 s1, s10
	s_cbranch_execz .LBB0_108
; %bb.87:
	s_load_b64 s[2:3], s[8:9], 0x50
	v_readfirstlane_b32 s0, v33
	v_mov_b32_e32 v8, 0
	v_mov_b32_e32 v9, 0
	s_delay_alu instid0(VALU_DEP_3) | instskip(NEXT) | instid1(VALU_DEP_1)
	v_cmp_eq_u32_e64 s0, s0, v33
	s_and_saveexec_b32 s4, s0
	s_cbranch_execz .LBB0_93
; %bb.88:
	s_waitcnt vmcnt(0)
	v_mov_b32_e32 v2, 0
	s_mov_b32 s5, exec_lo
	s_waitcnt lgkmcnt(0)
	global_load_b64 v[5:6], v2, s[2:3] offset:24 glc
	s_waitcnt vmcnt(0)
	buffer_gl1_inv
	buffer_gl0_inv
	s_clause 0x1
	global_load_b64 v[3:4], v2, s[2:3] offset:40
	global_load_b64 v[7:8], v2, s[2:3]
	s_waitcnt vmcnt(1)
	v_and_b32_e32 v3, v3, v5
	v_and_b32_e32 v4, v4, v6
	s_delay_alu instid0(VALU_DEP_2) | instskip(NEXT) | instid1(VALU_DEP_2)
	v_mul_hi_u32 v9, v3, 24
	v_mul_lo_u32 v4, v4, 24
	v_mul_lo_u32 v3, v3, 24
	s_delay_alu instid0(VALU_DEP_2) | instskip(SKIP_1) | instid1(VALU_DEP_2)
	v_add_nc_u32_e32 v4, v9, v4
	s_waitcnt vmcnt(0)
	v_add_co_u32 v3, vcc_lo, v7, v3
	s_delay_alu instid0(VALU_DEP_2)
	v_add_co_ci_u32_e32 v4, vcc_lo, v8, v4, vcc_lo
	global_load_b64 v[3:4], v[3:4], off glc
	s_waitcnt vmcnt(0)
	global_atomic_cmpswap_b64 v[8:9], v2, v[3:6], s[2:3] offset:24 glc
	s_waitcnt vmcnt(0)
	buffer_gl1_inv
	buffer_gl0_inv
	v_cmpx_ne_u64_e64 v[8:9], v[5:6]
	s_cbranch_execz .LBB0_92
; %bb.89:
	s_mov_b32 s6, 0
	.p2align	6
.LBB0_90:                               ; =>This Inner Loop Header: Depth=1
	s_sleep 1
	s_clause 0x1
	global_load_b64 v[3:4], v2, s[2:3] offset:40
	global_load_b64 v[10:11], v2, s[2:3]
	v_dual_mov_b32 v5, v8 :: v_dual_mov_b32 v6, v9
	s_waitcnt vmcnt(1)
	s_delay_alu instid0(VALU_DEP_1) | instskip(NEXT) | instid1(VALU_DEP_2)
	v_and_b32_e32 v3, v3, v5
	v_and_b32_e32 v4, v4, v6
	s_waitcnt vmcnt(0)
	s_delay_alu instid0(VALU_DEP_2) | instskip(NEXT) | instid1(VALU_DEP_1)
	v_mad_u64_u32 v[7:8], null, v3, 24, v[10:11]
	v_mov_b32_e32 v3, v8
	s_delay_alu instid0(VALU_DEP_1)
	v_mad_u64_u32 v[8:9], null, v4, 24, v[3:4]
	global_load_b64 v[3:4], v[7:8], off glc
	s_waitcnt vmcnt(0)
	global_atomic_cmpswap_b64 v[8:9], v2, v[3:6], s[2:3] offset:24 glc
	s_waitcnt vmcnt(0)
	buffer_gl1_inv
	buffer_gl0_inv
	v_cmp_eq_u64_e32 vcc_lo, v[8:9], v[5:6]
	s_or_b32 s6, vcc_lo, s6
	s_delay_alu instid0(SALU_CYCLE_1)
	s_and_not1_b32 exec_lo, exec_lo, s6
	s_cbranch_execnz .LBB0_90
; %bb.91:
	s_or_b32 exec_lo, exec_lo, s6
.LBB0_92:
	s_delay_alu instid0(SALU_CYCLE_1)
	s_or_b32 exec_lo, exec_lo, s5
.LBB0_93:
	s_delay_alu instid0(SALU_CYCLE_1)
	s_or_b32 exec_lo, exec_lo, s4
	s_waitcnt vmcnt(0)
	v_mov_b32_e32 v2, 0
	v_readfirstlane_b32 s4, v8
	v_readfirstlane_b32 s5, v9
	s_mov_b32 s8, exec_lo
	s_waitcnt lgkmcnt(0)
	s_clause 0x1
	global_load_b64 v[10:11], v2, s[2:3] offset:40
	global_load_b128 v[4:7], v2, s[2:3]
	s_waitcnt vmcnt(1)
	v_readfirstlane_b32 s6, v10
	v_readfirstlane_b32 s7, v11
	s_delay_alu instid0(VALU_DEP_1) | instskip(NEXT) | instid1(SALU_CYCLE_1)
	s_and_b64 s[6:7], s[4:5], s[6:7]
	s_mul_i32 s9, s7, 24
	s_mul_hi_u32 s10, s6, 24
	s_mul_i32 s11, s6, 24
	s_add_i32 s10, s10, s9
	s_waitcnt vmcnt(0)
	v_add_co_u32 v8, vcc_lo, v4, s11
	v_add_co_ci_u32_e32 v9, vcc_lo, s10, v5, vcc_lo
	s_and_saveexec_b32 s9, s0
	s_cbranch_execz .LBB0_95
; %bb.94:
	v_dual_mov_b32 v10, s8 :: v_dual_mov_b32 v11, v2
	v_dual_mov_b32 v12, 2 :: v_dual_mov_b32 v13, 1
	global_store_b128 v[8:9], v[10:13], off offset:8
.LBB0_95:
	s_or_b32 exec_lo, exec_lo, s9
	s_lshl_b64 s[6:7], s[6:7], 12
	s_mov_b32 s8, 0
	v_add_co_u32 v6, vcc_lo, v6, s6
	v_add_co_ci_u32_e32 v7, vcc_lo, s7, v7, vcc_lo
	s_mov_b32 s11, s8
	s_mov_b32 s9, s8
	;; [unrolled: 1-line block ×3, first 2 shown]
	v_and_or_b32 v0, 0xffffff1f, v0, 32
	v_dual_mov_b32 v3, v2 :: v_dual_lshlrev_b32 v14, 6, v33
	v_readfirstlane_b32 s6, v6
	v_readfirstlane_b32 s7, v7
	v_dual_mov_b32 v13, s11 :: v_dual_mov_b32 v12, s10
	v_dual_mov_b32 v11, s9 :: v_dual_mov_b32 v10, s8
	s_clause 0x3
	global_store_b128 v14, v[0:3], s[6:7]
	global_store_b128 v14, v[10:13], s[6:7] offset:16
	global_store_b128 v14, v[10:13], s[6:7] offset:32
	;; [unrolled: 1-line block ×3, first 2 shown]
	s_and_saveexec_b32 s6, s0
	s_cbranch_execz .LBB0_102
; %bb.96:
	v_mov_b32_e32 v6, 0
	s_mov_b32 s7, exec_lo
	s_clause 0x1
	global_load_b64 v[12:13], v6, s[2:3] offset:32 glc
	global_load_b64 v[0:1], v6, s[2:3] offset:40
	v_dual_mov_b32 v11, s5 :: v_dual_mov_b32 v10, s4
	s_waitcnt vmcnt(0)
	v_and_b32_e32 v1, s5, v1
	v_and_b32_e32 v0, s4, v0
	s_delay_alu instid0(VALU_DEP_2) | instskip(NEXT) | instid1(VALU_DEP_2)
	v_mul_lo_u32 v1, v1, 24
	v_mul_hi_u32 v2, v0, 24
	v_mul_lo_u32 v0, v0, 24
	s_delay_alu instid0(VALU_DEP_2) | instskip(NEXT) | instid1(VALU_DEP_2)
	v_add_nc_u32_e32 v1, v2, v1
	v_add_co_u32 v4, vcc_lo, v4, v0
	s_delay_alu instid0(VALU_DEP_2)
	v_add_co_ci_u32_e32 v5, vcc_lo, v5, v1, vcc_lo
	global_store_b64 v[4:5], v[12:13], off
	s_waitcnt_vscnt null, 0x0
	global_atomic_cmpswap_b64 v[2:3], v6, v[10:13], s[2:3] offset:32 glc
	s_waitcnt vmcnt(0)
	v_cmpx_ne_u64_e64 v[2:3], v[12:13]
	s_cbranch_execz .LBB0_98
.LBB0_97:                               ; =>This Inner Loop Header: Depth=1
	v_dual_mov_b32 v0, s4 :: v_dual_mov_b32 v1, s5
	s_sleep 1
	global_store_b64 v[4:5], v[2:3], off
	s_waitcnt_vscnt null, 0x0
	global_atomic_cmpswap_b64 v[0:1], v6, v[0:3], s[2:3] offset:32 glc
	s_waitcnt vmcnt(0)
	v_cmp_eq_u64_e32 vcc_lo, v[0:1], v[2:3]
	v_dual_mov_b32 v3, v1 :: v_dual_mov_b32 v2, v0
	s_or_b32 s8, vcc_lo, s8
	s_delay_alu instid0(SALU_CYCLE_1)
	s_and_not1_b32 exec_lo, exec_lo, s8
	s_cbranch_execnz .LBB0_97
.LBB0_98:
	s_or_b32 exec_lo, exec_lo, s7
	v_mov_b32_e32 v3, 0
	s_mov_b32 s8, exec_lo
	s_mov_b32 s7, exec_lo
	v_mbcnt_lo_u32_b32 v2, s8, 0
	global_load_b64 v[0:1], v3, s[2:3] offset:16
	v_cmpx_eq_u32_e32 0, v2
	s_cbranch_execz .LBB0_100
; %bb.99:
	s_bcnt1_i32_b32 s8, s8
	s_delay_alu instid0(SALU_CYCLE_1)
	v_mov_b32_e32 v2, s8
	s_waitcnt vmcnt(0)
	global_atomic_add_u64 v[0:1], v[2:3], off offset:8
.LBB0_100:
	s_or_b32 exec_lo, exec_lo, s7
	s_waitcnt vmcnt(0)
	global_load_b64 v[2:3], v[0:1], off offset:16
	s_waitcnt vmcnt(0)
	v_cmp_eq_u64_e32 vcc_lo, 0, v[2:3]
	s_cbranch_vccnz .LBB0_102
; %bb.101:
	global_load_b32 v0, v[0:1], off offset:24
	s_waitcnt vmcnt(0)
	v_dual_mov_b32 v1, 0 :: v_dual_and_b32 v4, 0xffffff, v0
	s_waitcnt_vscnt null, 0x0
	global_store_b64 v[2:3], v[0:1], off
	v_readfirstlane_b32 m0, v4
	s_sendmsg sendmsg(MSG_INTERRUPT)
.LBB0_102:
	s_or_b32 exec_lo, exec_lo, s6
	s_branch .LBB0_106
	.p2align	6
.LBB0_103:                              ;   in Loop: Header=BB0_106 Depth=1
	s_or_b32 exec_lo, exec_lo, s6
	s_delay_alu instid0(VALU_DEP_1) | instskip(NEXT) | instid1(VALU_DEP_1)
	v_readfirstlane_b32 s6, v0
	s_cmp_eq_u32 s6, 0
	s_cbranch_scc1 .LBB0_105
; %bb.104:                              ;   in Loop: Header=BB0_106 Depth=1
	s_sleep 1
	s_cbranch_execnz .LBB0_106
	s_branch .LBB0_109
	.p2align	6
.LBB0_105:
	s_branch .LBB0_109
.LBB0_106:                              ; =>This Inner Loop Header: Depth=1
	v_mov_b32_e32 v0, 1
	s_and_saveexec_b32 s6, s0
	s_cbranch_execz .LBB0_103
; %bb.107:                              ;   in Loop: Header=BB0_106 Depth=1
	global_load_b32 v0, v[8:9], off offset:20 glc
	s_waitcnt vmcnt(0)
	buffer_gl1_inv
	buffer_gl0_inv
	v_and_b32_e32 v0, 1, v0
	s_branch .LBB0_103
.LBB0_108:
	s_or_b32 exec_lo, exec_lo, s1
	s_waitcnt vmcnt(0) lgkmcnt(0)
	s_setpc_b64 s[30:31]
.LBB0_109:
	s_and_saveexec_b32 s6, s0
	s_cbranch_execz .LBB0_113
; %bb.110:
	v_mov_b32_e32 v6, 0
	s_clause 0x2
	global_load_b64 v[2:3], v6, s[2:3] offset:40
	global_load_b64 v[7:8], v6, s[2:3] offset:24 glc
	global_load_b64 v[4:5], v6, s[2:3]
	s_waitcnt vmcnt(2)
	v_add_co_u32 v9, vcc_lo, v2, 1
	v_add_co_ci_u32_e32 v10, vcc_lo, 0, v3, vcc_lo
	s_delay_alu instid0(VALU_DEP_2) | instskip(NEXT) | instid1(VALU_DEP_2)
	v_add_co_u32 v0, vcc_lo, v9, s4
	v_add_co_ci_u32_e32 v1, vcc_lo, s5, v10, vcc_lo
	s_delay_alu instid0(VALU_DEP_1) | instskip(SKIP_1) | instid1(VALU_DEP_1)
	v_cmp_eq_u64_e32 vcc_lo, 0, v[0:1]
	v_dual_cndmask_b32 v1, v1, v10 :: v_dual_cndmask_b32 v0, v0, v9
	v_and_b32_e32 v3, v1, v3
	s_delay_alu instid0(VALU_DEP_2) | instskip(NEXT) | instid1(VALU_DEP_2)
	v_and_b32_e32 v2, v0, v2
	v_mul_lo_u32 v3, v3, 24
	s_delay_alu instid0(VALU_DEP_2) | instskip(SKIP_1) | instid1(VALU_DEP_2)
	v_mul_hi_u32 v9, v2, 24
	v_mul_lo_u32 v2, v2, 24
	v_add_nc_u32_e32 v3, v9, v3
	s_waitcnt vmcnt(0)
	s_delay_alu instid0(VALU_DEP_2) | instskip(SKIP_1) | instid1(VALU_DEP_3)
	v_add_co_u32 v4, vcc_lo, v4, v2
	v_mov_b32_e32 v2, v7
	v_add_co_ci_u32_e32 v5, vcc_lo, v5, v3, vcc_lo
	v_mov_b32_e32 v3, v8
	global_store_b64 v[4:5], v[7:8], off
	s_waitcnt_vscnt null, 0x0
	global_atomic_cmpswap_b64 v[2:3], v6, v[0:3], s[2:3] offset:24 glc
	s_waitcnt vmcnt(0)
	v_cmp_ne_u64_e32 vcc_lo, v[2:3], v[7:8]
	s_and_b32 exec_lo, exec_lo, vcc_lo
	s_cbranch_execz .LBB0_113
; %bb.111:
	s_mov_b32 s0, 0
.LBB0_112:                              ; =>This Inner Loop Header: Depth=1
	s_sleep 1
	global_store_b64 v[4:5], v[2:3], off
	s_waitcnt_vscnt null, 0x0
	global_atomic_cmpswap_b64 v[7:8], v6, v[0:3], s[2:3] offset:24 glc
	s_waitcnt vmcnt(0)
	v_cmp_eq_u64_e32 vcc_lo, v[7:8], v[2:3]
	v_dual_mov_b32 v2, v7 :: v_dual_mov_b32 v3, v8
	s_or_b32 s0, vcc_lo, s0
	s_delay_alu instid0(SALU_CYCLE_1)
	s_and_not1_b32 exec_lo, exec_lo, s0
	s_cbranch_execnz .LBB0_112
.LBB0_113:
	s_or_b32 exec_lo, exec_lo, s6
	s_delay_alu instid0(SALU_CYCLE_1)
	s_or_b32 exec_lo, exec_lo, s1
	s_waitcnt lgkmcnt(0)
	s_setpc_b64 s[30:31]
.Lfunc_end0:
	.size	__ockl_fprintf_append_string_n, .Lfunc_end0-__ockl_fprintf_append_string_n
                                        ; -- End function
	.section	.AMDGPU.csdata,"",@progbits
; Function info:
; codeLenInByte = 4740
; NumSgprs: 34
; NumVgprs: 36
; ScratchSize: 0
; MemoryBound: 0
	.text
	.p2align	2                               ; -- Begin function __assert_fail
	.type	__assert_fail,@function
__assert_fail:                          ; @__assert_fail
; %bb.0:
	s_waitcnt vmcnt(0) expcnt(0) lgkmcnt(0)
	s_mov_b32 s20, s33
	s_mov_b32 s33, s32
	s_or_saveexec_b32 s0, -1
	scratch_store_b32 off, v40, s33 offset:48 ; 4-byte Folded Spill
	s_mov_b32 exec_lo, s0
	v_writelane_b32 v40, s30, 0
	s_add_i32 s32, s32, 64
	v_writelane_b32 v40, s31, 1
	s_getpc_b64 s[0:1]
	s_add_u32 s0, s0, __const.__assert_fail.fmt@rel32@lo+4
	s_addc_u32 s1, s1, __const.__assert_fail.fmt@rel32@hi+12
	s_getpc_b64 s[2:3]
	s_add_u32 s2, s2, __const.__assert_fail.fmt@rel32@lo+20
	s_addc_u32 s3, s3, __const.__assert_fail.fmt@rel32@hi+28
	v_mbcnt_lo_u32_b32 v35, -1, 0
	s_clause 0x1
	s_load_b128 s[4:7], s[0:1], 0x0
	s_load_b128 s[12:15], s[2:3], 0x0
	s_load_b64 s[2:3], s[8:9], 0x50
	v_dual_mov_b32 v5, v1 :: v_dual_mov_b32 v4, v0
	v_mov_b32_e32 v14, 0x73256020
	v_readfirstlane_b32 s0, v35
	v_mov_b32_e32 v0, 0
	v_dual_mov_b32 v2, 0 :: v_dual_mov_b32 v3, 0xa2e
	v_mov_b32_e32 v15, 0x61662027
	v_dual_mov_b32 v16, 0x64656c69 :: v_dual_mov_b32 v1, 0
	v_cmp_eq_u32_e64 s0, s0, v35
	s_waitcnt lgkmcnt(0)
	v_dual_mov_b32 v9, s7 :: v_dual_mov_b32 v8, s6
	v_dual_mov_b32 v7, s5 :: v_dual_mov_b32 v6, s4
	;; [unrolled: 1-line block ×4, first 2 shown]
	s_clause 0x4
	scratch_store_b128 off, v[6:9], s33
	scratch_store_b128 off, v[10:13], s33 offset:16
	scratch_store_b8 off, v2, s33 offset:46
	scratch_store_b16 off, v3, s33 offset:44
	scratch_store_b96 off, v[14:16], s33 offset:32
	s_and_saveexec_b32 s1, s0
	s_cbranch_execz .LBB1_6
; %bb.1:
	global_load_b64 v[8:9], v2, s[2:3] offset:24 glc
	s_waitcnt vmcnt(0)
	buffer_gl1_inv
	buffer_gl0_inv
	s_clause 0x1
	global_load_b64 v[0:1], v2, s[2:3] offset:40
	global_load_b64 v[6:7], v2, s[2:3]
	s_mov_b32 s4, exec_lo
	s_waitcnt vmcnt(1)
	v_and_b32_e32 v1, v1, v9
	v_and_b32_e32 v0, v0, v8
	s_delay_alu instid0(VALU_DEP_2) | instskip(NEXT) | instid1(VALU_DEP_2)
	v_mul_lo_u32 v1, v1, 24
	v_mul_hi_u32 v3, v0, 24
	v_mul_lo_u32 v0, v0, 24
	s_delay_alu instid0(VALU_DEP_2) | instskip(SKIP_1) | instid1(VALU_DEP_2)
	v_add_nc_u32_e32 v1, v3, v1
	s_waitcnt vmcnt(0)
	v_add_co_u32 v0, vcc_lo, v6, v0
	s_delay_alu instid0(VALU_DEP_2)
	v_add_co_ci_u32_e32 v1, vcc_lo, v7, v1, vcc_lo
	global_load_b64 v[6:7], v[0:1], off glc
	s_waitcnt vmcnt(0)
	global_atomic_cmpswap_b64 v[0:1], v2, v[6:9], s[2:3] offset:24 glc
	s_waitcnt vmcnt(0)
	buffer_gl1_inv
	buffer_gl0_inv
	v_cmpx_ne_u64_e64 v[0:1], v[8:9]
	s_cbranch_execz .LBB1_5
; %bb.2:
	s_mov_b32 s5, 0
	.p2align	6
.LBB1_3:                                ; =>This Inner Loop Header: Depth=1
	s_sleep 1
	s_clause 0x1
	global_load_b64 v[6:7], v2, s[2:3] offset:40
	global_load_b64 v[10:11], v2, s[2:3]
	v_dual_mov_b32 v9, v1 :: v_dual_mov_b32 v8, v0
	s_waitcnt vmcnt(1)
	s_delay_alu instid0(VALU_DEP_1) | instskip(SKIP_1) | instid1(VALU_DEP_1)
	v_and_b32_e32 v3, v6, v8
	s_waitcnt vmcnt(0)
	v_mad_u64_u32 v[0:1], null, v3, 24, v[10:11]
	v_and_b32_e32 v3, v7, v9
	s_delay_alu instid0(VALU_DEP_1) | instskip(NEXT) | instid1(VALU_DEP_1)
	v_mad_u64_u32 v[6:7], null, v3, 24, v[1:2]
	v_mov_b32_e32 v1, v6
	global_load_b64 v[6:7], v[0:1], off glc
	s_waitcnt vmcnt(0)
	global_atomic_cmpswap_b64 v[0:1], v2, v[6:9], s[2:3] offset:24 glc
	s_waitcnt vmcnt(0)
	buffer_gl1_inv
	buffer_gl0_inv
	v_cmp_eq_u64_e32 vcc_lo, v[0:1], v[8:9]
	s_or_b32 s5, vcc_lo, s5
	s_delay_alu instid0(SALU_CYCLE_1)
	s_and_not1_b32 exec_lo, exec_lo, s5
	s_cbranch_execnz .LBB1_3
; %bb.4:
	s_or_b32 exec_lo, exec_lo, s5
.LBB1_5:
	s_delay_alu instid0(SALU_CYCLE_1)
	s_or_b32 exec_lo, exec_lo, s4
.LBB1_6:
	s_delay_alu instid0(SALU_CYCLE_1)
	s_or_b32 exec_lo, exec_lo, s1
	s_clause 0x1
	global_load_b64 v[10:11], v2, s[2:3] offset:40
	global_load_b128 v[6:9], v2, s[2:3]
	v_readfirstlane_b32 s4, v0
	v_readfirstlane_b32 s5, v1
	s_mov_b32 s1, exec_lo
	s_waitcnt vmcnt(1)
	v_readfirstlane_b32 s6, v10
	v_readfirstlane_b32 s7, v11
	s_delay_alu instid0(VALU_DEP_1) | instskip(NEXT) | instid1(SALU_CYCLE_1)
	s_and_b64 s[6:7], s[4:5], s[6:7]
	s_mul_i32 s10, s7, 24
	s_mul_hi_u32 s11, s6, 24
	s_mul_i32 s12, s6, 24
	s_add_i32 s11, s11, s10
	s_waitcnt vmcnt(0)
	v_add_co_u32 v10, vcc_lo, v6, s12
	v_add_co_ci_u32_e32 v11, vcc_lo, s11, v7, vcc_lo
	s_and_saveexec_b32 s10, s0
	s_cbranch_execz .LBB1_8
; %bb.7:
	v_dual_mov_b32 v0, s1 :: v_dual_mov_b32 v1, 0
	v_dual_mov_b32 v2, 2 :: v_dual_mov_b32 v3, 1
	global_store_b128 v[10:11], v[0:3], off offset:8
.LBB1_8:
	s_or_b32 exec_lo, exec_lo, s10
	s_lshl_b64 s[6:7], s[6:7], 12
	v_dual_mov_b32 v1, 0 :: v_dual_lshlrev_b32 v34, 6, v35
	v_add_co_u32 v8, vcc_lo, v8, s6
	v_add_co_ci_u32_e32 v9, vcc_lo, s7, v9, vcc_lo
	s_mov_b32 s12, 0
	s_delay_alu instid0(VALU_DEP_2)
	v_add_co_u32 v12, vcc_lo, v8, v34
	s_mov_b32 s15, s12
	s_mov_b32 s13, s12
	;; [unrolled: 1-line block ×3, first 2 shown]
	v_dual_mov_b32 v0, 33 :: v_dual_mov_b32 v3, v1
	v_dual_mov_b32 v2, 1 :: v_dual_mov_b32 v17, s15
	v_readfirstlane_b32 s6, v8
	v_readfirstlane_b32 s7, v9
	v_add_co_ci_u32_e32 v13, vcc_lo, 0, v9, vcc_lo
	v_dual_mov_b32 v16, s14 :: v_dual_mov_b32 v15, s13
	v_mov_b32_e32 v14, s12
	s_clause 0x3
	global_store_b128 v34, v[0:3], s[6:7]
	global_store_b128 v34, v[14:17], s[6:7] offset:16
	global_store_b128 v34, v[14:17], s[6:7] offset:32
	;; [unrolled: 1-line block ×3, first 2 shown]
	s_and_saveexec_b32 s1, s0
	s_cbranch_execz .LBB1_16
; %bb.9:
	s_clause 0x1
	global_load_b64 v[16:17], v1, s[2:3] offset:32 glc
	global_load_b64 v[2:3], v1, s[2:3] offset:40
	v_mov_b32_e32 v14, s4
	s_mov_b32 s6, exec_lo
	s_waitcnt vmcnt(0)
	v_dual_mov_b32 v15, s5 :: v_dual_and_b32 v0, s5, v3
	v_and_b32_e32 v2, s4, v2
	s_delay_alu instid0(VALU_DEP_2) | instskip(NEXT) | instid1(VALU_DEP_2)
	v_mul_lo_u32 v0, v0, 24
	v_mul_hi_u32 v3, v2, 24
	v_mul_lo_u32 v2, v2, 24
	s_delay_alu instid0(VALU_DEP_2) | instskip(NEXT) | instid1(VALU_DEP_2)
	v_add_nc_u32_e32 v0, v3, v0
	v_add_co_u32 v2, vcc_lo, v6, v2
	s_delay_alu instid0(VALU_DEP_2)
	v_add_co_ci_u32_e32 v3, vcc_lo, v7, v0, vcc_lo
	global_store_b64 v[2:3], v[16:17], off
	s_waitcnt_vscnt null, 0x0
	global_atomic_cmpswap_b64 v[8:9], v1, v[14:17], s[2:3] offset:32 glc
	s_waitcnt vmcnt(0)
	v_cmpx_ne_u64_e64 v[8:9], v[16:17]
	s_cbranch_execz .LBB1_12
; %bb.10:
	s_mov_b32 s7, 0
.LBB1_11:                               ; =>This Inner Loop Header: Depth=1
	v_dual_mov_b32 v6, s4 :: v_dual_mov_b32 v7, s5
	s_sleep 1
	global_store_b64 v[2:3], v[8:9], off
	s_waitcnt_vscnt null, 0x0
	global_atomic_cmpswap_b64 v[6:7], v1, v[6:9], s[2:3] offset:32 glc
	s_waitcnt vmcnt(0)
	v_cmp_eq_u64_e32 vcc_lo, v[6:7], v[8:9]
	v_dual_mov_b32 v9, v7 :: v_dual_mov_b32 v8, v6
	s_or_b32 s7, vcc_lo, s7
	s_delay_alu instid0(SALU_CYCLE_1)
	s_and_not1_b32 exec_lo, exec_lo, s7
	s_cbranch_execnz .LBB1_11
.LBB1_12:
	s_or_b32 exec_lo, exec_lo, s6
	v_mov_b32_e32 v3, 0
	s_mov_b32 s7, exec_lo
	s_mov_b32 s6, exec_lo
	v_mbcnt_lo_u32_b32 v2, s7, 0
	global_load_b64 v[0:1], v3, s[2:3] offset:16
	v_cmpx_eq_u32_e32 0, v2
	s_cbranch_execz .LBB1_14
; %bb.13:
	s_bcnt1_i32_b32 s7, s7
	s_delay_alu instid0(SALU_CYCLE_1)
	v_mov_b32_e32 v2, s7
	s_waitcnt vmcnt(0)
	global_atomic_add_u64 v[0:1], v[2:3], off offset:8
.LBB1_14:
	s_or_b32 exec_lo, exec_lo, s6
	s_waitcnt vmcnt(0)
	global_load_b64 v[2:3], v[0:1], off offset:16
	s_waitcnt vmcnt(0)
	v_cmp_eq_u64_e32 vcc_lo, 0, v[2:3]
	s_cbranch_vccnz .LBB1_16
; %bb.15:
	global_load_b32 v0, v[0:1], off offset:24
	s_waitcnt vmcnt(0)
	v_dual_mov_b32 v1, 0 :: v_dual_and_b32 v6, 0xffffff, v0
	s_waitcnt_vscnt null, 0x0
	global_store_b64 v[2:3], v[0:1], off
	v_readfirstlane_b32 m0, v6
	s_sendmsg sendmsg(MSG_INTERRUPT)
.LBB1_16:
	s_or_b32 exec_lo, exec_lo, s1
	s_branch .LBB1_20
	.p2align	6
.LBB1_17:                               ;   in Loop: Header=BB1_20 Depth=1
	s_or_b32 exec_lo, exec_lo, s1
	s_delay_alu instid0(VALU_DEP_1) | instskip(NEXT) | instid1(VALU_DEP_1)
	v_readfirstlane_b32 s1, v0
	s_cmp_eq_u32 s1, 0
	s_cbranch_scc1 .LBB1_19
; %bb.18:                               ;   in Loop: Header=BB1_20 Depth=1
	s_sleep 1
	s_cbranch_execnz .LBB1_20
	s_branch .LBB1_22
	.p2align	6
.LBB1_19:
	s_branch .LBB1_22
.LBB1_20:                               ; =>This Inner Loop Header: Depth=1
	v_mov_b32_e32 v0, 1
	s_and_saveexec_b32 s1, s0
	s_cbranch_execz .LBB1_17
; %bb.21:                               ;   in Loop: Header=BB1_20 Depth=1
	global_load_b32 v0, v[10:11], off offset:20 glc
	s_waitcnt vmcnt(0)
	buffer_gl1_inv
	buffer_gl0_inv
	v_and_b32_e32 v0, 1, v0
	s_branch .LBB1_17
.LBB1_22:
	global_load_b64 v[6:7], v[12:13], off
	s_and_saveexec_b32 s1, s0
	s_cbranch_execz .LBB1_26
; %bb.23:
	v_mov_b32_e32 v10, 0
	s_clause 0x2
	global_load_b64 v[2:3], v10, s[2:3] offset:40
	global_load_b64 v[11:12], v10, s[2:3] offset:24 glc
	global_load_b64 v[8:9], v10, s[2:3]
	s_waitcnt vmcnt(2)
	v_add_co_u32 v13, vcc_lo, v2, 1
	v_add_co_ci_u32_e32 v14, vcc_lo, 0, v3, vcc_lo
	s_delay_alu instid0(VALU_DEP_2) | instskip(NEXT) | instid1(VALU_DEP_2)
	v_add_co_u32 v0, vcc_lo, v13, s4
	v_add_co_ci_u32_e32 v1, vcc_lo, s5, v14, vcc_lo
	s_delay_alu instid0(VALU_DEP_1) | instskip(SKIP_1) | instid1(VALU_DEP_1)
	v_cmp_eq_u64_e32 vcc_lo, 0, v[0:1]
	v_dual_cndmask_b32 v1, v1, v14 :: v_dual_cndmask_b32 v0, v0, v13
	v_and_b32_e32 v3, v1, v3
	s_delay_alu instid0(VALU_DEP_2) | instskip(NEXT) | instid1(VALU_DEP_2)
	v_and_b32_e32 v2, v0, v2
	v_mul_lo_u32 v3, v3, 24
	s_delay_alu instid0(VALU_DEP_2) | instskip(SKIP_1) | instid1(VALU_DEP_2)
	v_mul_hi_u32 v13, v2, 24
	v_mul_lo_u32 v2, v2, 24
	v_add_nc_u32_e32 v3, v13, v3
	s_waitcnt vmcnt(0)
	s_delay_alu instid0(VALU_DEP_2) | instskip(SKIP_1) | instid1(VALU_DEP_3)
	v_add_co_u32 v8, vcc_lo, v8, v2
	v_mov_b32_e32 v2, v11
	v_add_co_ci_u32_e32 v9, vcc_lo, v9, v3, vcc_lo
	v_mov_b32_e32 v3, v12
	global_store_b64 v[8:9], v[11:12], off
	s_waitcnt_vscnt null, 0x0
	global_atomic_cmpswap_b64 v[2:3], v10, v[0:3], s[2:3] offset:24 glc
	s_waitcnt vmcnt(0)
	v_cmp_ne_u64_e32 vcc_lo, v[2:3], v[11:12]
	s_and_b32 exec_lo, exec_lo, vcc_lo
	s_cbranch_execz .LBB1_26
; %bb.24:
	s_mov_b32 s0, 0
.LBB1_25:                               ; =>This Inner Loop Header: Depth=1
	s_sleep 1
	global_store_b64 v[8:9], v[2:3], off
	s_waitcnt_vscnt null, 0x0
	global_atomic_cmpswap_b64 v[11:12], v10, v[0:3], s[2:3] offset:24 glc
	s_waitcnt vmcnt(0)
	v_cmp_eq_u64_e32 vcc_lo, v[11:12], v[2:3]
	v_dual_mov_b32 v2, v11 :: v_dual_mov_b32 v3, v12
	s_or_b32 s0, vcc_lo, s0
	s_delay_alu instid0(SALU_CYCLE_1)
	s_and_not1_b32 exec_lo, exec_lo, s0
	s_cbranch_execnz .LBB1_25
.LBB1_26:
	s_or_b32 exec_lo, exec_lo, s1
	v_mov_b32_e32 v1, s33
	s_mov_b32 s0, 0
.LBB1_27:                               ; =>This Inner Loop Header: Depth=1
	scratch_load_u8 v2, v1, off
	v_add_nc_u32_e32 v0, 1, v1
	s_delay_alu instid0(VALU_DEP_1) | instskip(SKIP_3) | instid1(SALU_CYCLE_1)
	v_mov_b32_e32 v1, v0
	s_waitcnt vmcnt(0)
	v_cmp_eq_u16_e32 vcc_lo, 0, v2
	s_or_b32 s0, vcc_lo, s0
	s_and_not1_b32 exec_lo, exec_lo, s0
	s_cbranch_execnz .LBB1_27
; %bb.28:
	s_or_b32 exec_lo, exec_lo, s0
	v_cmp_ne_u32_e64 s0, -1, s33
	s_delay_alu instid0(VALU_DEP_1)
	s_and_b32 vcc_lo, exec_lo, s0
	s_cbranch_vccz .LBB1_113
; %bb.29:
	v_subrev_nc_u32_e32 v28, s33, v0
	v_dual_mov_b32 v9, 0 :: v_dual_and_b32 v36, 2, v6
	v_dual_mov_b32 v1, v7 :: v_dual_and_b32 v0, -3, v6
	s_delay_alu instid0(VALU_DEP_3)
	v_ashrrev_i32_e32 v29, 31, v28
	v_dual_mov_b32 v37, s33 :: v_dual_mov_b32 v10, 2
	v_mov_b32_e32 v11, 1
	s_mov_b32 s11, 0
	s_mov_b32 s10, 0
	s_branch .LBB1_31
.LBB1_30:                               ;   in Loop: Header=BB1_31 Depth=1
	s_or_b32 exec_lo, exec_lo, s1
	v_sub_co_u32 v28, vcc_lo, v28, v30
	v_sub_co_ci_u32_e32 v29, vcc_lo, v29, v31, vcc_lo
	v_add_nc_u32_e32 v37, v37, v30
	s_delay_alu instid0(VALU_DEP_2) | instskip(SKIP_1) | instid1(SALU_CYCLE_1)
	v_cmp_eq_u64_e32 vcc_lo, 0, v[28:29]
	s_or_b32 s10, vcc_lo, s10
	s_and_not1_b32 exec_lo, exec_lo, s10
	s_cbranch_execz .LBB1_114
.LBB1_31:                               ; =>This Loop Header: Depth=1
                                        ;     Child Loop BB1_34 Depth 2
                                        ;     Child Loop BB1_42 Depth 2
	;; [unrolled: 1-line block ×11, first 2 shown]
	v_cmp_gt_u64_e32 vcc_lo, 56, v[28:29]
	s_mov_b32 s4, exec_lo
                                        ; implicit-def: $vgpr2_vgpr3
                                        ; implicit-def: $sgpr1
	v_dual_cndmask_b32 v31, 0, v29 :: v_dual_cndmask_b32 v30, 56, v28
	v_cmpx_gt_u64_e32 8, v[28:29]
	s_xor_b32 s4, exec_lo, s4
	s_cbranch_execz .LBB1_37
; %bb.32:                               ;   in Loop: Header=BB1_31 Depth=1
	s_waitcnt vmcnt(0)
	v_mov_b32_e32 v2, 0
	v_mov_b32_e32 v3, 0
	s_mov_b64 s[0:1], 0
	s_mov_b32 s5, exec_lo
	v_cmpx_ne_u64_e32 0, v[28:29]
	s_cbranch_execz .LBB1_36
; %bb.33:                               ;   in Loop: Header=BB1_31 Depth=1
	v_lshlrev_b64 v[12:13], 3, v[30:31]
	v_mov_b32_e32 v2, 0
	v_dual_mov_b32 v3, 0 :: v_dual_mov_b32 v8, v37
	s_mov_b32 s6, 0
.LBB1_34:                               ;   Parent Loop BB1_31 Depth=1
                                        ; =>  This Inner Loop Header: Depth=2
	scratch_load_u8 v13, v8, off
	v_mov_b32_e32 v14, s11
	v_add_nc_u32_e32 v8, 1, v8
	s_waitcnt vmcnt(0)
	v_and_b32_e32 v13, 0xffff, v13
	s_delay_alu instid0(VALU_DEP_1) | instskip(SKIP_3) | instid1(VALU_DEP_2)
	v_lshlrev_b64 v[13:14], s0, v[13:14]
	s_add_u32 s0, s0, 8
	s_addc_u32 s1, s1, 0
	v_cmp_eq_u32_e32 vcc_lo, s0, v12
	v_or_b32_e32 v3, v14, v3
	s_delay_alu instid0(VALU_DEP_3) | instskip(SKIP_1) | instid1(SALU_CYCLE_1)
	v_or_b32_e32 v2, v13, v2
	s_or_b32 s6, vcc_lo, s6
	s_and_not1_b32 exec_lo, exec_lo, s6
	s_cbranch_execnz .LBB1_34
; %bb.35:                               ;   in Loop: Header=BB1_31 Depth=1
	s_or_b32 exec_lo, exec_lo, s6
.LBB1_36:                               ;   in Loop: Header=BB1_31 Depth=1
	s_delay_alu instid0(SALU_CYCLE_1)
	s_or_b32 exec_lo, exec_lo, s5
	s_mov_b32 s1, 0
.LBB1_37:                               ;   in Loop: Header=BB1_31 Depth=1
	s_or_saveexec_b32 s0, s4
	v_mov_b32_e32 v14, s1
	v_mov_b32_e32 v8, v37
	s_xor_b32 exec_lo, exec_lo, s0
	s_cbranch_execz .LBB1_39
; %bb.38:                               ;   in Loop: Header=BB1_31 Depth=1
	scratch_load_b64 v[2:3], v37, off
	v_add_nc_u32_e32 v14, -8, v30
	s_waitcnt vmcnt(0)
	v_and_b32_e32 v8, 0xff, v3
	v_and_b32_e32 v12, 0xff00, v3
	;; [unrolled: 1-line block ×4, first 2 shown]
	v_or3_b32 v2, v2, 0, 0
	s_delay_alu instid0(VALU_DEP_4) | instskip(NEXT) | instid1(VALU_DEP_1)
	v_or_b32_e32 v8, v8, v12
	v_or3_b32 v3, v8, v13, v3
	v_add_nc_u32_e32 v8, 8, v37
.LBB1_39:                               ;   in Loop: Header=BB1_31 Depth=1
	s_or_b32 exec_lo, exec_lo, s0
                                        ; implicit-def: $vgpr12_vgpr13
                                        ; implicit-def: $sgpr1
	s_delay_alu instid0(SALU_CYCLE_1)
	s_mov_b32 s0, exec_lo
	v_cmpx_gt_u32_e32 8, v14
	s_xor_b32 s4, exec_lo, s0
	s_cbranch_execz .LBB1_45
; %bb.40:                               ;   in Loop: Header=BB1_31 Depth=1
	v_mov_b32_e32 v12, 0
	v_mov_b32_e32 v13, 0
	s_mov_b32 s5, exec_lo
	v_cmpx_ne_u32_e32 0, v14
	s_cbranch_execz .LBB1_44
; %bb.41:                               ;   in Loop: Header=BB1_31 Depth=1
	v_mov_b32_e32 v12, 0
	v_mov_b32_e32 v13, 0
	s_mov_b64 s[0:1], 0
	s_mov_b32 s6, 0
	s_mov_b32 s7, 0
	.p2align	6
.LBB1_42:                               ;   Parent Loop BB1_31 Depth=1
                                        ; =>  This Inner Loop Header: Depth=2
	s_delay_alu instid0(SALU_CYCLE_1) | instskip(SKIP_1) | instid1(SALU_CYCLE_1)
	v_dual_mov_b32 v16, s11 :: v_dual_add_nc_u32 v15, s7, v8
	s_add_i32 s7, s7, 1
	v_cmp_eq_u32_e32 vcc_lo, s7, v14
	scratch_load_u8 v15, v15, off
	s_waitcnt vmcnt(0)
	v_and_b32_e32 v15, 0xffff, v15
	s_delay_alu instid0(VALU_DEP_1) | instskip(SKIP_3) | instid1(VALU_DEP_1)
	v_lshlrev_b64 v[15:16], s0, v[15:16]
	s_add_u32 s0, s0, 8
	s_addc_u32 s1, s1, 0
	s_or_b32 s6, vcc_lo, s6
	v_or_b32_e32 v13, v16, v13
	s_delay_alu instid0(VALU_DEP_2)
	v_or_b32_e32 v12, v15, v12
	s_and_not1_b32 exec_lo, exec_lo, s6
	s_cbranch_execnz .LBB1_42
; %bb.43:                               ;   in Loop: Header=BB1_31 Depth=1
	s_or_b32 exec_lo, exec_lo, s6
.LBB1_44:                               ;   in Loop: Header=BB1_31 Depth=1
	s_delay_alu instid0(SALU_CYCLE_1)
	s_or_b32 exec_lo, exec_lo, s5
	s_mov_b32 s1, 0
                                        ; implicit-def: $vgpr14
.LBB1_45:                               ;   in Loop: Header=BB1_31 Depth=1
	s_or_saveexec_b32 s0, s4
	v_mov_b32_e32 v16, s1
	s_xor_b32 exec_lo, exec_lo, s0
	s_cbranch_execz .LBB1_47
; %bb.46:                               ;   in Loop: Header=BB1_31 Depth=1
	scratch_load_b64 v[12:13], v8, off
	v_add_nc_u32_e32 v8, 8, v8
	s_waitcnt vmcnt(0)
	v_and_b32_e32 v15, 0xff, v13
	v_and_b32_e32 v16, 0xff00, v13
	;; [unrolled: 1-line block ×4, first 2 shown]
	v_or3_b32 v12, v12, 0, 0
	s_delay_alu instid0(VALU_DEP_4) | instskip(SKIP_1) | instid1(VALU_DEP_2)
	v_or_b32_e32 v15, v15, v16
	v_add_nc_u32_e32 v16, -8, v14
	v_or3_b32 v13, v15, v17, v13
.LBB1_47:                               ;   in Loop: Header=BB1_31 Depth=1
	s_or_b32 exec_lo, exec_lo, s0
                                        ; implicit-def: $sgpr1
	s_delay_alu instid0(SALU_CYCLE_1) | instskip(NEXT) | instid1(VALU_DEP_1)
	s_mov_b32 s0, exec_lo
	v_cmpx_gt_u32_e32 8, v16
	s_xor_b32 s4, exec_lo, s0
	s_cbranch_execz .LBB1_53
; %bb.48:                               ;   in Loop: Header=BB1_31 Depth=1
	v_mov_b32_e32 v14, 0
	v_mov_b32_e32 v15, 0
	s_mov_b32 s5, exec_lo
	v_cmpx_ne_u32_e32 0, v16
	s_cbranch_execz .LBB1_52
; %bb.49:                               ;   in Loop: Header=BB1_31 Depth=1
	v_mov_b32_e32 v14, 0
	v_mov_b32_e32 v15, 0
	s_mov_b64 s[0:1], 0
	s_mov_b32 s6, 0
	s_mov_b32 s7, 0
	.p2align	6
.LBB1_50:                               ;   Parent Loop BB1_31 Depth=1
                                        ; =>  This Inner Loop Header: Depth=2
	s_delay_alu instid0(SALU_CYCLE_1) | instskip(SKIP_1) | instid1(SALU_CYCLE_1)
	v_dual_mov_b32 v18, s11 :: v_dual_add_nc_u32 v17, s7, v8
	s_add_i32 s7, s7, 1
	v_cmp_eq_u32_e32 vcc_lo, s7, v16
	scratch_load_u8 v17, v17, off
	s_waitcnt vmcnt(0)
	v_and_b32_e32 v17, 0xffff, v17
	s_delay_alu instid0(VALU_DEP_1) | instskip(SKIP_3) | instid1(VALU_DEP_1)
	v_lshlrev_b64 v[17:18], s0, v[17:18]
	s_add_u32 s0, s0, 8
	s_addc_u32 s1, s1, 0
	s_or_b32 s6, vcc_lo, s6
	v_or_b32_e32 v15, v18, v15
	s_delay_alu instid0(VALU_DEP_2)
	v_or_b32_e32 v14, v17, v14
	s_and_not1_b32 exec_lo, exec_lo, s6
	s_cbranch_execnz .LBB1_50
; %bb.51:                               ;   in Loop: Header=BB1_31 Depth=1
	s_or_b32 exec_lo, exec_lo, s6
.LBB1_52:                               ;   in Loop: Header=BB1_31 Depth=1
	s_delay_alu instid0(SALU_CYCLE_1)
	s_or_b32 exec_lo, exec_lo, s5
	s_mov_b32 s1, 0
                                        ; implicit-def: $vgpr16
.LBB1_53:                               ;   in Loop: Header=BB1_31 Depth=1
	s_or_saveexec_b32 s0, s4
	v_mov_b32_e32 v18, s1
	s_xor_b32 exec_lo, exec_lo, s0
	s_cbranch_execz .LBB1_55
; %bb.54:                               ;   in Loop: Header=BB1_31 Depth=1
	scratch_load_b64 v[14:15], v8, off
	v_add_nc_u32_e32 v8, 8, v8
	s_waitcnt vmcnt(0)
	v_and_b32_e32 v17, 0xff, v15
	v_and_b32_e32 v18, 0xff00, v15
	;; [unrolled: 1-line block ×4, first 2 shown]
	v_or3_b32 v14, v14, 0, 0
	s_delay_alu instid0(VALU_DEP_4) | instskip(SKIP_1) | instid1(VALU_DEP_2)
	v_or_b32_e32 v17, v17, v18
	v_add_nc_u32_e32 v18, -8, v16
	v_or3_b32 v15, v17, v19, v15
.LBB1_55:                               ;   in Loop: Header=BB1_31 Depth=1
	s_or_b32 exec_lo, exec_lo, s0
                                        ; implicit-def: $vgpr16_vgpr17
                                        ; implicit-def: $sgpr1
	s_delay_alu instid0(SALU_CYCLE_1) | instskip(NEXT) | instid1(VALU_DEP_1)
	s_mov_b32 s0, exec_lo
	v_cmpx_gt_u32_e32 8, v18
	s_xor_b32 s4, exec_lo, s0
	s_cbranch_execz .LBB1_61
; %bb.56:                               ;   in Loop: Header=BB1_31 Depth=1
	v_mov_b32_e32 v16, 0
	v_mov_b32_e32 v17, 0
	s_mov_b32 s5, exec_lo
	v_cmpx_ne_u32_e32 0, v18
	s_cbranch_execz .LBB1_60
; %bb.57:                               ;   in Loop: Header=BB1_31 Depth=1
	v_mov_b32_e32 v16, 0
	v_mov_b32_e32 v17, 0
	s_mov_b64 s[0:1], 0
	s_mov_b32 s6, 0
	s_mov_b32 s7, 0
	.p2align	6
.LBB1_58:                               ;   Parent Loop BB1_31 Depth=1
                                        ; =>  This Inner Loop Header: Depth=2
	s_delay_alu instid0(SALU_CYCLE_1) | instskip(SKIP_1) | instid1(SALU_CYCLE_1)
	v_dual_mov_b32 v20, s11 :: v_dual_add_nc_u32 v19, s7, v8
	s_add_i32 s7, s7, 1
	v_cmp_eq_u32_e32 vcc_lo, s7, v18
	scratch_load_u8 v19, v19, off
	s_waitcnt vmcnt(0)
	v_and_b32_e32 v19, 0xffff, v19
	s_delay_alu instid0(VALU_DEP_1) | instskip(SKIP_3) | instid1(VALU_DEP_1)
	v_lshlrev_b64 v[19:20], s0, v[19:20]
	s_add_u32 s0, s0, 8
	s_addc_u32 s1, s1, 0
	s_or_b32 s6, vcc_lo, s6
	v_or_b32_e32 v17, v20, v17
	s_delay_alu instid0(VALU_DEP_2)
	v_or_b32_e32 v16, v19, v16
	s_and_not1_b32 exec_lo, exec_lo, s6
	s_cbranch_execnz .LBB1_58
; %bb.59:                               ;   in Loop: Header=BB1_31 Depth=1
	s_or_b32 exec_lo, exec_lo, s6
.LBB1_60:                               ;   in Loop: Header=BB1_31 Depth=1
	s_delay_alu instid0(SALU_CYCLE_1)
	s_or_b32 exec_lo, exec_lo, s5
	s_mov_b32 s1, 0
                                        ; implicit-def: $vgpr18
.LBB1_61:                               ;   in Loop: Header=BB1_31 Depth=1
	s_or_saveexec_b32 s0, s4
	v_mov_b32_e32 v20, s1
	s_xor_b32 exec_lo, exec_lo, s0
	s_cbranch_execz .LBB1_63
; %bb.62:                               ;   in Loop: Header=BB1_31 Depth=1
	scratch_load_b64 v[16:17], v8, off
	v_add_nc_u32_e32 v8, 8, v8
	s_waitcnt vmcnt(0)
	v_and_b32_e32 v19, 0xff, v17
	v_and_b32_e32 v20, 0xff00, v17
	v_and_b32_e32 v21, 0xff0000, v17
	v_and_b32_e32 v17, 0xff000000, v17
	v_or3_b32 v16, v16, 0, 0
	s_delay_alu instid0(VALU_DEP_4) | instskip(SKIP_1) | instid1(VALU_DEP_2)
	v_or_b32_e32 v19, v19, v20
	v_add_nc_u32_e32 v20, -8, v18
	v_or3_b32 v17, v19, v21, v17
.LBB1_63:                               ;   in Loop: Header=BB1_31 Depth=1
	s_or_b32 exec_lo, exec_lo, s0
                                        ; implicit-def: $sgpr1
	s_delay_alu instid0(SALU_CYCLE_1) | instskip(NEXT) | instid1(VALU_DEP_1)
	s_mov_b32 s0, exec_lo
	v_cmpx_gt_u32_e32 8, v20
	s_xor_b32 s4, exec_lo, s0
	s_cbranch_execz .LBB1_69
; %bb.64:                               ;   in Loop: Header=BB1_31 Depth=1
	v_mov_b32_e32 v18, 0
	v_mov_b32_e32 v19, 0
	s_mov_b32 s5, exec_lo
	v_cmpx_ne_u32_e32 0, v20
	s_cbranch_execz .LBB1_68
; %bb.65:                               ;   in Loop: Header=BB1_31 Depth=1
	v_mov_b32_e32 v18, 0
	v_mov_b32_e32 v19, 0
	s_mov_b64 s[0:1], 0
	s_mov_b32 s6, 0
	s_mov_b32 s7, 0
	.p2align	6
.LBB1_66:                               ;   Parent Loop BB1_31 Depth=1
                                        ; =>  This Inner Loop Header: Depth=2
	s_delay_alu instid0(SALU_CYCLE_1) | instskip(SKIP_1) | instid1(SALU_CYCLE_1)
	v_dual_mov_b32 v22, s11 :: v_dual_add_nc_u32 v21, s7, v8
	s_add_i32 s7, s7, 1
	v_cmp_eq_u32_e32 vcc_lo, s7, v20
	scratch_load_u8 v21, v21, off
	s_waitcnt vmcnt(0)
	v_and_b32_e32 v21, 0xffff, v21
	s_delay_alu instid0(VALU_DEP_1) | instskip(SKIP_3) | instid1(VALU_DEP_1)
	v_lshlrev_b64 v[21:22], s0, v[21:22]
	s_add_u32 s0, s0, 8
	s_addc_u32 s1, s1, 0
	s_or_b32 s6, vcc_lo, s6
	v_or_b32_e32 v19, v22, v19
	s_delay_alu instid0(VALU_DEP_2)
	v_or_b32_e32 v18, v21, v18
	s_and_not1_b32 exec_lo, exec_lo, s6
	s_cbranch_execnz .LBB1_66
; %bb.67:                               ;   in Loop: Header=BB1_31 Depth=1
	s_or_b32 exec_lo, exec_lo, s6
.LBB1_68:                               ;   in Loop: Header=BB1_31 Depth=1
	s_delay_alu instid0(SALU_CYCLE_1)
	s_or_b32 exec_lo, exec_lo, s5
	s_mov_b32 s1, 0
                                        ; implicit-def: $vgpr20
.LBB1_69:                               ;   in Loop: Header=BB1_31 Depth=1
	s_or_saveexec_b32 s0, s4
	v_mov_b32_e32 v22, s1
	s_xor_b32 exec_lo, exec_lo, s0
	s_cbranch_execz .LBB1_71
; %bb.70:                               ;   in Loop: Header=BB1_31 Depth=1
	scratch_load_b64 v[18:19], v8, off
	v_add_nc_u32_e32 v8, 8, v8
	s_waitcnt vmcnt(0)
	v_and_b32_e32 v21, 0xff, v19
	v_and_b32_e32 v22, 0xff00, v19
	v_and_b32_e32 v23, 0xff0000, v19
	v_and_b32_e32 v19, 0xff000000, v19
	v_or3_b32 v18, v18, 0, 0
	s_delay_alu instid0(VALU_DEP_4) | instskip(SKIP_1) | instid1(VALU_DEP_2)
	v_or_b32_e32 v21, v21, v22
	v_add_nc_u32_e32 v22, -8, v20
	v_or3_b32 v19, v21, v23, v19
.LBB1_71:                               ;   in Loop: Header=BB1_31 Depth=1
	s_or_b32 exec_lo, exec_lo, s0
                                        ; implicit-def: $vgpr20_vgpr21
                                        ; implicit-def: $sgpr1
	s_delay_alu instid0(SALU_CYCLE_1) | instskip(NEXT) | instid1(VALU_DEP_1)
	s_mov_b32 s0, exec_lo
	v_cmpx_gt_u32_e32 8, v22
	s_xor_b32 s4, exec_lo, s0
	s_cbranch_execz .LBB1_77
; %bb.72:                               ;   in Loop: Header=BB1_31 Depth=1
	v_mov_b32_e32 v20, 0
	v_mov_b32_e32 v21, 0
	s_mov_b32 s5, exec_lo
	v_cmpx_ne_u32_e32 0, v22
	s_cbranch_execz .LBB1_76
; %bb.73:                               ;   in Loop: Header=BB1_31 Depth=1
	v_mov_b32_e32 v20, 0
	v_mov_b32_e32 v21, 0
	s_mov_b64 s[0:1], 0
	s_mov_b32 s6, 0
	s_mov_b32 s7, 0
	.p2align	6
.LBB1_74:                               ;   Parent Loop BB1_31 Depth=1
                                        ; =>  This Inner Loop Header: Depth=2
	s_delay_alu instid0(SALU_CYCLE_1) | instskip(SKIP_1) | instid1(SALU_CYCLE_1)
	v_dual_mov_b32 v24, s11 :: v_dual_add_nc_u32 v23, s7, v8
	s_add_i32 s7, s7, 1
	v_cmp_eq_u32_e32 vcc_lo, s7, v22
	scratch_load_u8 v23, v23, off
	s_waitcnt vmcnt(0)
	v_and_b32_e32 v23, 0xffff, v23
	s_delay_alu instid0(VALU_DEP_1) | instskip(SKIP_3) | instid1(VALU_DEP_1)
	v_lshlrev_b64 v[23:24], s0, v[23:24]
	s_add_u32 s0, s0, 8
	s_addc_u32 s1, s1, 0
	s_or_b32 s6, vcc_lo, s6
	v_or_b32_e32 v21, v24, v21
	s_delay_alu instid0(VALU_DEP_2)
	v_or_b32_e32 v20, v23, v20
	s_and_not1_b32 exec_lo, exec_lo, s6
	s_cbranch_execnz .LBB1_74
; %bb.75:                               ;   in Loop: Header=BB1_31 Depth=1
	s_or_b32 exec_lo, exec_lo, s6
.LBB1_76:                               ;   in Loop: Header=BB1_31 Depth=1
	s_delay_alu instid0(SALU_CYCLE_1)
	s_or_b32 exec_lo, exec_lo, s5
	s_mov_b32 s1, 0
                                        ; implicit-def: $vgpr22
.LBB1_77:                               ;   in Loop: Header=BB1_31 Depth=1
	s_or_saveexec_b32 s0, s4
	v_mov_b32_e32 v24, s1
	s_xor_b32 exec_lo, exec_lo, s0
	s_cbranch_execz .LBB1_79
; %bb.78:                               ;   in Loop: Header=BB1_31 Depth=1
	scratch_load_b64 v[20:21], v8, off
	v_add_nc_u32_e32 v8, 8, v8
	s_waitcnt vmcnt(0)
	v_and_b32_e32 v23, 0xff, v21
	v_and_b32_e32 v24, 0xff00, v21
	;; [unrolled: 1-line block ×4, first 2 shown]
	v_or3_b32 v20, v20, 0, 0
	s_delay_alu instid0(VALU_DEP_4) | instskip(SKIP_1) | instid1(VALU_DEP_2)
	v_or_b32_e32 v23, v23, v24
	v_add_nc_u32_e32 v24, -8, v22
	v_or3_b32 v21, v23, v25, v21
.LBB1_79:                               ;   in Loop: Header=BB1_31 Depth=1
	s_or_b32 exec_lo, exec_lo, s0
	s_delay_alu instid0(SALU_CYCLE_1) | instskip(NEXT) | instid1(VALU_DEP_1)
	s_mov_b32 s0, exec_lo
	v_cmpx_gt_u32_e32 8, v24
	s_xor_b32 s4, exec_lo, s0
	s_cbranch_execz .LBB1_85
; %bb.80:                               ;   in Loop: Header=BB1_31 Depth=1
	v_mov_b32_e32 v22, 0
	v_mov_b32_e32 v23, 0
	s_mov_b32 s5, exec_lo
	v_cmpx_ne_u32_e32 0, v24
	s_cbranch_execz .LBB1_84
; %bb.81:                               ;   in Loop: Header=BB1_31 Depth=1
	v_mov_b32_e32 v22, 0
	v_mov_b32_e32 v23, 0
	s_mov_b64 s[0:1], 0
	s_mov_b32 s6, 0
	.p2align	6
.LBB1_82:                               ;   Parent Loop BB1_31 Depth=1
                                        ; =>  This Inner Loop Header: Depth=2
	scratch_load_u8 v25, v8, off
	v_mov_b32_e32 v26, s11
	v_add_nc_u32_e32 v24, -1, v24
	v_add_nc_u32_e32 v8, 1, v8
	s_delay_alu instid0(VALU_DEP_2) | instskip(SKIP_2) | instid1(VALU_DEP_1)
	v_cmp_eq_u32_e32 vcc_lo, 0, v24
	s_waitcnt vmcnt(0)
	v_and_b32_e32 v25, 0xffff, v25
	v_lshlrev_b64 v[25:26], s0, v[25:26]
	s_add_u32 s0, s0, 8
	s_addc_u32 s1, s1, 0
	s_or_b32 s6, vcc_lo, s6
	s_delay_alu instid0(VALU_DEP_1) | instskip(NEXT) | instid1(VALU_DEP_2)
	v_or_b32_e32 v23, v26, v23
	v_or_b32_e32 v22, v25, v22
	s_and_not1_b32 exec_lo, exec_lo, s6
	s_cbranch_execnz .LBB1_82
; %bb.83:                               ;   in Loop: Header=BB1_31 Depth=1
	s_or_b32 exec_lo, exec_lo, s6
.LBB1_84:                               ;   in Loop: Header=BB1_31 Depth=1
	s_delay_alu instid0(SALU_CYCLE_1)
	s_or_b32 exec_lo, exec_lo, s5
                                        ; implicit-def: $vgpr8
.LBB1_85:                               ;   in Loop: Header=BB1_31 Depth=1
	s_and_not1_saveexec_b32 s0, s4
	s_cbranch_execz .LBB1_87
; %bb.86:                               ;   in Loop: Header=BB1_31 Depth=1
	scratch_load_b64 v[22:23], v8, off
	s_waitcnt vmcnt(0)
	v_and_b32_e32 v8, 0xff, v23
	v_and_b32_e32 v24, 0xff00, v23
	v_and_b32_e32 v25, 0xff0000, v23
	v_and_b32_e32 v23, 0xff000000, v23
	v_or3_b32 v22, v22, 0, 0
	s_delay_alu instid0(VALU_DEP_4) | instskip(NEXT) | instid1(VALU_DEP_1)
	v_or_b32_e32 v8, v8, v24
	v_or3_b32 v23, v8, v25, v23
.LBB1_87:                               ;   in Loop: Header=BB1_31 Depth=1
	s_or_b32 exec_lo, exec_lo, s0
	v_readfirstlane_b32 s0, v35
	v_mov_b32_e32 v32, 0
	v_mov_b32_e32 v33, 0
	s_delay_alu instid0(VALU_DEP_3) | instskip(NEXT) | instid1(VALU_DEP_1)
	v_cmp_eq_u32_e64 s0, s0, v35
	s_and_saveexec_b32 s1, s0
	s_cbranch_execz .LBB1_93
; %bb.88:                               ;   in Loop: Header=BB1_31 Depth=1
	global_load_b64 v[26:27], v9, s[2:3] offset:24 glc
	s_waitcnt vmcnt(0)
	buffer_gl1_inv
	buffer_gl0_inv
	s_clause 0x1
	global_load_b64 v[24:25], v9, s[2:3] offset:40
	global_load_b64 v[32:33], v9, s[2:3]
	s_mov_b32 s4, exec_lo
	s_waitcnt vmcnt(1)
	v_and_b32_e32 v8, v25, v27
	v_and_b32_e32 v24, v24, v26
	s_delay_alu instid0(VALU_DEP_2) | instskip(NEXT) | instid1(VALU_DEP_2)
	v_mul_lo_u32 v8, v8, 24
	v_mul_hi_u32 v25, v24, 24
	v_mul_lo_u32 v24, v24, 24
	s_delay_alu instid0(VALU_DEP_2) | instskip(SKIP_1) | instid1(VALU_DEP_2)
	v_add_nc_u32_e32 v8, v25, v8
	s_waitcnt vmcnt(0)
	v_add_co_u32 v24, vcc_lo, v32, v24
	s_delay_alu instid0(VALU_DEP_2)
	v_add_co_ci_u32_e32 v25, vcc_lo, v33, v8, vcc_lo
	global_load_b64 v[24:25], v[24:25], off glc
	s_waitcnt vmcnt(0)
	global_atomic_cmpswap_b64 v[32:33], v9, v[24:27], s[2:3] offset:24 glc
	s_waitcnt vmcnt(0)
	buffer_gl1_inv
	buffer_gl0_inv
	v_cmpx_ne_u64_e64 v[32:33], v[26:27]
	s_cbranch_execz .LBB1_92
; %bb.89:                               ;   in Loop: Header=BB1_31 Depth=1
	s_mov_b32 s5, 0
	.p2align	6
.LBB1_90:                               ;   Parent Loop BB1_31 Depth=1
                                        ; =>  This Inner Loop Header: Depth=2
	s_sleep 1
	s_clause 0x1
	global_load_b64 v[24:25], v9, s[2:3] offset:40
	global_load_b64 v[38:39], v9, s[2:3]
	v_dual_mov_b32 v26, v32 :: v_dual_mov_b32 v27, v33
	s_waitcnt vmcnt(1)
	s_delay_alu instid0(VALU_DEP_1) | instskip(SKIP_1) | instid1(VALU_DEP_1)
	v_and_b32_e32 v8, v24, v26
	s_waitcnt vmcnt(0)
	v_mad_u64_u32 v[32:33], null, v8, 24, v[38:39]
	v_and_b32_e32 v38, v25, v27
	s_delay_alu instid0(VALU_DEP_2) | instskip(NEXT) | instid1(VALU_DEP_1)
	v_mov_b32_e32 v8, v33
	v_mad_u64_u32 v[24:25], null, v38, 24, v[8:9]
	s_delay_alu instid0(VALU_DEP_1)
	v_mov_b32_e32 v33, v24
	global_load_b64 v[24:25], v[32:33], off glc
	s_waitcnt vmcnt(0)
	global_atomic_cmpswap_b64 v[32:33], v9, v[24:27], s[2:3] offset:24 glc
	s_waitcnt vmcnt(0)
	buffer_gl1_inv
	buffer_gl0_inv
	v_cmp_eq_u64_e32 vcc_lo, v[32:33], v[26:27]
	s_or_b32 s5, vcc_lo, s5
	s_delay_alu instid0(SALU_CYCLE_1)
	s_and_not1_b32 exec_lo, exec_lo, s5
	s_cbranch_execnz .LBB1_90
; %bb.91:                               ;   in Loop: Header=BB1_31 Depth=1
	s_or_b32 exec_lo, exec_lo, s5
.LBB1_92:                               ;   in Loop: Header=BB1_31 Depth=1
	s_delay_alu instid0(SALU_CYCLE_1)
	s_or_b32 exec_lo, exec_lo, s4
.LBB1_93:                               ;   in Loop: Header=BB1_31 Depth=1
	s_delay_alu instid0(SALU_CYCLE_1)
	s_or_b32 exec_lo, exec_lo, s1
	s_clause 0x1
	global_load_b64 v[38:39], v9, s[2:3] offset:40
	global_load_b128 v[24:27], v9, s[2:3]
	v_readfirstlane_b32 s4, v32
	v_readfirstlane_b32 s5, v33
	s_mov_b32 s1, exec_lo
	s_waitcnt vmcnt(1)
	v_readfirstlane_b32 s6, v38
	v_readfirstlane_b32 s7, v39
	s_delay_alu instid0(VALU_DEP_1) | instskip(NEXT) | instid1(SALU_CYCLE_1)
	s_and_b64 s[6:7], s[4:5], s[6:7]
	s_mul_i32 s12, s7, 24
	s_mul_hi_u32 s13, s6, 24
	s_mul_i32 s14, s6, 24
	s_add_i32 s13, s13, s12
	s_waitcnt vmcnt(0)
	v_add_co_u32 v32, vcc_lo, v24, s14
	v_add_co_ci_u32_e32 v33, vcc_lo, s13, v25, vcc_lo
	s_and_saveexec_b32 s12, s0
	s_cbranch_execz .LBB1_95
; %bb.94:                               ;   in Loop: Header=BB1_31 Depth=1
	v_mov_b32_e32 v8, s1
	global_store_b128 v[32:33], v[8:11], off offset:8
.LBB1_95:                               ;   in Loop: Header=BB1_31 Depth=1
	s_or_b32 exec_lo, exec_lo, s12
	v_cmp_lt_u64_e32 vcc_lo, 56, v[28:29]
	v_or_b32_e32 v8, 0, v1
	v_or_b32_e32 v38, v0, v36
	v_lshl_add_u32 v39, v30, 2, 28
	s_lshl_b64 s[6:7], s[6:7], 12
	s_delay_alu instid0(SALU_CYCLE_1) | instskip(NEXT) | instid1(VALU_DEP_1)
	v_add_co_u32 v26, s1, v26, s6
	v_add_co_ci_u32_e64 v27, s1, s7, v27, s1
	v_dual_cndmask_b32 v1, v8, v1 :: v_dual_cndmask_b32 v0, v38, v0
	v_and_b32_e32 v8, 0x1e0, v39
	s_delay_alu instid0(VALU_DEP_4) | instskip(NEXT) | instid1(VALU_DEP_4)
	v_readfirstlane_b32 s6, v26
	v_readfirstlane_b32 s7, v27
	s_delay_alu instid0(VALU_DEP_3)
	v_and_or_b32 v0, 0xffffff1f, v0, v8
	s_clause 0x3
	global_store_b128 v34, v[0:3], s[6:7]
	global_store_b128 v34, v[12:15], s[6:7] offset:16
	global_store_b128 v34, v[16:19], s[6:7] offset:32
	;; [unrolled: 1-line block ×3, first 2 shown]
	s_and_saveexec_b32 s1, s0
	s_cbranch_execz .LBB1_103
; %bb.96:                               ;   in Loop: Header=BB1_31 Depth=1
	s_clause 0x1
	global_load_b64 v[16:17], v9, s[2:3] offset:32 glc
	global_load_b64 v[0:1], v9, s[2:3] offset:40
	v_dual_mov_b32 v14, s4 :: v_dual_mov_b32 v15, s5
	s_waitcnt vmcnt(0)
	v_readfirstlane_b32 s6, v0
	v_readfirstlane_b32 s7, v1
	s_delay_alu instid0(VALU_DEP_1) | instskip(NEXT) | instid1(SALU_CYCLE_1)
	s_and_b64 s[6:7], s[6:7], s[4:5]
	s_mul_i32 s7, s7, 24
	s_mul_hi_u32 s12, s6, 24
	s_mul_i32 s6, s6, 24
	s_add_i32 s12, s12, s7
	v_add_co_u32 v12, vcc_lo, v24, s6
	v_add_co_ci_u32_e32 v13, vcc_lo, s12, v25, vcc_lo
	s_mov_b32 s6, exec_lo
	global_store_b64 v[12:13], v[16:17], off
	s_waitcnt_vscnt null, 0x0
	global_atomic_cmpswap_b64 v[2:3], v9, v[14:17], s[2:3] offset:32 glc
	s_waitcnt vmcnt(0)
	v_cmpx_ne_u64_e64 v[2:3], v[16:17]
	s_cbranch_execz .LBB1_99
; %bb.97:                               ;   in Loop: Header=BB1_31 Depth=1
	s_mov_b32 s7, 0
.LBB1_98:                               ;   Parent Loop BB1_31 Depth=1
                                        ; =>  This Inner Loop Header: Depth=2
	v_dual_mov_b32 v0, s4 :: v_dual_mov_b32 v1, s5
	s_sleep 1
	global_store_b64 v[12:13], v[2:3], off
	s_waitcnt_vscnt null, 0x0
	global_atomic_cmpswap_b64 v[0:1], v9, v[0:3], s[2:3] offset:32 glc
	s_waitcnt vmcnt(0)
	v_cmp_eq_u64_e32 vcc_lo, v[0:1], v[2:3]
	v_dual_mov_b32 v3, v1 :: v_dual_mov_b32 v2, v0
	s_or_b32 s7, vcc_lo, s7
	s_delay_alu instid0(SALU_CYCLE_1)
	s_and_not1_b32 exec_lo, exec_lo, s7
	s_cbranch_execnz .LBB1_98
.LBB1_99:                               ;   in Loop: Header=BB1_31 Depth=1
	s_or_b32 exec_lo, exec_lo, s6
	global_load_b64 v[0:1], v9, s[2:3] offset:16
	s_mov_b32 s7, exec_lo
	s_mov_b32 s6, exec_lo
	v_mbcnt_lo_u32_b32 v2, s7, 0
	s_delay_alu instid0(VALU_DEP_1)
	v_cmpx_eq_u32_e32 0, v2
	s_cbranch_execz .LBB1_101
; %bb.100:                              ;   in Loop: Header=BB1_31 Depth=1
	s_bcnt1_i32_b32 s7, s7
	s_delay_alu instid0(SALU_CYCLE_1)
	v_mov_b32_e32 v8, s7
	s_waitcnt vmcnt(0)
	global_atomic_add_u64 v[0:1], v[8:9], off offset:8
.LBB1_101:                              ;   in Loop: Header=BB1_31 Depth=1
	s_or_b32 exec_lo, exec_lo, s6
	s_waitcnt vmcnt(0)
	global_load_b64 v[2:3], v[0:1], off offset:16
	s_waitcnt vmcnt(0)
	v_cmp_eq_u64_e32 vcc_lo, 0, v[2:3]
	s_cbranch_vccnz .LBB1_103
; %bb.102:                              ;   in Loop: Header=BB1_31 Depth=1
	global_load_b32 v8, v[0:1], off offset:24
	s_waitcnt vmcnt(0)
	v_and_b32_e32 v0, 0xffffff, v8
	s_waitcnt_vscnt null, 0x0
	global_store_b64 v[2:3], v[8:9], off
	v_readfirstlane_b32 m0, v0
	s_sendmsg sendmsg(MSG_INTERRUPT)
.LBB1_103:                              ;   in Loop: Header=BB1_31 Depth=1
	s_or_b32 exec_lo, exec_lo, s1
	v_add_co_u32 v0, vcc_lo, v26, v34
	v_add_co_ci_u32_e32 v1, vcc_lo, 0, v27, vcc_lo
	s_branch .LBB1_107
	.p2align	6
.LBB1_104:                              ;   in Loop: Header=BB1_107 Depth=2
	s_or_b32 exec_lo, exec_lo, s1
	s_delay_alu instid0(VALU_DEP_1) | instskip(NEXT) | instid1(VALU_DEP_1)
	v_readfirstlane_b32 s1, v2
	s_cmp_eq_u32 s1, 0
	s_cbranch_scc1 .LBB1_106
; %bb.105:                              ;   in Loop: Header=BB1_107 Depth=2
	s_sleep 1
	s_cbranch_execnz .LBB1_107
	s_branch .LBB1_109
	.p2align	6
.LBB1_106:                              ;   in Loop: Header=BB1_31 Depth=1
	s_branch .LBB1_109
.LBB1_107:                              ;   Parent Loop BB1_31 Depth=1
                                        ; =>  This Inner Loop Header: Depth=2
	v_mov_b32_e32 v2, 1
	s_and_saveexec_b32 s1, s0
	s_cbranch_execz .LBB1_104
; %bb.108:                              ;   in Loop: Header=BB1_107 Depth=2
	global_load_b32 v2, v[32:33], off offset:20 glc
	s_waitcnt vmcnt(0)
	buffer_gl1_inv
	buffer_gl0_inv
	v_and_b32_e32 v2, 1, v2
	s_branch .LBB1_104
.LBB1_109:                              ;   in Loop: Header=BB1_31 Depth=1
	global_load_b128 v[0:3], v[0:1], off
	s_and_saveexec_b32 s1, s0
	s_cbranch_execz .LBB1_30
; %bb.110:                              ;   in Loop: Header=BB1_31 Depth=1
	s_clause 0x2
	global_load_b64 v[2:3], v9, s[2:3] offset:40
	global_load_b64 v[16:17], v9, s[2:3] offset:24 glc
	global_load_b64 v[14:15], v9, s[2:3]
	s_waitcnt vmcnt(2)
	v_add_co_u32 v8, vcc_lo, v2, 1
	v_add_co_ci_u32_e32 v18, vcc_lo, 0, v3, vcc_lo
	s_delay_alu instid0(VALU_DEP_2) | instskip(NEXT) | instid1(VALU_DEP_2)
	v_add_co_u32 v12, vcc_lo, v8, s4
	v_add_co_ci_u32_e32 v13, vcc_lo, s5, v18, vcc_lo
	s_delay_alu instid0(VALU_DEP_1) | instskip(SKIP_1) | instid1(VALU_DEP_1)
	v_cmp_eq_u64_e32 vcc_lo, 0, v[12:13]
	v_dual_cndmask_b32 v13, v13, v18 :: v_dual_cndmask_b32 v12, v12, v8
	v_and_b32_e32 v3, v13, v3
	s_delay_alu instid0(VALU_DEP_2) | instskip(NEXT) | instid1(VALU_DEP_1)
	v_and_b32_e32 v2, v12, v2
	v_mul_hi_u32 v8, v2, 24
	v_mul_lo_u32 v2, v2, 24
	s_waitcnt vmcnt(0)
	s_delay_alu instid0(VALU_DEP_1) | instskip(SKIP_2) | instid1(VALU_DEP_1)
	v_add_co_u32 v2, vcc_lo, v14, v2
	v_mov_b32_e32 v14, v16
	v_mul_lo_u32 v3, v3, 24
	v_add_nc_u32_e32 v3, v8, v3
	s_delay_alu instid0(VALU_DEP_1)
	v_add_co_ci_u32_e32 v3, vcc_lo, v15, v3, vcc_lo
	v_mov_b32_e32 v15, v17
	global_store_b64 v[2:3], v[16:17], off
	s_waitcnt_vscnt null, 0x0
	global_atomic_cmpswap_b64 v[14:15], v9, v[12:15], s[2:3] offset:24 glc
	s_waitcnt vmcnt(0)
	v_cmp_ne_u64_e32 vcc_lo, v[14:15], v[16:17]
	s_and_b32 exec_lo, exec_lo, vcc_lo
	s_cbranch_execz .LBB1_30
; %bb.111:                              ;   in Loop: Header=BB1_31 Depth=1
	s_mov_b32 s0, 0
.LBB1_112:                              ;   Parent Loop BB1_31 Depth=1
                                        ; =>  This Inner Loop Header: Depth=2
	s_sleep 1
	global_store_b64 v[2:3], v[14:15], off
	s_waitcnt_vscnt null, 0x0
	global_atomic_cmpswap_b64 v[16:17], v9, v[12:15], s[2:3] offset:24 glc
	s_waitcnt vmcnt(0)
	v_cmp_eq_u64_e32 vcc_lo, v[16:17], v[14:15]
	v_dual_mov_b32 v14, v16 :: v_dual_mov_b32 v15, v17
	s_or_b32 s0, vcc_lo, s0
	s_delay_alu instid0(SALU_CYCLE_1)
	s_and_not1_b32 exec_lo, exec_lo, s0
	s_cbranch_execnz .LBB1_112
	s_branch .LBB1_30
.LBB1_113:
                                        ; implicit-def: $vgpr0_vgpr1
	s_cbranch_execnz .LBB1_115
	s_branch .LBB1_142
.LBB1_114:
	s_or_b32 exec_lo, exec_lo, s10
	s_branch .LBB1_142
.LBB1_115:
	v_readfirstlane_b32 s0, v35
	v_mov_b32_e32 v9, 0
	v_mov_b32_e32 v10, 0
	s_delay_alu instid0(VALU_DEP_3) | instskip(NEXT) | instid1(VALU_DEP_1)
	v_cmp_eq_u32_e64 s0, s0, v35
	s_and_saveexec_b32 s1, s0
	s_cbranch_execz .LBB1_121
; %bb.116:
	s_waitcnt vmcnt(0)
	v_mov_b32_e32 v0, 0
	s_mov_b32 s4, exec_lo
	global_load_b64 v[11:12], v0, s[2:3] offset:24 glc
	s_waitcnt vmcnt(0)
	buffer_gl1_inv
	buffer_gl0_inv
	s_clause 0x1
	global_load_b64 v[1:2], v0, s[2:3] offset:40
	global_load_b64 v[8:9], v0, s[2:3]
	s_waitcnt vmcnt(1)
	v_and_b32_e32 v1, v1, v11
	v_and_b32_e32 v2, v2, v12
	s_delay_alu instid0(VALU_DEP_2) | instskip(NEXT) | instid1(VALU_DEP_2)
	v_mul_hi_u32 v3, v1, 24
	v_mul_lo_u32 v2, v2, 24
	v_mul_lo_u32 v1, v1, 24
	s_delay_alu instid0(VALU_DEP_2) | instskip(SKIP_1) | instid1(VALU_DEP_2)
	v_add_nc_u32_e32 v2, v3, v2
	s_waitcnt vmcnt(0)
	v_add_co_u32 v1, vcc_lo, v8, v1
	s_delay_alu instid0(VALU_DEP_2)
	v_add_co_ci_u32_e32 v2, vcc_lo, v9, v2, vcc_lo
	global_load_b64 v[9:10], v[1:2], off glc
	s_waitcnt vmcnt(0)
	global_atomic_cmpswap_b64 v[9:10], v0, v[9:12], s[2:3] offset:24 glc
	s_waitcnt vmcnt(0)
	buffer_gl1_inv
	buffer_gl0_inv
	v_cmpx_ne_u64_e64 v[9:10], v[11:12]
	s_cbranch_execz .LBB1_120
; %bb.117:
	s_mov_b32 s5, 0
	.p2align	6
.LBB1_118:                              ; =>This Inner Loop Header: Depth=1
	s_sleep 1
	s_clause 0x1
	global_load_b64 v[1:2], v0, s[2:3] offset:40
	global_load_b64 v[13:14], v0, s[2:3]
	v_dual_mov_b32 v12, v10 :: v_dual_mov_b32 v11, v9
	s_waitcnt vmcnt(1)
	s_delay_alu instid0(VALU_DEP_1) | instskip(SKIP_1) | instid1(VALU_DEP_1)
	v_and_b32_e32 v1, v1, v11
	s_waitcnt vmcnt(0)
	v_mad_u64_u32 v[8:9], null, v1, 24, v[13:14]
	s_delay_alu instid0(VALU_DEP_1) | instskip(NEXT) | instid1(VALU_DEP_1)
	v_dual_mov_b32 v1, v9 :: v_dual_and_b32 v10, v2, v12
	v_mad_u64_u32 v[2:3], null, v10, 24, v[1:2]
	s_delay_alu instid0(VALU_DEP_1)
	v_mov_b32_e32 v9, v2
	global_load_b64 v[9:10], v[8:9], off glc
	s_waitcnt vmcnt(0)
	global_atomic_cmpswap_b64 v[9:10], v0, v[9:12], s[2:3] offset:24 glc
	s_waitcnt vmcnt(0)
	buffer_gl1_inv
	buffer_gl0_inv
	v_cmp_eq_u64_e32 vcc_lo, v[9:10], v[11:12]
	s_or_b32 s5, vcc_lo, s5
	s_delay_alu instid0(SALU_CYCLE_1)
	s_and_not1_b32 exec_lo, exec_lo, s5
	s_cbranch_execnz .LBB1_118
; %bb.119:
	s_or_b32 exec_lo, exec_lo, s5
.LBB1_120:
	s_delay_alu instid0(SALU_CYCLE_1)
	s_or_b32 exec_lo, exec_lo, s4
.LBB1_121:
	s_delay_alu instid0(SALU_CYCLE_1)
	s_or_b32 exec_lo, exec_lo, s1
	v_mov_b32_e32 v8, 0
	v_readfirstlane_b32 s4, v9
	v_readfirstlane_b32 s5, v10
	s_mov_b32 s1, exec_lo
	s_clause 0x1
	global_load_b64 v[11:12], v8, s[2:3] offset:40
	global_load_b128 v[0:3], v8, s[2:3]
	s_waitcnt vmcnt(1)
	v_readfirstlane_b32 s6, v11
	v_readfirstlane_b32 s7, v12
	s_delay_alu instid0(VALU_DEP_1) | instskip(NEXT) | instid1(SALU_CYCLE_1)
	s_and_b64 s[6:7], s[4:5], s[6:7]
	s_mul_i32 s10, s7, 24
	s_mul_hi_u32 s11, s6, 24
	s_mul_i32 s12, s6, 24
	s_add_i32 s11, s11, s10
	s_waitcnt vmcnt(0)
	v_add_co_u32 v10, vcc_lo, v0, s12
	v_add_co_ci_u32_e32 v11, vcc_lo, s11, v1, vcc_lo
	s_and_saveexec_b32 s10, s0
	s_cbranch_execz .LBB1_123
; %bb.122:
	v_dual_mov_b32 v12, s1 :: v_dual_mov_b32 v13, v8
	v_dual_mov_b32 v14, 2 :: v_dual_mov_b32 v15, 1
	global_store_b128 v[10:11], v[12:15], off offset:8
.LBB1_123:
	s_or_b32 exec_lo, exec_lo, s10
	s_lshl_b64 s[6:7], s[6:7], 12
	s_mov_b32 s12, 0
	v_add_co_u32 v2, vcc_lo, v2, s6
	v_add_co_ci_u32_e32 v3, vcc_lo, s7, v3, vcc_lo
	s_mov_b32 s15, s12
	s_delay_alu instid0(VALU_DEP_2)
	v_add_co_u32 v12, vcc_lo, v2, v34
	s_mov_b32 s13, s12
	s_mov_b32 s14, s12
	v_and_or_b32 v6, 0xffffff1f, v6, 32
	v_mov_b32_e32 v9, v8
	v_readfirstlane_b32 s6, v2
	v_readfirstlane_b32 s7, v3
	v_dual_mov_b32 v17, s15 :: v_dual_mov_b32 v14, s12
	v_add_co_ci_u32_e32 v13, vcc_lo, 0, v3, vcc_lo
	v_dual_mov_b32 v16, s14 :: v_dual_mov_b32 v15, s13
	s_clause 0x3
	global_store_b128 v34, v[6:9], s[6:7]
	global_store_b128 v34, v[14:17], s[6:7] offset:16
	global_store_b128 v34, v[14:17], s[6:7] offset:32
	;; [unrolled: 1-line block ×3, first 2 shown]
	s_and_saveexec_b32 s1, s0
	s_cbranch_execz .LBB1_131
; %bb.124:
	v_dual_mov_b32 v8, 0 :: v_dual_mov_b32 v15, s5
	v_mov_b32_e32 v14, s4
	s_clause 0x1
	global_load_b64 v[16:17], v8, s[2:3] offset:32 glc
	global_load_b64 v[2:3], v8, s[2:3] offset:40
	s_waitcnt vmcnt(0)
	v_readfirstlane_b32 s6, v2
	v_readfirstlane_b32 s7, v3
	s_delay_alu instid0(VALU_DEP_1) | instskip(NEXT) | instid1(SALU_CYCLE_1)
	s_and_b64 s[6:7], s[6:7], s[4:5]
	s_mul_i32 s7, s7, 24
	s_mul_hi_u32 s10, s6, 24
	s_mul_i32 s6, s6, 24
	s_add_i32 s10, s10, s7
	v_add_co_u32 v6, vcc_lo, v0, s6
	v_add_co_ci_u32_e32 v7, vcc_lo, s10, v1, vcc_lo
	s_mov_b32 s6, exec_lo
	global_store_b64 v[6:7], v[16:17], off
	s_waitcnt_vscnt null, 0x0
	global_atomic_cmpswap_b64 v[2:3], v8, v[14:17], s[2:3] offset:32 glc
	s_waitcnt vmcnt(0)
	v_cmpx_ne_u64_e64 v[2:3], v[16:17]
	s_cbranch_execz .LBB1_127
; %bb.125:
	s_mov_b32 s7, 0
.LBB1_126:                              ; =>This Inner Loop Header: Depth=1
	v_dual_mov_b32 v0, s4 :: v_dual_mov_b32 v1, s5
	s_sleep 1
	global_store_b64 v[6:7], v[2:3], off
	s_waitcnt_vscnt null, 0x0
	global_atomic_cmpswap_b64 v[0:1], v8, v[0:3], s[2:3] offset:32 glc
	s_waitcnt vmcnt(0)
	v_cmp_eq_u64_e32 vcc_lo, v[0:1], v[2:3]
	v_dual_mov_b32 v3, v1 :: v_dual_mov_b32 v2, v0
	s_or_b32 s7, vcc_lo, s7
	s_delay_alu instid0(SALU_CYCLE_1)
	s_and_not1_b32 exec_lo, exec_lo, s7
	s_cbranch_execnz .LBB1_126
.LBB1_127:
	s_or_b32 exec_lo, exec_lo, s6
	v_mov_b32_e32 v3, 0
	s_mov_b32 s7, exec_lo
	s_mov_b32 s6, exec_lo
	v_mbcnt_lo_u32_b32 v2, s7, 0
	global_load_b64 v[0:1], v3, s[2:3] offset:16
	v_cmpx_eq_u32_e32 0, v2
	s_cbranch_execz .LBB1_129
; %bb.128:
	s_bcnt1_i32_b32 s7, s7
	s_delay_alu instid0(SALU_CYCLE_1)
	v_mov_b32_e32 v2, s7
	s_waitcnt vmcnt(0)
	global_atomic_add_u64 v[0:1], v[2:3], off offset:8
.LBB1_129:
	s_or_b32 exec_lo, exec_lo, s6
	s_waitcnt vmcnt(0)
	global_load_b64 v[2:3], v[0:1], off offset:16
	s_waitcnt vmcnt(0)
	v_cmp_eq_u64_e32 vcc_lo, 0, v[2:3]
	s_cbranch_vccnz .LBB1_131
; %bb.130:
	global_load_b32 v0, v[0:1], off offset:24
	s_waitcnt vmcnt(0)
	v_dual_mov_b32 v1, 0 :: v_dual_and_b32 v6, 0xffffff, v0
	s_waitcnt_vscnt null, 0x0
	global_store_b64 v[2:3], v[0:1], off
	v_readfirstlane_b32 m0, v6
	s_sendmsg sendmsg(MSG_INTERRUPT)
.LBB1_131:
	s_or_b32 exec_lo, exec_lo, s1
	s_branch .LBB1_135
	.p2align	6
.LBB1_132:                              ;   in Loop: Header=BB1_135 Depth=1
	s_or_b32 exec_lo, exec_lo, s1
	s_delay_alu instid0(VALU_DEP_1) | instskip(NEXT) | instid1(VALU_DEP_1)
	v_readfirstlane_b32 s1, v0
	s_cmp_eq_u32 s1, 0
	s_cbranch_scc1 .LBB1_134
; %bb.133:                              ;   in Loop: Header=BB1_135 Depth=1
	s_sleep 1
	s_cbranch_execnz .LBB1_135
	s_branch .LBB1_137
	.p2align	6
.LBB1_134:
	s_branch .LBB1_137
.LBB1_135:                              ; =>This Inner Loop Header: Depth=1
	v_mov_b32_e32 v0, 1
	s_and_saveexec_b32 s1, s0
	s_cbranch_execz .LBB1_132
; %bb.136:                              ;   in Loop: Header=BB1_135 Depth=1
	global_load_b32 v0, v[10:11], off offset:20 glc
	s_waitcnt vmcnt(0)
	buffer_gl1_inv
	buffer_gl0_inv
	v_and_b32_e32 v0, 1, v0
	s_branch .LBB1_132
.LBB1_137:
	global_load_b64 v[0:1], v[12:13], off
	s_and_saveexec_b32 s1, s0
	s_cbranch_execz .LBB1_141
; %bb.138:
	v_mov_b32_e32 v10, 0
	s_clause 0x2
	global_load_b64 v[2:3], v10, s[2:3] offset:40
	global_load_b64 v[11:12], v10, s[2:3] offset:24 glc
	global_load_b64 v[8:9], v10, s[2:3]
	s_waitcnt vmcnt(2)
	v_add_co_u32 v13, vcc_lo, v2, 1
	v_add_co_ci_u32_e32 v14, vcc_lo, 0, v3, vcc_lo
	s_delay_alu instid0(VALU_DEP_2) | instskip(NEXT) | instid1(VALU_DEP_2)
	v_add_co_u32 v6, vcc_lo, v13, s4
	v_add_co_ci_u32_e32 v7, vcc_lo, s5, v14, vcc_lo
	s_delay_alu instid0(VALU_DEP_1) | instskip(SKIP_1) | instid1(VALU_DEP_1)
	v_cmp_eq_u64_e32 vcc_lo, 0, v[6:7]
	v_dual_cndmask_b32 v7, v7, v14 :: v_dual_cndmask_b32 v6, v6, v13
	v_and_b32_e32 v3, v7, v3
	s_delay_alu instid0(VALU_DEP_2) | instskip(NEXT) | instid1(VALU_DEP_2)
	v_and_b32_e32 v2, v6, v2
	v_mul_lo_u32 v3, v3, 24
	s_delay_alu instid0(VALU_DEP_2) | instskip(SKIP_1) | instid1(VALU_DEP_2)
	v_mul_hi_u32 v13, v2, 24
	v_mul_lo_u32 v2, v2, 24
	v_add_nc_u32_e32 v3, v13, v3
	s_waitcnt vmcnt(0)
	s_delay_alu instid0(VALU_DEP_2) | instskip(SKIP_1) | instid1(VALU_DEP_3)
	v_add_co_u32 v2, vcc_lo, v8, v2
	v_mov_b32_e32 v8, v11
	v_add_co_ci_u32_e32 v3, vcc_lo, v9, v3, vcc_lo
	v_mov_b32_e32 v9, v12
	global_store_b64 v[2:3], v[11:12], off
	s_waitcnt_vscnt null, 0x0
	global_atomic_cmpswap_b64 v[8:9], v10, v[6:9], s[2:3] offset:24 glc
	s_waitcnt vmcnt(0)
	v_cmp_ne_u64_e32 vcc_lo, v[8:9], v[11:12]
	s_and_b32 exec_lo, exec_lo, vcc_lo
	s_cbranch_execz .LBB1_141
; %bb.139:
	s_mov_b32 s0, 0
.LBB1_140:                              ; =>This Inner Loop Header: Depth=1
	s_sleep 1
	global_store_b64 v[2:3], v[8:9], off
	s_waitcnt_vscnt null, 0x0
	global_atomic_cmpswap_b64 v[11:12], v10, v[6:9], s[2:3] offset:24 glc
	s_waitcnt vmcnt(0)
	v_cmp_eq_u64_e32 vcc_lo, v[11:12], v[8:9]
	v_dual_mov_b32 v8, v11 :: v_dual_mov_b32 v9, v12
	s_or_b32 s0, vcc_lo, s0
	s_delay_alu instid0(SALU_CYCLE_1)
	s_and_not1_b32 exec_lo, exec_lo, s0
	s_cbranch_execnz .LBB1_140
.LBB1_141:
	s_or_b32 exec_lo, exec_lo, s1
.LBB1_142:
	s_getpc_b64 s[4:5]
	s_add_u32 s4, s4, .str.2@rel32@lo+4
	s_addc_u32 s5, s5, .str.2@rel32@hi+12
	s_delay_alu instid0(SALU_CYCLE_1)
	s_cmp_lg_u64 s[4:5], 0
	s_cbranch_scc0 .LBB1_220
; %bb.143:
	s_getpc_b64 s[0:1]
	s_add_u32 s0, s0, .str.2@rel32@lo+80
	s_addc_u32 s1, s1, .str.2@rel32@hi+88
	s_waitcnt vmcnt(0)
	v_dual_mov_b32 v10, 0 :: v_dual_and_b32 v33, 2, v0
	v_dual_mov_b32 v7, v1 :: v_dual_and_b32 v6, -3, v0
	v_dual_mov_b32 v11, 2 :: v_dual_mov_b32 v12, 1
	s_sub_i32 s6, s0, s4
	s_delay_alu instid0(SALU_CYCLE_1)
	s_ashr_i32 s7, s6, 31
	s_branch .LBB1_145
.LBB1_144:                              ;   in Loop: Header=BB1_145 Depth=1
	s_or_b32 exec_lo, exec_lo, s1
	s_sub_u32 s6, s6, s10
	s_subb_u32 s7, s7, s11
	s_add_u32 s4, s4, s10
	s_addc_u32 s5, s5, s11
	s_cmp_lg_u64 s[6:7], 0
	s_cbranch_scc0 .LBB1_221
.LBB1_145:                              ; =>This Loop Header: Depth=1
                                        ;     Child Loop BB1_154 Depth 2
                                        ;     Child Loop BB1_150 Depth 2
                                        ;     Child Loop BB1_162 Depth 2
                                        ;     Child Loop BB1_169 Depth 2
                                        ;     Child Loop BB1_176 Depth 2
                                        ;     Child Loop BB1_183 Depth 2
                                        ;     Child Loop BB1_190 Depth 2
                                        ;     Child Loop BB1_197 Depth 2
                                        ;     Child Loop BB1_205 Depth 2
                                        ;     Child Loop BB1_214 Depth 2
                                        ;     Child Loop BB1_219 Depth 2
	v_cmp_lt_u64_e64 s0, s[6:7], 56
	v_cmp_gt_u64_e64 s1, s[6:7], 7
                                        ; implicit-def: $vgpr15_vgpr16
                                        ; implicit-def: $sgpr16
	s_delay_alu instid0(VALU_DEP_2) | instskip(SKIP_2) | instid1(VALU_DEP_1)
	s_and_b32 s0, s0, exec_lo
	s_cselect_b32 s11, s7, 0
	s_cselect_b32 s10, s6, 56
	s_and_b32 vcc_lo, exec_lo, s1
	s_mov_b32 s0, -1
	s_cbranch_vccz .LBB1_152
; %bb.146:                              ;   in Loop: Header=BB1_145 Depth=1
	s_and_not1_b32 vcc_lo, exec_lo, s0
	s_mov_b64 s[0:1], s[4:5]
	s_cbranch_vccz .LBB1_156
.LBB1_147:                              ;   in Loop: Header=BB1_145 Depth=1
	s_cmp_gt_u32 s16, 7
	s_cbranch_scc1 .LBB1_157
.LBB1_148:                              ;   in Loop: Header=BB1_145 Depth=1
	v_mov_b32_e32 v17, 0
	v_mov_b32_e32 v18, 0
	s_cmp_eq_u32 s16, 0
	s_cbranch_scc1 .LBB1_151
; %bb.149:                              ;   in Loop: Header=BB1_145 Depth=1
	s_mov_b64 s[12:13], 0
	s_mov_b64 s[14:15], 0
.LBB1_150:                              ;   Parent Loop BB1_145 Depth=1
                                        ; =>  This Inner Loop Header: Depth=2
	s_delay_alu instid0(SALU_CYCLE_1)
	s_add_u32 s18, s0, s14
	s_addc_u32 s19, s1, s15
	s_add_u32 s14, s14, 1
	global_load_u8 v2, v10, s[18:19]
	s_addc_u32 s15, s15, 0
	s_waitcnt vmcnt(0)
	v_and_b32_e32 v9, 0xffff, v2
	s_delay_alu instid0(VALU_DEP_1) | instskip(SKIP_3) | instid1(VALU_DEP_1)
	v_lshlrev_b64 v[2:3], s12, v[9:10]
	s_add_u32 s12, s12, 8
	s_addc_u32 s13, s13, 0
	s_cmp_lg_u32 s16, s14
	v_or_b32_e32 v17, v2, v17
	s_delay_alu instid0(VALU_DEP_2)
	v_or_b32_e32 v18, v3, v18
	s_cbranch_scc1 .LBB1_150
.LBB1_151:                              ;   in Loop: Header=BB1_145 Depth=1
	s_mov_b32 s17, 0
	s_cbranch_execz .LBB1_158
	s_branch .LBB1_159
.LBB1_152:                              ;   in Loop: Header=BB1_145 Depth=1
	v_mov_b32_e32 v15, 0
	v_mov_b32_e32 v16, 0
	s_cmp_eq_u64 s[6:7], 0
	s_mov_b64 s[0:1], 0
	s_cbranch_scc1 .LBB1_155
; %bb.153:                              ;   in Loop: Header=BB1_145 Depth=1
	v_mov_b32_e32 v15, 0
	v_mov_b32_e32 v16, 0
	s_lshl_b64 s[12:13], s[10:11], 3
	s_mov_b64 s[14:15], s[4:5]
.LBB1_154:                              ;   Parent Loop BB1_145 Depth=1
                                        ; =>  This Inner Loop Header: Depth=2
	global_load_u8 v2, v10, s[14:15]
	s_waitcnt vmcnt(0)
	v_and_b32_e32 v9, 0xffff, v2
	s_delay_alu instid0(VALU_DEP_1)
	v_lshlrev_b64 v[2:3], s0, v[9:10]
	s_add_u32 s0, s0, 8
	s_addc_u32 s1, s1, 0
	s_add_u32 s14, s14, 1
	s_addc_u32 s15, s15, 0
	s_cmp_lg_u32 s12, s0
	v_or_b32_e32 v15, v2, v15
	v_or_b32_e32 v16, v3, v16
	s_cbranch_scc1 .LBB1_154
.LBB1_155:                              ;   in Loop: Header=BB1_145 Depth=1
	s_mov_b32 s16, 0
	s_mov_b64 s[0:1], s[4:5]
	s_cbranch_execnz .LBB1_147
.LBB1_156:                              ;   in Loop: Header=BB1_145 Depth=1
	global_load_b64 v[15:16], v10, s[4:5]
	s_add_i32 s16, s10, -8
	s_add_u32 s0, s4, 8
	s_addc_u32 s1, s5, 0
	s_cmp_gt_u32 s16, 7
	s_cbranch_scc0 .LBB1_148
.LBB1_157:                              ;   in Loop: Header=BB1_145 Depth=1
                                        ; implicit-def: $vgpr17_vgpr18
                                        ; implicit-def: $sgpr17
.LBB1_158:                              ;   in Loop: Header=BB1_145 Depth=1
	global_load_b64 v[17:18], v10, s[0:1]
	s_add_i32 s17, s16, -8
	s_add_u32 s0, s0, 8
	s_addc_u32 s1, s1, 0
.LBB1_159:                              ;   in Loop: Header=BB1_145 Depth=1
	s_cmp_gt_u32 s17, 7
	s_cbranch_scc1 .LBB1_164
; %bb.160:                              ;   in Loop: Header=BB1_145 Depth=1
	v_mov_b32_e32 v19, 0
	v_mov_b32_e32 v20, 0
	s_cmp_eq_u32 s17, 0
	s_cbranch_scc1 .LBB1_163
; %bb.161:                              ;   in Loop: Header=BB1_145 Depth=1
	s_mov_b64 s[12:13], 0
	s_mov_b64 s[14:15], 0
.LBB1_162:                              ;   Parent Loop BB1_145 Depth=1
                                        ; =>  This Inner Loop Header: Depth=2
	s_delay_alu instid0(SALU_CYCLE_1)
	s_add_u32 s18, s0, s14
	s_addc_u32 s19, s1, s15
	s_add_u32 s14, s14, 1
	global_load_u8 v2, v10, s[18:19]
	s_addc_u32 s15, s15, 0
	s_waitcnt vmcnt(0)
	v_and_b32_e32 v9, 0xffff, v2
	s_delay_alu instid0(VALU_DEP_1) | instskip(SKIP_3) | instid1(VALU_DEP_1)
	v_lshlrev_b64 v[2:3], s12, v[9:10]
	s_add_u32 s12, s12, 8
	s_addc_u32 s13, s13, 0
	s_cmp_lg_u32 s17, s14
	v_or_b32_e32 v19, v2, v19
	s_delay_alu instid0(VALU_DEP_2)
	v_or_b32_e32 v20, v3, v20
	s_cbranch_scc1 .LBB1_162
.LBB1_163:                              ;   in Loop: Header=BB1_145 Depth=1
	s_mov_b32 s16, 0
	s_cbranch_execz .LBB1_165
	s_branch .LBB1_166
.LBB1_164:                              ;   in Loop: Header=BB1_145 Depth=1
                                        ; implicit-def: $sgpr16
.LBB1_165:                              ;   in Loop: Header=BB1_145 Depth=1
	global_load_b64 v[19:20], v10, s[0:1]
	s_add_i32 s16, s17, -8
	s_add_u32 s0, s0, 8
	s_addc_u32 s1, s1, 0
.LBB1_166:                              ;   in Loop: Header=BB1_145 Depth=1
	s_cmp_gt_u32 s16, 7
	s_cbranch_scc1 .LBB1_171
; %bb.167:                              ;   in Loop: Header=BB1_145 Depth=1
	v_mov_b32_e32 v21, 0
	v_mov_b32_e32 v22, 0
	s_cmp_eq_u32 s16, 0
	s_cbranch_scc1 .LBB1_170
; %bb.168:                              ;   in Loop: Header=BB1_145 Depth=1
	s_mov_b64 s[12:13], 0
	s_mov_b64 s[14:15], 0
.LBB1_169:                              ;   Parent Loop BB1_145 Depth=1
                                        ; =>  This Inner Loop Header: Depth=2
	s_delay_alu instid0(SALU_CYCLE_1)
	s_add_u32 s18, s0, s14
	s_addc_u32 s19, s1, s15
	s_add_u32 s14, s14, 1
	global_load_u8 v2, v10, s[18:19]
	s_addc_u32 s15, s15, 0
	s_waitcnt vmcnt(0)
	v_and_b32_e32 v9, 0xffff, v2
	s_delay_alu instid0(VALU_DEP_1) | instskip(SKIP_3) | instid1(VALU_DEP_1)
	v_lshlrev_b64 v[2:3], s12, v[9:10]
	s_add_u32 s12, s12, 8
	s_addc_u32 s13, s13, 0
	s_cmp_lg_u32 s16, s14
	v_or_b32_e32 v21, v2, v21
	s_delay_alu instid0(VALU_DEP_2)
	v_or_b32_e32 v22, v3, v22
	s_cbranch_scc1 .LBB1_169
.LBB1_170:                              ;   in Loop: Header=BB1_145 Depth=1
	s_mov_b32 s17, 0
	s_cbranch_execz .LBB1_172
	s_branch .LBB1_173
.LBB1_171:                              ;   in Loop: Header=BB1_145 Depth=1
                                        ; implicit-def: $vgpr21_vgpr22
                                        ; implicit-def: $sgpr17
.LBB1_172:                              ;   in Loop: Header=BB1_145 Depth=1
	global_load_b64 v[21:22], v10, s[0:1]
	s_add_i32 s17, s16, -8
	s_add_u32 s0, s0, 8
	s_addc_u32 s1, s1, 0
.LBB1_173:                              ;   in Loop: Header=BB1_145 Depth=1
	s_cmp_gt_u32 s17, 7
	s_cbranch_scc1 .LBB1_178
; %bb.174:                              ;   in Loop: Header=BB1_145 Depth=1
	v_mov_b32_e32 v23, 0
	v_mov_b32_e32 v24, 0
	s_cmp_eq_u32 s17, 0
	s_cbranch_scc1 .LBB1_177
; %bb.175:                              ;   in Loop: Header=BB1_145 Depth=1
	s_mov_b64 s[12:13], 0
	s_mov_b64 s[14:15], 0
.LBB1_176:                              ;   Parent Loop BB1_145 Depth=1
                                        ; =>  This Inner Loop Header: Depth=2
	s_delay_alu instid0(SALU_CYCLE_1)
	s_add_u32 s18, s0, s14
	s_addc_u32 s19, s1, s15
	s_add_u32 s14, s14, 1
	global_load_u8 v2, v10, s[18:19]
	s_addc_u32 s15, s15, 0
	s_waitcnt vmcnt(0)
	v_and_b32_e32 v9, 0xffff, v2
	s_delay_alu instid0(VALU_DEP_1) | instskip(SKIP_3) | instid1(VALU_DEP_1)
	v_lshlrev_b64 v[2:3], s12, v[9:10]
	s_add_u32 s12, s12, 8
	s_addc_u32 s13, s13, 0
	s_cmp_lg_u32 s17, s14
	v_or_b32_e32 v23, v2, v23
	s_delay_alu instid0(VALU_DEP_2)
	v_or_b32_e32 v24, v3, v24
	s_cbranch_scc1 .LBB1_176
.LBB1_177:                              ;   in Loop: Header=BB1_145 Depth=1
	s_mov_b32 s16, 0
	s_cbranch_execz .LBB1_179
	s_branch .LBB1_180
.LBB1_178:                              ;   in Loop: Header=BB1_145 Depth=1
                                        ; implicit-def: $sgpr16
.LBB1_179:                              ;   in Loop: Header=BB1_145 Depth=1
	global_load_b64 v[23:24], v10, s[0:1]
	s_add_i32 s16, s17, -8
	s_add_u32 s0, s0, 8
	s_addc_u32 s1, s1, 0
.LBB1_180:                              ;   in Loop: Header=BB1_145 Depth=1
	s_cmp_gt_u32 s16, 7
	s_cbranch_scc1 .LBB1_185
; %bb.181:                              ;   in Loop: Header=BB1_145 Depth=1
	v_mov_b32_e32 v25, 0
	v_mov_b32_e32 v26, 0
	s_cmp_eq_u32 s16, 0
	s_cbranch_scc1 .LBB1_184
; %bb.182:                              ;   in Loop: Header=BB1_145 Depth=1
	s_mov_b64 s[12:13], 0
	s_mov_b64 s[14:15], 0
.LBB1_183:                              ;   Parent Loop BB1_145 Depth=1
                                        ; =>  This Inner Loop Header: Depth=2
	s_delay_alu instid0(SALU_CYCLE_1)
	s_add_u32 s18, s0, s14
	s_addc_u32 s19, s1, s15
	s_add_u32 s14, s14, 1
	global_load_u8 v2, v10, s[18:19]
	s_addc_u32 s15, s15, 0
	s_waitcnt vmcnt(0)
	v_and_b32_e32 v9, 0xffff, v2
	s_delay_alu instid0(VALU_DEP_1) | instskip(SKIP_3) | instid1(VALU_DEP_1)
	v_lshlrev_b64 v[2:3], s12, v[9:10]
	s_add_u32 s12, s12, 8
	s_addc_u32 s13, s13, 0
	s_cmp_lg_u32 s16, s14
	v_or_b32_e32 v25, v2, v25
	s_delay_alu instid0(VALU_DEP_2)
	v_or_b32_e32 v26, v3, v26
	s_cbranch_scc1 .LBB1_183
.LBB1_184:                              ;   in Loop: Header=BB1_145 Depth=1
	s_mov_b32 s17, 0
	s_cbranch_execz .LBB1_186
	s_branch .LBB1_187
.LBB1_185:                              ;   in Loop: Header=BB1_145 Depth=1
                                        ; implicit-def: $vgpr25_vgpr26
                                        ; implicit-def: $sgpr17
.LBB1_186:                              ;   in Loop: Header=BB1_145 Depth=1
	global_load_b64 v[25:26], v10, s[0:1]
	s_add_i32 s17, s16, -8
	s_add_u32 s0, s0, 8
	s_addc_u32 s1, s1, 0
.LBB1_187:                              ;   in Loop: Header=BB1_145 Depth=1
	s_cmp_gt_u32 s17, 7
	s_cbranch_scc1 .LBB1_192
; %bb.188:                              ;   in Loop: Header=BB1_145 Depth=1
	v_mov_b32_e32 v27, 0
	v_mov_b32_e32 v28, 0
	s_cmp_eq_u32 s17, 0
	s_cbranch_scc1 .LBB1_191
; %bb.189:                              ;   in Loop: Header=BB1_145 Depth=1
	s_mov_b64 s[12:13], 0
	s_mov_b64 s[14:15], s[0:1]
.LBB1_190:                              ;   Parent Loop BB1_145 Depth=1
                                        ; =>  This Inner Loop Header: Depth=2
	global_load_u8 v2, v10, s[14:15]
	s_add_i32 s17, s17, -1
	s_waitcnt vmcnt(0)
	v_and_b32_e32 v9, 0xffff, v2
	s_delay_alu instid0(VALU_DEP_1)
	v_lshlrev_b64 v[2:3], s12, v[9:10]
	s_add_u32 s12, s12, 8
	s_addc_u32 s13, s13, 0
	s_add_u32 s14, s14, 1
	s_addc_u32 s15, s15, 0
	s_cmp_lg_u32 s17, 0
	v_or_b32_e32 v27, v2, v27
	v_or_b32_e32 v28, v3, v28
	s_cbranch_scc1 .LBB1_190
.LBB1_191:                              ;   in Loop: Header=BB1_145 Depth=1
	s_cbranch_execz .LBB1_193
	s_branch .LBB1_194
.LBB1_192:                              ;   in Loop: Header=BB1_145 Depth=1
.LBB1_193:                              ;   in Loop: Header=BB1_145 Depth=1
	global_load_b64 v[27:28], v10, s[0:1]
.LBB1_194:                              ;   in Loop: Header=BB1_145 Depth=1
	v_readfirstlane_b32 s0, v35
	v_mov_b32_e32 v2, 0
	v_mov_b32_e32 v3, 0
	s_delay_alu instid0(VALU_DEP_3) | instskip(NEXT) | instid1(VALU_DEP_1)
	v_cmp_eq_u32_e64 s0, s0, v35
	s_and_saveexec_b32 s1, s0
	s_cbranch_execz .LBB1_200
; %bb.195:                              ;   in Loop: Header=BB1_145 Depth=1
	global_load_b64 v[31:32], v10, s[2:3] offset:24 glc
	s_waitcnt vmcnt(0)
	buffer_gl1_inv
	buffer_gl0_inv
	s_clause 0x1
	global_load_b64 v[2:3], v10, s[2:3] offset:40
	global_load_b64 v[8:9], v10, s[2:3]
	s_mov_b32 s12, exec_lo
	s_waitcnt vmcnt(1)
	v_and_b32_e32 v3, v3, v32
	v_and_b32_e32 v2, v2, v31
	s_delay_alu instid0(VALU_DEP_2) | instskip(NEXT) | instid1(VALU_DEP_2)
	v_mul_lo_u32 v3, v3, 24
	v_mul_hi_u32 v13, v2, 24
	v_mul_lo_u32 v2, v2, 24
	s_delay_alu instid0(VALU_DEP_2) | instskip(SKIP_1) | instid1(VALU_DEP_2)
	v_add_nc_u32_e32 v3, v13, v3
	s_waitcnt vmcnt(0)
	v_add_co_u32 v2, vcc_lo, v8, v2
	s_delay_alu instid0(VALU_DEP_2)
	v_add_co_ci_u32_e32 v3, vcc_lo, v9, v3, vcc_lo
	global_load_b64 v[29:30], v[2:3], off glc
	s_waitcnt vmcnt(0)
	global_atomic_cmpswap_b64 v[2:3], v10, v[29:32], s[2:3] offset:24 glc
	s_waitcnt vmcnt(0)
	buffer_gl1_inv
	buffer_gl0_inv
	v_cmpx_ne_u64_e64 v[2:3], v[31:32]
	s_cbranch_execz .LBB1_199
; %bb.196:                              ;   in Loop: Header=BB1_145 Depth=1
	s_mov_b32 s13, 0
	.p2align	6
.LBB1_197:                              ;   Parent Loop BB1_145 Depth=1
                                        ; =>  This Inner Loop Header: Depth=2
	s_sleep 1
	s_clause 0x1
	global_load_b64 v[8:9], v10, s[2:3] offset:40
	global_load_b64 v[13:14], v10, s[2:3]
	v_dual_mov_b32 v32, v3 :: v_dual_mov_b32 v31, v2
	s_waitcnt vmcnt(1)
	s_delay_alu instid0(VALU_DEP_1) | instskip(SKIP_1) | instid1(VALU_DEP_1)
	v_and_b32_e32 v8, v8, v31
	s_waitcnt vmcnt(0)
	v_mad_u64_u32 v[2:3], null, v8, 24, v[13:14]
	v_and_b32_e32 v13, v9, v32
	s_delay_alu instid0(VALU_DEP_1) | instskip(NEXT) | instid1(VALU_DEP_1)
	v_mad_u64_u32 v[8:9], null, v13, 24, v[3:4]
	v_mov_b32_e32 v3, v8
	global_load_b64 v[29:30], v[2:3], off glc
	s_waitcnt vmcnt(0)
	global_atomic_cmpswap_b64 v[2:3], v10, v[29:32], s[2:3] offset:24 glc
	s_waitcnt vmcnt(0)
	buffer_gl1_inv
	buffer_gl0_inv
	v_cmp_eq_u64_e32 vcc_lo, v[2:3], v[31:32]
	s_or_b32 s13, vcc_lo, s13
	s_delay_alu instid0(SALU_CYCLE_1)
	s_and_not1_b32 exec_lo, exec_lo, s13
	s_cbranch_execnz .LBB1_197
; %bb.198:                              ;   in Loop: Header=BB1_145 Depth=1
	s_or_b32 exec_lo, exec_lo, s13
.LBB1_199:                              ;   in Loop: Header=BB1_145 Depth=1
	s_delay_alu instid0(SALU_CYCLE_1)
	s_or_b32 exec_lo, exec_lo, s12
.LBB1_200:                              ;   in Loop: Header=BB1_145 Depth=1
	s_delay_alu instid0(SALU_CYCLE_1)
	s_or_b32 exec_lo, exec_lo, s1
	s_clause 0x1
	global_load_b64 v[8:9], v10, s[2:3] offset:40
	global_load_b128 v[29:32], v10, s[2:3]
	v_readfirstlane_b32 s12, v2
	v_readfirstlane_b32 s13, v3
	s_mov_b32 s1, exec_lo
	s_waitcnt vmcnt(1)
	v_readfirstlane_b32 s14, v8
	v_readfirstlane_b32 s15, v9
	s_delay_alu instid0(VALU_DEP_1) | instskip(NEXT) | instid1(SALU_CYCLE_1)
	s_and_b64 s[14:15], s[12:13], s[14:15]
	s_mul_i32 s16, s15, 24
	s_mul_hi_u32 s17, s14, 24
	s_mul_i32 s18, s14, 24
	s_add_i32 s17, s17, s16
	s_waitcnt vmcnt(0)
	v_add_co_u32 v2, vcc_lo, v29, s18
	v_add_co_ci_u32_e32 v3, vcc_lo, s17, v30, vcc_lo
	s_and_saveexec_b32 s16, s0
	s_cbranch_execz .LBB1_202
; %bb.201:                              ;   in Loop: Header=BB1_145 Depth=1
	v_mov_b32_e32 v9, s1
	global_store_b128 v[2:3], v[9:12], off offset:8
.LBB1_202:                              ;   in Loop: Header=BB1_145 Depth=1
	s_or_b32 exec_lo, exec_lo, s16
	s_lshl_b64 s[14:15], s[14:15], 12
	v_cmp_gt_u64_e64 vcc_lo, s[6:7], 56
	v_or_b32_e32 v9, v6, v33
	v_add_co_u32 v31, s1, v31, s14
	s_delay_alu instid0(VALU_DEP_1)
	v_add_co_ci_u32_e64 v32, s1, s15, v32, s1
	s_lshl_b32 s1, s10, 2
	v_or_b32_e32 v8, 0, v7
	v_cndmask_b32_e32 v6, v9, v6, vcc_lo
	s_add_i32 s1, s1, 28
	v_readfirstlane_b32 s14, v31
	s_and_b32 s1, s1, 0x1e0
	v_cndmask_b32_e32 v14, v8, v7, vcc_lo
	v_readfirstlane_b32 s15, v32
	v_and_or_b32 v13, 0xffffff1f, v6, s1
	s_clause 0x3
	global_store_b128 v34, v[13:16], s[14:15]
	global_store_b128 v34, v[17:20], s[14:15] offset:16
	global_store_b128 v34, v[21:24], s[14:15] offset:32
	;; [unrolled: 1-line block ×3, first 2 shown]
	s_and_saveexec_b32 s1, s0
	s_cbranch_execz .LBB1_210
; %bb.203:                              ;   in Loop: Header=BB1_145 Depth=1
	s_clause 0x1
	global_load_b64 v[17:18], v10, s[2:3] offset:32 glc
	global_load_b64 v[6:7], v10, s[2:3] offset:40
	v_dual_mov_b32 v15, s12 :: v_dual_mov_b32 v16, s13
	s_waitcnt vmcnt(0)
	v_readfirstlane_b32 s14, v6
	v_readfirstlane_b32 s15, v7
	s_delay_alu instid0(VALU_DEP_1) | instskip(NEXT) | instid1(SALU_CYCLE_1)
	s_and_b64 s[14:15], s[14:15], s[12:13]
	s_mul_i32 s15, s15, 24
	s_mul_hi_u32 s16, s14, 24
	s_mul_i32 s14, s14, 24
	s_add_i32 s16, s16, s15
	v_add_co_u32 v13, vcc_lo, v29, s14
	v_add_co_ci_u32_e32 v14, vcc_lo, s16, v30, vcc_lo
	s_mov_b32 s14, exec_lo
	global_store_b64 v[13:14], v[17:18], off
	s_waitcnt_vscnt null, 0x0
	global_atomic_cmpswap_b64 v[8:9], v10, v[15:18], s[2:3] offset:32 glc
	s_waitcnt vmcnt(0)
	v_cmpx_ne_u64_e64 v[8:9], v[17:18]
	s_cbranch_execz .LBB1_206
; %bb.204:                              ;   in Loop: Header=BB1_145 Depth=1
	s_mov_b32 s15, 0
.LBB1_205:                              ;   Parent Loop BB1_145 Depth=1
                                        ; =>  This Inner Loop Header: Depth=2
	v_dual_mov_b32 v6, s12 :: v_dual_mov_b32 v7, s13
	s_sleep 1
	global_store_b64 v[13:14], v[8:9], off
	s_waitcnt_vscnt null, 0x0
	global_atomic_cmpswap_b64 v[6:7], v10, v[6:9], s[2:3] offset:32 glc
	s_waitcnt vmcnt(0)
	v_cmp_eq_u64_e32 vcc_lo, v[6:7], v[8:9]
	v_dual_mov_b32 v9, v7 :: v_dual_mov_b32 v8, v6
	s_or_b32 s15, vcc_lo, s15
	s_delay_alu instid0(SALU_CYCLE_1)
	s_and_not1_b32 exec_lo, exec_lo, s15
	s_cbranch_execnz .LBB1_205
.LBB1_206:                              ;   in Loop: Header=BB1_145 Depth=1
	s_or_b32 exec_lo, exec_lo, s14
	global_load_b64 v[6:7], v10, s[2:3] offset:16
	s_mov_b32 s15, exec_lo
	s_mov_b32 s14, exec_lo
	v_mbcnt_lo_u32_b32 v8, s15, 0
	s_delay_alu instid0(VALU_DEP_1)
	v_cmpx_eq_u32_e32 0, v8
	s_cbranch_execz .LBB1_208
; %bb.207:                              ;   in Loop: Header=BB1_145 Depth=1
	s_bcnt1_i32_b32 s15, s15
	s_delay_alu instid0(SALU_CYCLE_1)
	v_mov_b32_e32 v9, s15
	s_waitcnt vmcnt(0)
	global_atomic_add_u64 v[6:7], v[9:10], off offset:8
.LBB1_208:                              ;   in Loop: Header=BB1_145 Depth=1
	s_or_b32 exec_lo, exec_lo, s14
	s_waitcnt vmcnt(0)
	global_load_b64 v[13:14], v[6:7], off offset:16
	s_waitcnt vmcnt(0)
	v_cmp_eq_u64_e32 vcc_lo, 0, v[13:14]
	s_cbranch_vccnz .LBB1_210
; %bb.209:                              ;   in Loop: Header=BB1_145 Depth=1
	global_load_b32 v9, v[6:7], off offset:24
	s_waitcnt vmcnt(0)
	v_and_b32_e32 v6, 0xffffff, v9
	s_waitcnt_vscnt null, 0x0
	global_store_b64 v[13:14], v[9:10], off
	v_readfirstlane_b32 m0, v6
	s_sendmsg sendmsg(MSG_INTERRUPT)
.LBB1_210:                              ;   in Loop: Header=BB1_145 Depth=1
	s_or_b32 exec_lo, exec_lo, s1
	v_add_co_u32 v6, vcc_lo, v31, v34
	v_add_co_ci_u32_e32 v7, vcc_lo, 0, v32, vcc_lo
	s_branch .LBB1_214
	.p2align	6
.LBB1_211:                              ;   in Loop: Header=BB1_214 Depth=2
	s_or_b32 exec_lo, exec_lo, s1
	s_delay_alu instid0(VALU_DEP_1) | instskip(NEXT) | instid1(VALU_DEP_1)
	v_readfirstlane_b32 s1, v8
	s_cmp_eq_u32 s1, 0
	s_cbranch_scc1 .LBB1_213
; %bb.212:                              ;   in Loop: Header=BB1_214 Depth=2
	s_sleep 1
	s_cbranch_execnz .LBB1_214
	s_branch .LBB1_216
	.p2align	6
.LBB1_213:                              ;   in Loop: Header=BB1_145 Depth=1
	s_branch .LBB1_216
.LBB1_214:                              ;   Parent Loop BB1_145 Depth=1
                                        ; =>  This Inner Loop Header: Depth=2
	v_mov_b32_e32 v8, 1
	s_and_saveexec_b32 s1, s0
	s_cbranch_execz .LBB1_211
; %bb.215:                              ;   in Loop: Header=BB1_214 Depth=2
	global_load_b32 v8, v[2:3], off offset:20 glc
	s_waitcnt vmcnt(0)
	buffer_gl1_inv
	buffer_gl0_inv
	v_and_b32_e32 v8, 1, v8
	s_branch .LBB1_211
.LBB1_216:                              ;   in Loop: Header=BB1_145 Depth=1
	global_load_b128 v[6:9], v[6:7], off
	s_and_saveexec_b32 s1, s0
	s_cbranch_execz .LBB1_144
; %bb.217:                              ;   in Loop: Header=BB1_145 Depth=1
	s_clause 0x2
	global_load_b64 v[2:3], v10, s[2:3] offset:40
	global_load_b64 v[8:9], v10, s[2:3] offset:24 glc
	global_load_b64 v[15:16], v10, s[2:3]
	s_waitcnt vmcnt(2)
	v_add_co_u32 v17, vcc_lo, v2, 1
	v_add_co_ci_u32_e32 v18, vcc_lo, 0, v3, vcc_lo
	s_delay_alu instid0(VALU_DEP_2) | instskip(NEXT) | instid1(VALU_DEP_2)
	v_add_co_u32 v13, vcc_lo, v17, s12
	v_add_co_ci_u32_e32 v14, vcc_lo, s13, v18, vcc_lo
	s_delay_alu instid0(VALU_DEP_1) | instskip(SKIP_1) | instid1(VALU_DEP_1)
	v_cmp_eq_u64_e32 vcc_lo, 0, v[13:14]
	v_dual_cndmask_b32 v14, v14, v18 :: v_dual_cndmask_b32 v13, v13, v17
	v_and_b32_e32 v3, v14, v3
	s_delay_alu instid0(VALU_DEP_2) | instskip(NEXT) | instid1(VALU_DEP_2)
	v_and_b32_e32 v2, v13, v2
	v_mul_lo_u32 v3, v3, 24
	s_delay_alu instid0(VALU_DEP_2) | instskip(SKIP_1) | instid1(VALU_DEP_2)
	v_mul_hi_u32 v17, v2, 24
	v_mul_lo_u32 v2, v2, 24
	v_add_nc_u32_e32 v3, v17, v3
	s_waitcnt vmcnt(0)
	s_delay_alu instid0(VALU_DEP_2) | instskip(SKIP_1) | instid1(VALU_DEP_3)
	v_add_co_u32 v2, vcc_lo, v15, v2
	v_mov_b32_e32 v15, v8
	v_add_co_ci_u32_e32 v3, vcc_lo, v16, v3, vcc_lo
	v_mov_b32_e32 v16, v9
	global_store_b64 v[2:3], v[8:9], off
	s_waitcnt_vscnt null, 0x0
	global_atomic_cmpswap_b64 v[15:16], v10, v[13:16], s[2:3] offset:24 glc
	s_waitcnt vmcnt(0)
	v_cmp_ne_u64_e32 vcc_lo, v[15:16], v[8:9]
	s_and_b32 exec_lo, exec_lo, vcc_lo
	s_cbranch_execz .LBB1_144
; %bb.218:                              ;   in Loop: Header=BB1_145 Depth=1
	s_mov_b32 s0, 0
.LBB1_219:                              ;   Parent Loop BB1_145 Depth=1
                                        ; =>  This Inner Loop Header: Depth=2
	s_sleep 1
	global_store_b64 v[2:3], v[15:16], off
	s_waitcnt_vscnt null, 0x0
	global_atomic_cmpswap_b64 v[8:9], v10, v[13:16], s[2:3] offset:24 glc
	s_waitcnt vmcnt(0)
	v_cmp_eq_u64_e32 vcc_lo, v[8:9], v[15:16]
	v_dual_mov_b32 v16, v9 :: v_dual_mov_b32 v15, v8
	s_or_b32 s0, vcc_lo, s0
	s_delay_alu instid0(SALU_CYCLE_1)
	s_and_not1_b32 exec_lo, exec_lo, s0
	s_cbranch_execnz .LBB1_219
	s_branch .LBB1_144
.LBB1_220:
                                        ; implicit-def: $vgpr6_vgpr7
	s_cbranch_execnz .LBB1_222
	s_branch .LBB1_249
.LBB1_221:
	s_branch .LBB1_249
.LBB1_222:
	v_readfirstlane_b32 s0, v35
	v_mov_b32_e32 v10, 0
	v_mov_b32_e32 v11, 0
	s_delay_alu instid0(VALU_DEP_3) | instskip(NEXT) | instid1(VALU_DEP_1)
	v_cmp_eq_u32_e64 s0, s0, v35
	s_and_saveexec_b32 s1, s0
	s_cbranch_execz .LBB1_228
; %bb.223:
	s_waitcnt vmcnt(0)
	v_mov_b32_e32 v2, 0
	s_mov_b32 s4, exec_lo
	global_load_b64 v[8:9], v2, s[2:3] offset:24 glc
	s_waitcnt vmcnt(0)
	buffer_gl1_inv
	buffer_gl0_inv
	s_clause 0x1
	global_load_b64 v[6:7], v2, s[2:3] offset:40
	global_load_b64 v[10:11], v2, s[2:3]
	s_waitcnt vmcnt(1)
	v_and_b32_e32 v3, v7, v9
	v_and_b32_e32 v6, v6, v8
	s_delay_alu instid0(VALU_DEP_2) | instskip(NEXT) | instid1(VALU_DEP_2)
	v_mul_lo_u32 v3, v3, 24
	v_mul_hi_u32 v7, v6, 24
	v_mul_lo_u32 v6, v6, 24
	s_delay_alu instid0(VALU_DEP_2) | instskip(SKIP_1) | instid1(VALU_DEP_2)
	v_add_nc_u32_e32 v3, v7, v3
	s_waitcnt vmcnt(0)
	v_add_co_u32 v6, vcc_lo, v10, v6
	s_delay_alu instid0(VALU_DEP_2)
	v_add_co_ci_u32_e32 v7, vcc_lo, v11, v3, vcc_lo
	global_load_b64 v[6:7], v[6:7], off glc
	s_waitcnt vmcnt(0)
	global_atomic_cmpswap_b64 v[10:11], v2, v[6:9], s[2:3] offset:24 glc
	s_waitcnt vmcnt(0)
	buffer_gl1_inv
	buffer_gl0_inv
	v_cmpx_ne_u64_e64 v[10:11], v[8:9]
	s_cbranch_execz .LBB1_227
; %bb.224:
	s_mov_b32 s5, 0
	.p2align	6
.LBB1_225:                              ; =>This Inner Loop Header: Depth=1
	s_sleep 1
	s_clause 0x1
	global_load_b64 v[6:7], v2, s[2:3] offset:40
	global_load_b64 v[12:13], v2, s[2:3]
	v_dual_mov_b32 v8, v10 :: v_dual_mov_b32 v9, v11
	s_waitcnt vmcnt(1)
	s_delay_alu instid0(VALU_DEP_1) | instskip(SKIP_1) | instid1(VALU_DEP_1)
	v_and_b32_e32 v3, v6, v8
	s_waitcnt vmcnt(0)
	v_mad_u64_u32 v[10:11], null, v3, 24, v[12:13]
	v_and_b32_e32 v12, v7, v9
	s_delay_alu instid0(VALU_DEP_2) | instskip(NEXT) | instid1(VALU_DEP_1)
	v_mov_b32_e32 v3, v11
	v_mad_u64_u32 v[6:7], null, v12, 24, v[3:4]
	s_delay_alu instid0(VALU_DEP_1)
	v_mov_b32_e32 v11, v6
	global_load_b64 v[6:7], v[10:11], off glc
	s_waitcnt vmcnt(0)
	global_atomic_cmpswap_b64 v[10:11], v2, v[6:9], s[2:3] offset:24 glc
	s_waitcnt vmcnt(0)
	buffer_gl1_inv
	buffer_gl0_inv
	v_cmp_eq_u64_e32 vcc_lo, v[10:11], v[8:9]
	s_or_b32 s5, vcc_lo, s5
	s_delay_alu instid0(SALU_CYCLE_1)
	s_and_not1_b32 exec_lo, exec_lo, s5
	s_cbranch_execnz .LBB1_225
; %bb.226:
	s_or_b32 exec_lo, exec_lo, s5
.LBB1_227:
	s_delay_alu instid0(SALU_CYCLE_1)
	s_or_b32 exec_lo, exec_lo, s4
.LBB1_228:
	s_delay_alu instid0(SALU_CYCLE_1)
	s_or_b32 exec_lo, exec_lo, s1
	s_waitcnt vmcnt(0)
	v_mov_b32_e32 v2, 0
	v_readfirstlane_b32 s4, v10
	v_readfirstlane_b32 s5, v11
	s_mov_b32 s1, exec_lo
	s_clause 0x1
	global_load_b64 v[12:13], v2, s[2:3] offset:40
	global_load_b128 v[6:9], v2, s[2:3]
	s_waitcnt vmcnt(1)
	v_readfirstlane_b32 s6, v12
	v_readfirstlane_b32 s7, v13
	s_delay_alu instid0(VALU_DEP_1) | instskip(NEXT) | instid1(SALU_CYCLE_1)
	s_and_b64 s[6:7], s[4:5], s[6:7]
	s_mul_i32 s10, s7, 24
	s_mul_hi_u32 s11, s6, 24
	s_mul_i32 s12, s6, 24
	s_add_i32 s11, s11, s10
	s_waitcnt vmcnt(0)
	v_add_co_u32 v10, vcc_lo, v6, s12
	v_add_co_ci_u32_e32 v11, vcc_lo, s11, v7, vcc_lo
	s_and_saveexec_b32 s10, s0
	s_cbranch_execz .LBB1_230
; %bb.229:
	v_dual_mov_b32 v12, s1 :: v_dual_mov_b32 v13, v2
	v_dual_mov_b32 v14, 2 :: v_dual_mov_b32 v15, 1
	global_store_b128 v[10:11], v[12:15], off offset:8
.LBB1_230:
	s_or_b32 exec_lo, exec_lo, s10
	s_lshl_b64 s[6:7], s[6:7], 12
	s_mov_b32 s12, 0
	v_add_co_u32 v8, vcc_lo, v8, s6
	v_add_co_ci_u32_e32 v9, vcc_lo, s7, v9, vcc_lo
	s_mov_b32 s13, s12
	s_delay_alu instid0(VALU_DEP_2)
	v_readfirstlane_b32 s6, v8
	v_add_co_u32 v8, vcc_lo, v8, v34
	s_mov_b32 s14, s12
	s_mov_b32 s15, s12
	v_and_or_b32 v0, 0xffffff1f, v0, 32
	v_dual_mov_b32 v3, v2 :: v_dual_mov_b32 v12, s12
	v_readfirstlane_b32 s7, v9
	v_add_co_ci_u32_e32 v9, vcc_lo, 0, v9, vcc_lo
	v_dual_mov_b32 v13, s13 :: v_dual_mov_b32 v14, s14
	v_mov_b32_e32 v15, s15
	s_clause 0x3
	global_store_b128 v34, v[0:3], s[6:7]
	global_store_b128 v34, v[12:15], s[6:7] offset:16
	global_store_b128 v34, v[12:15], s[6:7] offset:32
	;; [unrolled: 1-line block ×3, first 2 shown]
	s_and_saveexec_b32 s1, s0
	s_cbranch_execz .LBB1_238
; %bb.231:
	v_dual_mov_b32 v12, 0 :: v_dual_mov_b32 v13, s4
	v_mov_b32_e32 v14, s5
	s_clause 0x1
	global_load_b64 v[15:16], v12, s[2:3] offset:32 glc
	global_load_b64 v[0:1], v12, s[2:3] offset:40
	s_waitcnt vmcnt(0)
	v_readfirstlane_b32 s6, v0
	v_readfirstlane_b32 s7, v1
	s_delay_alu instid0(VALU_DEP_1) | instskip(NEXT) | instid1(SALU_CYCLE_1)
	s_and_b64 s[6:7], s[6:7], s[4:5]
	s_mul_i32 s7, s7, 24
	s_mul_hi_u32 s10, s6, 24
	s_mul_i32 s6, s6, 24
	s_add_i32 s10, s10, s7
	v_add_co_u32 v6, vcc_lo, v6, s6
	v_add_co_ci_u32_e32 v7, vcc_lo, s10, v7, vcc_lo
	s_mov_b32 s6, exec_lo
	global_store_b64 v[6:7], v[15:16], off
	s_waitcnt_vscnt null, 0x0
	global_atomic_cmpswap_b64 v[2:3], v12, v[13:16], s[2:3] offset:32 glc
	s_waitcnt vmcnt(0)
	v_cmpx_ne_u64_e64 v[2:3], v[15:16]
	s_cbranch_execz .LBB1_234
; %bb.232:
	s_mov_b32 s7, 0
.LBB1_233:                              ; =>This Inner Loop Header: Depth=1
	v_dual_mov_b32 v0, s4 :: v_dual_mov_b32 v1, s5
	s_sleep 1
	global_store_b64 v[6:7], v[2:3], off
	s_waitcnt_vscnt null, 0x0
	global_atomic_cmpswap_b64 v[0:1], v12, v[0:3], s[2:3] offset:32 glc
	s_waitcnt vmcnt(0)
	v_cmp_eq_u64_e32 vcc_lo, v[0:1], v[2:3]
	v_dual_mov_b32 v3, v1 :: v_dual_mov_b32 v2, v0
	s_or_b32 s7, vcc_lo, s7
	s_delay_alu instid0(SALU_CYCLE_1)
	s_and_not1_b32 exec_lo, exec_lo, s7
	s_cbranch_execnz .LBB1_233
.LBB1_234:
	s_or_b32 exec_lo, exec_lo, s6
	v_mov_b32_e32 v3, 0
	s_mov_b32 s7, exec_lo
	s_mov_b32 s6, exec_lo
	v_mbcnt_lo_u32_b32 v2, s7, 0
	global_load_b64 v[0:1], v3, s[2:3] offset:16
	v_cmpx_eq_u32_e32 0, v2
	s_cbranch_execz .LBB1_236
; %bb.235:
	s_bcnt1_i32_b32 s7, s7
	s_delay_alu instid0(SALU_CYCLE_1)
	v_mov_b32_e32 v2, s7
	s_waitcnt vmcnt(0)
	global_atomic_add_u64 v[0:1], v[2:3], off offset:8
.LBB1_236:
	s_or_b32 exec_lo, exec_lo, s6
	s_waitcnt vmcnt(0)
	global_load_b64 v[2:3], v[0:1], off offset:16
	s_waitcnt vmcnt(0)
	v_cmp_eq_u64_e32 vcc_lo, 0, v[2:3]
	s_cbranch_vccnz .LBB1_238
; %bb.237:
	global_load_b32 v0, v[0:1], off offset:24
	s_waitcnt vmcnt(0)
	v_dual_mov_b32 v1, 0 :: v_dual_and_b32 v6, 0xffffff, v0
	s_waitcnt_vscnt null, 0x0
	global_store_b64 v[2:3], v[0:1], off
	v_readfirstlane_b32 m0, v6
	s_sendmsg sendmsg(MSG_INTERRUPT)
.LBB1_238:
	s_or_b32 exec_lo, exec_lo, s1
	s_branch .LBB1_242
	.p2align	6
.LBB1_239:                              ;   in Loop: Header=BB1_242 Depth=1
	s_or_b32 exec_lo, exec_lo, s1
	s_delay_alu instid0(VALU_DEP_1) | instskip(NEXT) | instid1(VALU_DEP_1)
	v_readfirstlane_b32 s1, v0
	s_cmp_eq_u32 s1, 0
	s_cbranch_scc1 .LBB1_241
; %bb.240:                              ;   in Loop: Header=BB1_242 Depth=1
	s_sleep 1
	s_cbranch_execnz .LBB1_242
	s_branch .LBB1_244
	.p2align	6
.LBB1_241:
	s_branch .LBB1_244
.LBB1_242:                              ; =>This Inner Loop Header: Depth=1
	v_mov_b32_e32 v0, 1
	s_and_saveexec_b32 s1, s0
	s_cbranch_execz .LBB1_239
; %bb.243:                              ;   in Loop: Header=BB1_242 Depth=1
	global_load_b32 v0, v[10:11], off offset:20 glc
	s_waitcnt vmcnt(0)
	buffer_gl1_inv
	buffer_gl0_inv
	v_and_b32_e32 v0, 1, v0
	s_branch .LBB1_239
.LBB1_244:
	global_load_b64 v[6:7], v[8:9], off
	s_and_saveexec_b32 s1, s0
	s_cbranch_execz .LBB1_248
; %bb.245:
	v_mov_b32_e32 v10, 0
	s_clause 0x2
	global_load_b64 v[2:3], v10, s[2:3] offset:40
	global_load_b64 v[11:12], v10, s[2:3] offset:24 glc
	global_load_b64 v[8:9], v10, s[2:3]
	s_waitcnt vmcnt(2)
	v_add_co_u32 v13, vcc_lo, v2, 1
	v_add_co_ci_u32_e32 v14, vcc_lo, 0, v3, vcc_lo
	s_delay_alu instid0(VALU_DEP_2) | instskip(NEXT) | instid1(VALU_DEP_2)
	v_add_co_u32 v0, vcc_lo, v13, s4
	v_add_co_ci_u32_e32 v1, vcc_lo, s5, v14, vcc_lo
	s_delay_alu instid0(VALU_DEP_1) | instskip(SKIP_1) | instid1(VALU_DEP_1)
	v_cmp_eq_u64_e32 vcc_lo, 0, v[0:1]
	v_dual_cndmask_b32 v1, v1, v14 :: v_dual_cndmask_b32 v0, v0, v13
	v_and_b32_e32 v3, v1, v3
	s_delay_alu instid0(VALU_DEP_2) | instskip(NEXT) | instid1(VALU_DEP_2)
	v_and_b32_e32 v2, v0, v2
	v_mul_lo_u32 v3, v3, 24
	s_delay_alu instid0(VALU_DEP_2) | instskip(SKIP_1) | instid1(VALU_DEP_2)
	v_mul_hi_u32 v13, v2, 24
	v_mul_lo_u32 v2, v2, 24
	v_add_nc_u32_e32 v3, v13, v3
	s_waitcnt vmcnt(0)
	s_delay_alu instid0(VALU_DEP_2) | instskip(SKIP_1) | instid1(VALU_DEP_3)
	v_add_co_u32 v8, vcc_lo, v8, v2
	v_mov_b32_e32 v2, v11
	v_add_co_ci_u32_e32 v9, vcc_lo, v9, v3, vcc_lo
	v_mov_b32_e32 v3, v12
	global_store_b64 v[8:9], v[11:12], off
	s_waitcnt_vscnt null, 0x0
	global_atomic_cmpswap_b64 v[2:3], v10, v[0:3], s[2:3] offset:24 glc
	s_waitcnt vmcnt(0)
	v_cmp_ne_u64_e32 vcc_lo, v[2:3], v[11:12]
	s_and_b32 exec_lo, exec_lo, vcc_lo
	s_cbranch_execz .LBB1_248
; %bb.246:
	s_mov_b32 s0, 0
.LBB1_247:                              ; =>This Inner Loop Header: Depth=1
	s_sleep 1
	global_store_b64 v[8:9], v[2:3], off
	s_waitcnt_vscnt null, 0x0
	global_atomic_cmpswap_b64 v[11:12], v10, v[0:3], s[2:3] offset:24 glc
	s_waitcnt vmcnt(0)
	v_cmp_eq_u64_e32 vcc_lo, v[11:12], v[2:3]
	v_dual_mov_b32 v2, v11 :: v_dual_mov_b32 v3, v12
	s_or_b32 s0, vcc_lo, s0
	s_delay_alu instid0(SALU_CYCLE_1)
	s_and_not1_b32 exec_lo, exec_lo, s0
	s_cbranch_execnz .LBB1_247
.LBB1_248:
	s_or_b32 exec_lo, exec_lo, s1
.LBB1_249:
	v_readfirstlane_b32 s0, v35
	v_mov_b32_e32 v10, 0
	v_mov_b32_e32 v11, 0
	s_delay_alu instid0(VALU_DEP_3) | instskip(NEXT) | instid1(VALU_DEP_1)
	v_cmp_eq_u32_e64 s0, s0, v35
	s_and_saveexec_b32 s1, s0
	s_cbranch_execz .LBB1_255
; %bb.250:
	s_waitcnt vmcnt(0)
	v_mov_b32_e32 v0, 0
	s_mov_b32 s4, exec_lo
	global_load_b64 v[12:13], v0, s[2:3] offset:24 glc
	s_waitcnt vmcnt(0)
	buffer_gl1_inv
	buffer_gl0_inv
	s_clause 0x1
	global_load_b64 v[1:2], v0, s[2:3] offset:40
	global_load_b64 v[8:9], v0, s[2:3]
	s_waitcnt vmcnt(1)
	v_and_b32_e32 v1, v1, v12
	v_and_b32_e32 v2, v2, v13
	s_delay_alu instid0(VALU_DEP_2) | instskip(NEXT) | instid1(VALU_DEP_2)
	v_mul_hi_u32 v3, v1, 24
	v_mul_lo_u32 v2, v2, 24
	v_mul_lo_u32 v1, v1, 24
	s_delay_alu instid0(VALU_DEP_2) | instskip(SKIP_1) | instid1(VALU_DEP_2)
	v_add_nc_u32_e32 v2, v3, v2
	s_waitcnt vmcnt(0)
	v_add_co_u32 v1, vcc_lo, v8, v1
	s_delay_alu instid0(VALU_DEP_2)
	v_add_co_ci_u32_e32 v2, vcc_lo, v9, v2, vcc_lo
	global_load_b64 v[10:11], v[1:2], off glc
	s_waitcnt vmcnt(0)
	global_atomic_cmpswap_b64 v[10:11], v0, v[10:13], s[2:3] offset:24 glc
	s_waitcnt vmcnt(0)
	buffer_gl1_inv
	buffer_gl0_inv
	v_cmpx_ne_u64_e64 v[10:11], v[12:13]
	s_cbranch_execz .LBB1_254
; %bb.251:
	s_mov_b32 s5, 0
	.p2align	6
.LBB1_252:                              ; =>This Inner Loop Header: Depth=1
	s_sleep 1
	s_clause 0x1
	global_load_b64 v[1:2], v0, s[2:3] offset:40
	global_load_b64 v[8:9], v0, s[2:3]
	v_dual_mov_b32 v13, v11 :: v_dual_mov_b32 v12, v10
	s_waitcnt vmcnt(1)
	s_delay_alu instid0(VALU_DEP_1) | instskip(SKIP_1) | instid1(VALU_DEP_1)
	v_and_b32_e32 v1, v1, v12
	s_waitcnt vmcnt(0)
	v_mad_u64_u32 v[10:11], null, v1, 24, v[8:9]
	s_delay_alu instid0(VALU_DEP_1) | instskip(NEXT) | instid1(VALU_DEP_1)
	v_dual_mov_b32 v1, v11 :: v_dual_and_b32 v8, v2, v13
	v_mad_u64_u32 v[2:3], null, v8, 24, v[1:2]
	s_delay_alu instid0(VALU_DEP_1)
	v_mov_b32_e32 v11, v2
	global_load_b64 v[10:11], v[10:11], off glc
	s_waitcnt vmcnt(0)
	global_atomic_cmpswap_b64 v[10:11], v0, v[10:13], s[2:3] offset:24 glc
	s_waitcnt vmcnt(0)
	buffer_gl1_inv
	buffer_gl0_inv
	v_cmp_eq_u64_e32 vcc_lo, v[10:11], v[12:13]
	s_or_b32 s5, vcc_lo, s5
	s_delay_alu instid0(SALU_CYCLE_1)
	s_and_not1_b32 exec_lo, exec_lo, s5
	s_cbranch_execnz .LBB1_252
; %bb.253:
	s_or_b32 exec_lo, exec_lo, s5
.LBB1_254:
	s_delay_alu instid0(SALU_CYCLE_1)
	s_or_b32 exec_lo, exec_lo, s4
.LBB1_255:
	s_delay_alu instid0(SALU_CYCLE_1)
	s_or_b32 exec_lo, exec_lo, s1
	s_waitcnt vmcnt(0)
	v_mov_b32_e32 v9, 0
	v_readfirstlane_b32 s4, v10
	v_readfirstlane_b32 s5, v11
	s_mov_b32 s1, exec_lo
	s_clause 0x1
	global_load_b64 v[12:13], v9, s[2:3] offset:40
	global_load_b128 v[0:3], v9, s[2:3]
	s_waitcnt vmcnt(1)
	v_readfirstlane_b32 s6, v12
	v_readfirstlane_b32 s7, v13
	s_delay_alu instid0(VALU_DEP_1) | instskip(NEXT) | instid1(SALU_CYCLE_1)
	s_and_b64 s[6:7], s[4:5], s[6:7]
	s_mul_i32 s10, s7, 24
	s_mul_hi_u32 s11, s6, 24
	s_mul_i32 s12, s6, 24
	s_add_i32 s11, s11, s10
	s_waitcnt vmcnt(0)
	v_add_co_u32 v10, vcc_lo, v0, s12
	v_add_co_ci_u32_e32 v11, vcc_lo, s11, v1, vcc_lo
	s_and_saveexec_b32 s10, s0
	s_cbranch_execz .LBB1_257
; %bb.256:
	v_dual_mov_b32 v8, s1 :: v_dual_mov_b32 v15, 1
	v_dual_mov_b32 v14, 2 :: v_dual_mov_b32 v13, v9
	s_delay_alu instid0(VALU_DEP_2)
	v_mov_b32_e32 v12, v8
	global_store_b128 v[10:11], v[12:15], off offset:8
.LBB1_257:
	s_or_b32 exec_lo, exec_lo, s10
	s_lshl_b64 s[6:7], s[6:7], 12
	s_mov_b32 s12, 0
	v_add_co_u32 v2, vcc_lo, v2, s6
	v_add_co_ci_u32_e32 v3, vcc_lo, s7, v3, vcc_lo
	s_mov_b32 s15, s12
	s_delay_alu instid0(VALU_DEP_2)
	v_add_co_u32 v12, vcc_lo, v2, v34
	s_mov_b32 s13, s12
	s_mov_b32 s14, s12
	v_and_or_b32 v6, 0xffffff1f, v6, 32
	v_dual_mov_b32 v8, 0x331 :: v_dual_mov_b32 v17, s15
	v_readfirstlane_b32 s6, v2
	v_readfirstlane_b32 s7, v3
	v_add_co_ci_u32_e32 v13, vcc_lo, 0, v3, vcc_lo
	v_dual_mov_b32 v16, s14 :: v_dual_mov_b32 v15, s13
	v_mov_b32_e32 v14, s12
	s_clause 0x3
	global_store_b128 v34, v[6:9], s[6:7]
	global_store_b128 v34, v[14:17], s[6:7] offset:16
	global_store_b128 v34, v[14:17], s[6:7] offset:32
	;; [unrolled: 1-line block ×3, first 2 shown]
	s_and_saveexec_b32 s1, s0
	s_cbranch_execz .LBB1_265
; %bb.258:
	v_dual_mov_b32 v8, 0 :: v_dual_mov_b32 v15, s5
	v_mov_b32_e32 v14, s4
	s_clause 0x1
	global_load_b64 v[16:17], v8, s[2:3] offset:32 glc
	global_load_b64 v[2:3], v8, s[2:3] offset:40
	s_waitcnt vmcnt(0)
	v_readfirstlane_b32 s6, v2
	v_readfirstlane_b32 s7, v3
	s_delay_alu instid0(VALU_DEP_1) | instskip(NEXT) | instid1(SALU_CYCLE_1)
	s_and_b64 s[6:7], s[6:7], s[4:5]
	s_mul_i32 s7, s7, 24
	s_mul_hi_u32 s10, s6, 24
	s_mul_i32 s6, s6, 24
	s_add_i32 s10, s10, s7
	v_add_co_u32 v6, vcc_lo, v0, s6
	v_add_co_ci_u32_e32 v7, vcc_lo, s10, v1, vcc_lo
	s_mov_b32 s6, exec_lo
	global_store_b64 v[6:7], v[16:17], off
	s_waitcnt_vscnt null, 0x0
	global_atomic_cmpswap_b64 v[2:3], v8, v[14:17], s[2:3] offset:32 glc
	s_waitcnt vmcnt(0)
	v_cmpx_ne_u64_e64 v[2:3], v[16:17]
	s_cbranch_execz .LBB1_261
; %bb.259:
	s_mov_b32 s7, 0
.LBB1_260:                              ; =>This Inner Loop Header: Depth=1
	v_dual_mov_b32 v0, s4 :: v_dual_mov_b32 v1, s5
	s_sleep 1
	global_store_b64 v[6:7], v[2:3], off
	s_waitcnt_vscnt null, 0x0
	global_atomic_cmpswap_b64 v[0:1], v8, v[0:3], s[2:3] offset:32 glc
	s_waitcnt vmcnt(0)
	v_cmp_eq_u64_e32 vcc_lo, v[0:1], v[2:3]
	v_dual_mov_b32 v3, v1 :: v_dual_mov_b32 v2, v0
	s_or_b32 s7, vcc_lo, s7
	s_delay_alu instid0(SALU_CYCLE_1)
	s_and_not1_b32 exec_lo, exec_lo, s7
	s_cbranch_execnz .LBB1_260
.LBB1_261:
	s_or_b32 exec_lo, exec_lo, s6
	v_mov_b32_e32 v3, 0
	s_mov_b32 s7, exec_lo
	s_mov_b32 s6, exec_lo
	v_mbcnt_lo_u32_b32 v2, s7, 0
	global_load_b64 v[0:1], v3, s[2:3] offset:16
	v_cmpx_eq_u32_e32 0, v2
	s_cbranch_execz .LBB1_263
; %bb.262:
	s_bcnt1_i32_b32 s7, s7
	s_delay_alu instid0(SALU_CYCLE_1)
	v_mov_b32_e32 v2, s7
	s_waitcnt vmcnt(0)
	global_atomic_add_u64 v[0:1], v[2:3], off offset:8
.LBB1_263:
	s_or_b32 exec_lo, exec_lo, s6
	s_waitcnt vmcnt(0)
	global_load_b64 v[2:3], v[0:1], off offset:16
	s_waitcnt vmcnt(0)
	v_cmp_eq_u64_e32 vcc_lo, 0, v[2:3]
	s_cbranch_vccnz .LBB1_265
; %bb.264:
	global_load_b32 v0, v[0:1], off offset:24
	s_waitcnt vmcnt(0)
	v_dual_mov_b32 v1, 0 :: v_dual_and_b32 v6, 0xffffff, v0
	s_waitcnt_vscnt null, 0x0
	global_store_b64 v[2:3], v[0:1], off
	v_readfirstlane_b32 m0, v6
	s_sendmsg sendmsg(MSG_INTERRUPT)
.LBB1_265:
	s_or_b32 exec_lo, exec_lo, s1
	s_branch .LBB1_269
	.p2align	6
.LBB1_266:                              ;   in Loop: Header=BB1_269 Depth=1
	s_or_b32 exec_lo, exec_lo, s1
	s_delay_alu instid0(VALU_DEP_1) | instskip(NEXT) | instid1(VALU_DEP_1)
	v_readfirstlane_b32 s1, v0
	s_cmp_eq_u32 s1, 0
	s_cbranch_scc1 .LBB1_268
; %bb.267:                              ;   in Loop: Header=BB1_269 Depth=1
	s_sleep 1
	s_cbranch_execnz .LBB1_269
	s_branch .LBB1_271
	.p2align	6
.LBB1_268:
	s_branch .LBB1_271
.LBB1_269:                              ; =>This Inner Loop Header: Depth=1
	v_mov_b32_e32 v0, 1
	s_and_saveexec_b32 s1, s0
	s_cbranch_execz .LBB1_266
; %bb.270:                              ;   in Loop: Header=BB1_269 Depth=1
	global_load_b32 v0, v[10:11], off offset:20 glc
	s_waitcnt vmcnt(0)
	buffer_gl1_inv
	buffer_gl0_inv
	v_and_b32_e32 v0, 1, v0
	s_branch .LBB1_266
.LBB1_271:
	global_load_b64 v[0:1], v[12:13], off
	s_and_saveexec_b32 s1, s0
	s_cbranch_execz .LBB1_275
; %bb.272:
	v_mov_b32_e32 v10, 0
	s_clause 0x2
	global_load_b64 v[2:3], v10, s[2:3] offset:40
	global_load_b64 v[11:12], v10, s[2:3] offset:24 glc
	global_load_b64 v[8:9], v10, s[2:3]
	s_waitcnt vmcnt(2)
	v_add_co_u32 v13, vcc_lo, v2, 1
	v_add_co_ci_u32_e32 v14, vcc_lo, 0, v3, vcc_lo
	s_delay_alu instid0(VALU_DEP_2) | instskip(NEXT) | instid1(VALU_DEP_2)
	v_add_co_u32 v6, vcc_lo, v13, s4
	v_add_co_ci_u32_e32 v7, vcc_lo, s5, v14, vcc_lo
	s_delay_alu instid0(VALU_DEP_1) | instskip(SKIP_1) | instid1(VALU_DEP_1)
	v_cmp_eq_u64_e32 vcc_lo, 0, v[6:7]
	v_dual_cndmask_b32 v7, v7, v14 :: v_dual_cndmask_b32 v6, v6, v13
	v_and_b32_e32 v3, v7, v3
	s_delay_alu instid0(VALU_DEP_2) | instskip(NEXT) | instid1(VALU_DEP_2)
	v_and_b32_e32 v2, v6, v2
	v_mul_lo_u32 v3, v3, 24
	s_delay_alu instid0(VALU_DEP_2) | instskip(SKIP_1) | instid1(VALU_DEP_2)
	v_mul_hi_u32 v13, v2, 24
	v_mul_lo_u32 v2, v2, 24
	v_add_nc_u32_e32 v3, v13, v3
	s_waitcnt vmcnt(0)
	s_delay_alu instid0(VALU_DEP_2) | instskip(SKIP_1) | instid1(VALU_DEP_3)
	v_add_co_u32 v2, vcc_lo, v8, v2
	v_mov_b32_e32 v8, v11
	v_add_co_ci_u32_e32 v3, vcc_lo, v9, v3, vcc_lo
	v_mov_b32_e32 v9, v12
	global_store_b64 v[2:3], v[11:12], off
	s_waitcnt_vscnt null, 0x0
	global_atomic_cmpswap_b64 v[8:9], v10, v[6:9], s[2:3] offset:24 glc
	s_waitcnt vmcnt(0)
	v_cmp_ne_u64_e32 vcc_lo, v[8:9], v[11:12]
	s_and_b32 exec_lo, exec_lo, vcc_lo
	s_cbranch_execz .LBB1_275
; %bb.273:
	s_mov_b32 s0, 0
.LBB1_274:                              ; =>This Inner Loop Header: Depth=1
	s_sleep 1
	global_store_b64 v[2:3], v[8:9], off
	s_waitcnt_vscnt null, 0x0
	global_atomic_cmpswap_b64 v[11:12], v10, v[6:9], s[2:3] offset:24 glc
	s_waitcnt vmcnt(0)
	v_cmp_eq_u64_e32 vcc_lo, v[11:12], v[8:9]
	v_dual_mov_b32 v8, v11 :: v_dual_mov_b32 v9, v12
	s_or_b32 s0, vcc_lo, s0
	s_delay_alu instid0(SALU_CYCLE_1)
	s_and_not1_b32 exec_lo, exec_lo, s0
	s_cbranch_execnz .LBB1_274
.LBB1_275:
	s_or_b32 exec_lo, exec_lo, s1
	v_dual_mov_b32 v7, v5 :: v_dual_mov_b32 v6, v4
	s_mov_b32 s0, 0
.LBB1_276:                              ; =>This Inner Loop Header: Depth=1
	flat_load_u8 v8, v[6:7]
	v_add_co_u32 v2, vcc_lo, v6, 1
	v_add_co_ci_u32_e32 v3, vcc_lo, 0, v7, vcc_lo
	s_delay_alu instid0(VALU_DEP_1) | instskip(SKIP_3) | instid1(SALU_CYCLE_1)
	v_dual_mov_b32 v7, v3 :: v_dual_mov_b32 v6, v2
	s_waitcnt vmcnt(0) lgkmcnt(0)
	v_cmp_eq_u16_e32 vcc_lo, 0, v8
	s_or_b32 s0, vcc_lo, s0
	s_and_not1_b32 exec_lo, exec_lo, s0
	s_cbranch_execnz .LBB1_276
; %bb.277:
	s_or_b32 exec_lo, exec_lo, s0
	s_delay_alu instid0(SALU_CYCLE_1)
	s_mov_b32 s0, exec_lo
	v_cmpx_ne_u64_e32 0, v[4:5]
	s_xor_b32 s10, exec_lo, s0
	s_cbranch_execz .LBB1_363
; %bb.278:
	v_sub_nc_u32_e32 v26, v2, v4
	v_dual_mov_b32 v7, 0 :: v_dual_and_b32 v32, 2, v0
	v_dual_mov_b32 v9, 1 :: v_dual_and_b32 v0, -3, v0
	v_mov_b32_e32 v8, 2
	s_delay_alu instid0(VALU_DEP_4)
	v_ashrrev_i32_e32 v27, 31, v26
	s_mov_b32 s12, 0
	s_mov_b32 s11, 0
	s_branch .LBB1_280
.LBB1_279:                              ;   in Loop: Header=BB1_280 Depth=1
	s_or_b32 exec_lo, exec_lo, s1
	v_sub_co_u32 v26, vcc_lo, v26, v28
	v_sub_co_ci_u32_e32 v27, vcc_lo, v27, v29, vcc_lo
	v_add_co_u32 v4, s0, v4, v28
	s_delay_alu instid0(VALU_DEP_1) | instskip(NEXT) | instid1(VALU_DEP_3)
	v_add_co_ci_u32_e64 v5, s0, v5, v29, s0
	v_cmp_eq_u64_e32 vcc_lo, 0, v[26:27]
	s_or_b32 s11, vcc_lo, s11
	s_delay_alu instid0(SALU_CYCLE_1)
	s_and_not1_b32 exec_lo, exec_lo, s11
	s_cbranch_execz .LBB1_362
.LBB1_280:                              ; =>This Loop Header: Depth=1
                                        ;     Child Loop BB1_283 Depth 2
                                        ;     Child Loop BB1_291 Depth 2
	;; [unrolled: 1-line block ×11, first 2 shown]
	s_delay_alu instid0(VALU_DEP_1)
	v_cmp_gt_u64_e32 vcc_lo, 56, v[26:27]
	s_mov_b32 s1, exec_lo
                                        ; implicit-def: $vgpr2_vgpr3
                                        ; implicit-def: $sgpr4
	v_dual_cndmask_b32 v29, 0, v27 :: v_dual_cndmask_b32 v28, 56, v26
	v_cmpx_gt_u64_e32 8, v[26:27]
	s_xor_b32 s1, exec_lo, s1
	s_cbranch_execz .LBB1_286
; %bb.281:                              ;   in Loop: Header=BB1_280 Depth=1
	s_waitcnt vmcnt(0)
	v_mov_b32_e32 v2, 0
	v_mov_b32_e32 v3, 0
	s_mov_b64 s[4:5], 0
	s_mov_b32 s6, exec_lo
	v_cmpx_ne_u64_e32 0, v[26:27]
	s_cbranch_execz .LBB1_285
; %bb.282:                              ;   in Loop: Header=BB1_280 Depth=1
	v_lshlrev_b64 v[10:11], 3, v[28:29]
	v_mov_b32_e32 v2, 0
	v_dual_mov_b32 v3, 0 :: v_dual_mov_b32 v12, v5
	v_mov_b32_e32 v11, v4
	s_mov_b32 s7, 0
	.p2align	6
.LBB1_283:                              ;   Parent Loop BB1_280 Depth=1
                                        ; =>  This Inner Loop Header: Depth=2
	flat_load_u8 v6, v[11:12]
	v_mov_b32_e32 v14, s12
	v_add_co_u32 v11, vcc_lo, v11, 1
	v_add_co_ci_u32_e32 v12, vcc_lo, 0, v12, vcc_lo
	s_waitcnt vmcnt(0) lgkmcnt(0)
	v_and_b32_e32 v13, 0xffff, v6
	s_delay_alu instid0(VALU_DEP_1) | instskip(SKIP_3) | instid1(VALU_DEP_2)
	v_lshlrev_b64 v[13:14], s4, v[13:14]
	s_add_u32 s4, s4, 8
	s_addc_u32 s5, s5, 0
	v_cmp_eq_u32_e64 s0, s4, v10
	v_or_b32_e32 v3, v14, v3
	s_delay_alu instid0(VALU_DEP_3) | instskip(NEXT) | instid1(VALU_DEP_3)
	v_or_b32_e32 v2, v13, v2
	s_or_b32 s7, s0, s7
	s_delay_alu instid0(SALU_CYCLE_1)
	s_and_not1_b32 exec_lo, exec_lo, s7
	s_cbranch_execnz .LBB1_283
; %bb.284:                              ;   in Loop: Header=BB1_280 Depth=1
	s_or_b32 exec_lo, exec_lo, s7
.LBB1_285:                              ;   in Loop: Header=BB1_280 Depth=1
	s_delay_alu instid0(SALU_CYCLE_1)
	s_or_b32 exec_lo, exec_lo, s6
	s_mov_b32 s4, 0
.LBB1_286:                              ;   in Loop: Header=BB1_280 Depth=1
	s_or_saveexec_b32 s0, s1
	v_dual_mov_b32 v6, s4 :: v_dual_mov_b32 v23, v5
	v_mov_b32_e32 v22, v4
	s_xor_b32 exec_lo, exec_lo, s0
	s_cbranch_execz .LBB1_288
; %bb.287:                              ;   in Loop: Header=BB1_280 Depth=1
	s_waitcnt vmcnt(0)
	flat_load_b64 v[2:3], v[4:5]
	v_add_co_u32 v22, vcc_lo, v4, 8
	v_add_co_ci_u32_e32 v23, vcc_lo, 0, v5, vcc_lo
	s_waitcnt vmcnt(0) lgkmcnt(0)
	v_and_b32_e32 v6, 0xff, v3
	v_and_b32_e32 v10, 0xff00, v3
	;; [unrolled: 1-line block ×4, first 2 shown]
	v_or3_b32 v2, v2, 0, 0
	s_delay_alu instid0(VALU_DEP_4) | instskip(SKIP_1) | instid1(VALU_DEP_2)
	v_or_b32_e32 v10, v6, v10
	v_add_nc_u32_e32 v6, -8, v28
	v_or3_b32 v3, v10, v11, v3
.LBB1_288:                              ;   in Loop: Header=BB1_280 Depth=1
	s_or_b32 exec_lo, exec_lo, s0
                                        ; implicit-def: $vgpr10_vgpr11
                                        ; implicit-def: $sgpr1
	s_delay_alu instid0(SALU_CYCLE_1) | instskip(NEXT) | instid1(VALU_DEP_2)
	s_mov_b32 s0, exec_lo
	v_cmpx_gt_u32_e32 8, v6
	s_xor_b32 s6, exec_lo, s0
	s_cbranch_execz .LBB1_294
; %bb.289:                              ;   in Loop: Header=BB1_280 Depth=1
	v_mov_b32_e32 v10, 0
	v_mov_b32_e32 v11, 0
	s_mov_b32 s7, exec_lo
	v_cmpx_ne_u32_e32 0, v6
	s_cbranch_execz .LBB1_293
; %bb.290:                              ;   in Loop: Header=BB1_280 Depth=1
	v_mov_b32_e32 v10, 0
	v_mov_b32_e32 v11, 0
	s_mov_b64 s[0:1], 0
	s_mov_b32 s13, 0
	s_mov_b64 s[4:5], 0
	.p2align	6
.LBB1_291:                              ;   Parent Loop BB1_280 Depth=1
                                        ; =>  This Inner Loop Header: Depth=2
	s_delay_alu instid0(SALU_CYCLE_1)
	v_add_co_u32 v12, vcc_lo, v22, s4
	v_add_co_ci_u32_e32 v13, vcc_lo, s5, v23, vcc_lo
	s_add_u32 s4, s4, 1
	s_addc_u32 s5, s5, 0
	v_cmp_eq_u32_e32 vcc_lo, s4, v6
	flat_load_u8 v12, v[12:13]
	s_waitcnt vmcnt(0) lgkmcnt(0)
	v_dual_mov_b32 v13, s12 :: v_dual_and_b32 v12, 0xffff, v12
	s_delay_alu instid0(VALU_DEP_1) | instskip(SKIP_3) | instid1(VALU_DEP_1)
	v_lshlrev_b64 v[12:13], s0, v[12:13]
	s_add_u32 s0, s0, 8
	s_addc_u32 s1, s1, 0
	s_or_b32 s13, vcc_lo, s13
	v_or_b32_e32 v11, v13, v11
	s_delay_alu instid0(VALU_DEP_2)
	v_or_b32_e32 v10, v12, v10
	s_and_not1_b32 exec_lo, exec_lo, s13
	s_cbranch_execnz .LBB1_291
; %bb.292:                              ;   in Loop: Header=BB1_280 Depth=1
	s_or_b32 exec_lo, exec_lo, s13
.LBB1_293:                              ;   in Loop: Header=BB1_280 Depth=1
	s_delay_alu instid0(SALU_CYCLE_1)
	s_or_b32 exec_lo, exec_lo, s7
	s_mov_b32 s1, 0
                                        ; implicit-def: $vgpr6
.LBB1_294:                              ;   in Loop: Header=BB1_280 Depth=1
	s_or_saveexec_b32 s0, s6
	v_mov_b32_e32 v14, s1
	s_xor_b32 exec_lo, exec_lo, s0
	s_cbranch_execz .LBB1_296
; %bb.295:                              ;   in Loop: Header=BB1_280 Depth=1
	flat_load_b64 v[10:11], v[22:23]
	v_add_co_u32 v22, vcc_lo, v22, 8
	v_add_nc_u32_e32 v14, -8, v6
	v_add_co_ci_u32_e32 v23, vcc_lo, 0, v23, vcc_lo
	s_waitcnt vmcnt(0) lgkmcnt(0)
	v_and_b32_e32 v12, 0xff, v11
	v_and_b32_e32 v13, 0xff00, v11
	;; [unrolled: 1-line block ×4, first 2 shown]
	v_or3_b32 v10, v10, 0, 0
	s_delay_alu instid0(VALU_DEP_4) | instskip(NEXT) | instid1(VALU_DEP_1)
	v_or_b32_e32 v12, v12, v13
	v_or3_b32 v11, v12, v15, v11
.LBB1_296:                              ;   in Loop: Header=BB1_280 Depth=1
	s_or_b32 exec_lo, exec_lo, s0
                                        ; implicit-def: $sgpr1
	s_delay_alu instid0(SALU_CYCLE_1)
	s_mov_b32 s0, exec_lo
	v_cmpx_gt_u32_e32 8, v14
	s_xor_b32 s6, exec_lo, s0
	s_cbranch_execz .LBB1_302
; %bb.297:                              ;   in Loop: Header=BB1_280 Depth=1
	v_mov_b32_e32 v12, 0
	v_mov_b32_e32 v13, 0
	s_mov_b32 s7, exec_lo
	v_cmpx_ne_u32_e32 0, v14
	s_cbranch_execz .LBB1_301
; %bb.298:                              ;   in Loop: Header=BB1_280 Depth=1
	v_mov_b32_e32 v12, 0
	v_mov_b32_e32 v13, 0
	s_mov_b64 s[0:1], 0
	s_mov_b32 s13, 0
	s_mov_b64 s[4:5], 0
	.p2align	6
.LBB1_299:                              ;   Parent Loop BB1_280 Depth=1
                                        ; =>  This Inner Loop Header: Depth=2
	s_delay_alu instid0(SALU_CYCLE_1)
	v_add_co_u32 v15, vcc_lo, v22, s4
	v_add_co_ci_u32_e32 v16, vcc_lo, s5, v23, vcc_lo
	s_add_u32 s4, s4, 1
	s_addc_u32 s5, s5, 0
	v_cmp_eq_u32_e32 vcc_lo, s4, v14
	flat_load_u8 v6, v[15:16]
	s_waitcnt vmcnt(0) lgkmcnt(0)
	v_dual_mov_b32 v16, s12 :: v_dual_and_b32 v15, 0xffff, v6
	s_delay_alu instid0(VALU_DEP_1) | instskip(SKIP_3) | instid1(VALU_DEP_1)
	v_lshlrev_b64 v[15:16], s0, v[15:16]
	s_add_u32 s0, s0, 8
	s_addc_u32 s1, s1, 0
	s_or_b32 s13, vcc_lo, s13
	v_or_b32_e32 v13, v16, v13
	s_delay_alu instid0(VALU_DEP_2)
	v_or_b32_e32 v12, v15, v12
	s_and_not1_b32 exec_lo, exec_lo, s13
	s_cbranch_execnz .LBB1_299
; %bb.300:                              ;   in Loop: Header=BB1_280 Depth=1
	s_or_b32 exec_lo, exec_lo, s13
.LBB1_301:                              ;   in Loop: Header=BB1_280 Depth=1
	s_delay_alu instid0(SALU_CYCLE_1)
	s_or_b32 exec_lo, exec_lo, s7
	s_mov_b32 s1, 0
                                        ; implicit-def: $vgpr14
.LBB1_302:                              ;   in Loop: Header=BB1_280 Depth=1
	s_or_saveexec_b32 s0, s6
	v_mov_b32_e32 v6, s1
	s_xor_b32 exec_lo, exec_lo, s0
	s_cbranch_execz .LBB1_304
; %bb.303:                              ;   in Loop: Header=BB1_280 Depth=1
	flat_load_b64 v[12:13], v[22:23]
	v_add_co_u32 v22, vcc_lo, v22, 8
	v_add_co_ci_u32_e32 v23, vcc_lo, 0, v23, vcc_lo
	s_waitcnt vmcnt(0) lgkmcnt(0)
	v_and_b32_e32 v6, 0xff, v13
	v_and_b32_e32 v15, 0xff00, v13
	;; [unrolled: 1-line block ×4, first 2 shown]
	v_or3_b32 v12, v12, 0, 0
	s_delay_alu instid0(VALU_DEP_4) | instskip(SKIP_1) | instid1(VALU_DEP_2)
	v_or_b32_e32 v15, v6, v15
	v_add_nc_u32_e32 v6, -8, v14
	v_or3_b32 v13, v15, v16, v13
.LBB1_304:                              ;   in Loop: Header=BB1_280 Depth=1
	s_or_b32 exec_lo, exec_lo, s0
                                        ; implicit-def: $vgpr14_vgpr15
                                        ; implicit-def: $sgpr1
	s_delay_alu instid0(SALU_CYCLE_1) | instskip(NEXT) | instid1(VALU_DEP_1)
	s_mov_b32 s0, exec_lo
	v_cmpx_gt_u32_e32 8, v6
	s_xor_b32 s6, exec_lo, s0
	s_cbranch_execz .LBB1_310
; %bb.305:                              ;   in Loop: Header=BB1_280 Depth=1
	v_mov_b32_e32 v14, 0
	v_mov_b32_e32 v15, 0
	s_mov_b32 s7, exec_lo
	v_cmpx_ne_u32_e32 0, v6
	s_cbranch_execz .LBB1_309
; %bb.306:                              ;   in Loop: Header=BB1_280 Depth=1
	v_mov_b32_e32 v14, 0
	v_mov_b32_e32 v15, 0
	s_mov_b64 s[0:1], 0
	s_mov_b32 s13, 0
	s_mov_b64 s[4:5], 0
	.p2align	6
.LBB1_307:                              ;   Parent Loop BB1_280 Depth=1
                                        ; =>  This Inner Loop Header: Depth=2
	s_delay_alu instid0(SALU_CYCLE_1)
	v_add_co_u32 v16, vcc_lo, v22, s4
	v_add_co_ci_u32_e32 v17, vcc_lo, s5, v23, vcc_lo
	s_add_u32 s4, s4, 1
	s_addc_u32 s5, s5, 0
	v_cmp_eq_u32_e32 vcc_lo, s4, v6
	flat_load_u8 v16, v[16:17]
	s_waitcnt vmcnt(0) lgkmcnt(0)
	v_dual_mov_b32 v17, s12 :: v_dual_and_b32 v16, 0xffff, v16
	s_delay_alu instid0(VALU_DEP_1) | instskip(SKIP_3) | instid1(VALU_DEP_1)
	v_lshlrev_b64 v[16:17], s0, v[16:17]
	s_add_u32 s0, s0, 8
	s_addc_u32 s1, s1, 0
	s_or_b32 s13, vcc_lo, s13
	v_or_b32_e32 v15, v17, v15
	s_delay_alu instid0(VALU_DEP_2)
	v_or_b32_e32 v14, v16, v14
	s_and_not1_b32 exec_lo, exec_lo, s13
	s_cbranch_execnz .LBB1_307
; %bb.308:                              ;   in Loop: Header=BB1_280 Depth=1
	s_or_b32 exec_lo, exec_lo, s13
.LBB1_309:                              ;   in Loop: Header=BB1_280 Depth=1
	s_delay_alu instid0(SALU_CYCLE_1)
	s_or_b32 exec_lo, exec_lo, s7
	s_mov_b32 s1, 0
                                        ; implicit-def: $vgpr6
.LBB1_310:                              ;   in Loop: Header=BB1_280 Depth=1
	s_or_saveexec_b32 s0, s6
	v_mov_b32_e32 v18, s1
	s_xor_b32 exec_lo, exec_lo, s0
	s_cbranch_execz .LBB1_312
; %bb.311:                              ;   in Loop: Header=BB1_280 Depth=1
	flat_load_b64 v[14:15], v[22:23]
	v_add_co_u32 v22, vcc_lo, v22, 8
	v_add_nc_u32_e32 v18, -8, v6
	v_add_co_ci_u32_e32 v23, vcc_lo, 0, v23, vcc_lo
	s_waitcnt vmcnt(0) lgkmcnt(0)
	v_and_b32_e32 v16, 0xff, v15
	v_and_b32_e32 v17, 0xff00, v15
	;; [unrolled: 1-line block ×4, first 2 shown]
	v_or3_b32 v14, v14, 0, 0
	s_delay_alu instid0(VALU_DEP_4) | instskip(NEXT) | instid1(VALU_DEP_1)
	v_or_b32_e32 v16, v16, v17
	v_or3_b32 v15, v16, v19, v15
.LBB1_312:                              ;   in Loop: Header=BB1_280 Depth=1
	s_or_b32 exec_lo, exec_lo, s0
                                        ; implicit-def: $sgpr1
	s_delay_alu instid0(SALU_CYCLE_1)
	s_mov_b32 s0, exec_lo
	v_cmpx_gt_u32_e32 8, v18
	s_xor_b32 s6, exec_lo, s0
	s_cbranch_execz .LBB1_318
; %bb.313:                              ;   in Loop: Header=BB1_280 Depth=1
	v_mov_b32_e32 v16, 0
	v_mov_b32_e32 v17, 0
	s_mov_b32 s7, exec_lo
	v_cmpx_ne_u32_e32 0, v18
	s_cbranch_execz .LBB1_317
; %bb.314:                              ;   in Loop: Header=BB1_280 Depth=1
	v_mov_b32_e32 v16, 0
	v_mov_b32_e32 v17, 0
	s_mov_b64 s[0:1], 0
	s_mov_b32 s13, 0
	s_mov_b64 s[4:5], 0
	.p2align	6
.LBB1_315:                              ;   Parent Loop BB1_280 Depth=1
                                        ; =>  This Inner Loop Header: Depth=2
	s_delay_alu instid0(SALU_CYCLE_1)
	v_add_co_u32 v19, vcc_lo, v22, s4
	v_add_co_ci_u32_e32 v20, vcc_lo, s5, v23, vcc_lo
	s_add_u32 s4, s4, 1
	s_addc_u32 s5, s5, 0
	v_cmp_eq_u32_e32 vcc_lo, s4, v18
	flat_load_u8 v6, v[19:20]
	s_waitcnt vmcnt(0) lgkmcnt(0)
	v_dual_mov_b32 v20, s12 :: v_dual_and_b32 v19, 0xffff, v6
	s_delay_alu instid0(VALU_DEP_1) | instskip(SKIP_3) | instid1(VALU_DEP_1)
	v_lshlrev_b64 v[19:20], s0, v[19:20]
	s_add_u32 s0, s0, 8
	s_addc_u32 s1, s1, 0
	s_or_b32 s13, vcc_lo, s13
	v_or_b32_e32 v17, v20, v17
	s_delay_alu instid0(VALU_DEP_2)
	v_or_b32_e32 v16, v19, v16
	s_and_not1_b32 exec_lo, exec_lo, s13
	s_cbranch_execnz .LBB1_315
; %bb.316:                              ;   in Loop: Header=BB1_280 Depth=1
	s_or_b32 exec_lo, exec_lo, s13
.LBB1_317:                              ;   in Loop: Header=BB1_280 Depth=1
	s_delay_alu instid0(SALU_CYCLE_1)
	s_or_b32 exec_lo, exec_lo, s7
	s_mov_b32 s1, 0
                                        ; implicit-def: $vgpr18
.LBB1_318:                              ;   in Loop: Header=BB1_280 Depth=1
	s_or_saveexec_b32 s0, s6
	v_mov_b32_e32 v6, s1
	s_xor_b32 exec_lo, exec_lo, s0
	s_cbranch_execz .LBB1_320
; %bb.319:                              ;   in Loop: Header=BB1_280 Depth=1
	flat_load_b64 v[16:17], v[22:23]
	v_add_co_u32 v22, vcc_lo, v22, 8
	v_add_co_ci_u32_e32 v23, vcc_lo, 0, v23, vcc_lo
	s_waitcnt vmcnt(0) lgkmcnt(0)
	v_and_b32_e32 v6, 0xff, v17
	v_and_b32_e32 v19, 0xff00, v17
	v_and_b32_e32 v20, 0xff0000, v17
	v_and_b32_e32 v17, 0xff000000, v17
	v_or3_b32 v16, v16, 0, 0
	s_delay_alu instid0(VALU_DEP_4) | instskip(SKIP_1) | instid1(VALU_DEP_2)
	v_or_b32_e32 v19, v6, v19
	v_add_nc_u32_e32 v6, -8, v18
	v_or3_b32 v17, v19, v20, v17
.LBB1_320:                              ;   in Loop: Header=BB1_280 Depth=1
	s_or_b32 exec_lo, exec_lo, s0
                                        ; implicit-def: $vgpr18_vgpr19
                                        ; implicit-def: $sgpr1
	s_delay_alu instid0(SALU_CYCLE_1) | instskip(NEXT) | instid1(VALU_DEP_1)
	s_mov_b32 s0, exec_lo
	v_cmpx_gt_u32_e32 8, v6
	s_xor_b32 s6, exec_lo, s0
	s_cbranch_execz .LBB1_326
; %bb.321:                              ;   in Loop: Header=BB1_280 Depth=1
	v_mov_b32_e32 v18, 0
	v_mov_b32_e32 v19, 0
	s_mov_b32 s7, exec_lo
	v_cmpx_ne_u32_e32 0, v6
	s_cbranch_execz .LBB1_325
; %bb.322:                              ;   in Loop: Header=BB1_280 Depth=1
	v_mov_b32_e32 v18, 0
	v_mov_b32_e32 v19, 0
	s_mov_b64 s[0:1], 0
	s_mov_b32 s13, 0
	s_mov_b64 s[4:5], 0
	.p2align	6
.LBB1_323:                              ;   Parent Loop BB1_280 Depth=1
                                        ; =>  This Inner Loop Header: Depth=2
	s_delay_alu instid0(SALU_CYCLE_1)
	v_add_co_u32 v20, vcc_lo, v22, s4
	v_add_co_ci_u32_e32 v21, vcc_lo, s5, v23, vcc_lo
	s_add_u32 s4, s4, 1
	s_addc_u32 s5, s5, 0
	v_cmp_eq_u32_e32 vcc_lo, s4, v6
	flat_load_u8 v20, v[20:21]
	s_waitcnt vmcnt(0) lgkmcnt(0)
	v_dual_mov_b32 v21, s12 :: v_dual_and_b32 v20, 0xffff, v20
	s_delay_alu instid0(VALU_DEP_1) | instskip(SKIP_3) | instid1(VALU_DEP_1)
	v_lshlrev_b64 v[20:21], s0, v[20:21]
	s_add_u32 s0, s0, 8
	s_addc_u32 s1, s1, 0
	s_or_b32 s13, vcc_lo, s13
	v_or_b32_e32 v19, v21, v19
	s_delay_alu instid0(VALU_DEP_2)
	v_or_b32_e32 v18, v20, v18
	s_and_not1_b32 exec_lo, exec_lo, s13
	s_cbranch_execnz .LBB1_323
; %bb.324:                              ;   in Loop: Header=BB1_280 Depth=1
	s_or_b32 exec_lo, exec_lo, s13
.LBB1_325:                              ;   in Loop: Header=BB1_280 Depth=1
	s_delay_alu instid0(SALU_CYCLE_1)
	s_or_b32 exec_lo, exec_lo, s7
	s_mov_b32 s1, 0
                                        ; implicit-def: $vgpr6
.LBB1_326:                              ;   in Loop: Header=BB1_280 Depth=1
	s_or_saveexec_b32 s0, s6
	v_mov_b32_e32 v24, s1
	s_xor_b32 exec_lo, exec_lo, s0
	s_cbranch_execz .LBB1_328
; %bb.327:                              ;   in Loop: Header=BB1_280 Depth=1
	flat_load_b64 v[18:19], v[22:23]
	v_add_co_u32 v22, vcc_lo, v22, 8
	v_add_nc_u32_e32 v24, -8, v6
	v_add_co_ci_u32_e32 v23, vcc_lo, 0, v23, vcc_lo
	s_waitcnt vmcnt(0) lgkmcnt(0)
	v_and_b32_e32 v20, 0xff, v19
	v_and_b32_e32 v21, 0xff00, v19
	;; [unrolled: 1-line block ×4, first 2 shown]
	v_or3_b32 v18, v18, 0, 0
	s_delay_alu instid0(VALU_DEP_4) | instskip(NEXT) | instid1(VALU_DEP_1)
	v_or_b32_e32 v20, v20, v21
	v_or3_b32 v19, v20, v25, v19
.LBB1_328:                              ;   in Loop: Header=BB1_280 Depth=1
	s_or_b32 exec_lo, exec_lo, s0
	s_delay_alu instid0(SALU_CYCLE_1)
	s_mov_b32 s0, exec_lo
	v_cmpx_gt_u32_e32 8, v24
	s_xor_b32 s4, exec_lo, s0
	s_cbranch_execz .LBB1_334
; %bb.329:                              ;   in Loop: Header=BB1_280 Depth=1
	v_mov_b32_e32 v20, 0
	v_mov_b32_e32 v21, 0
	s_mov_b32 s5, exec_lo
	v_cmpx_ne_u32_e32 0, v24
	s_cbranch_execz .LBB1_333
; %bb.330:                              ;   in Loop: Header=BB1_280 Depth=1
	v_mov_b32_e32 v20, 0
	v_mov_b32_e32 v21, 0
	s_mov_b64 s[0:1], 0
	s_mov_b32 s6, 0
	.p2align	6
.LBB1_331:                              ;   Parent Loop BB1_280 Depth=1
                                        ; =>  This Inner Loop Header: Depth=2
	flat_load_u8 v6, v[22:23]
	v_dual_mov_b32 v31, s12 :: v_dual_add_nc_u32 v24, -1, v24
	v_add_co_u32 v22, vcc_lo, v22, 1
	v_add_co_ci_u32_e32 v23, vcc_lo, 0, v23, vcc_lo
	s_delay_alu instid0(VALU_DEP_3) | instskip(SKIP_2) | instid1(VALU_DEP_1)
	v_cmp_eq_u32_e32 vcc_lo, 0, v24
	s_waitcnt vmcnt(0) lgkmcnt(0)
	v_and_b32_e32 v30, 0xffff, v6
	v_lshlrev_b64 v[30:31], s0, v[30:31]
	s_add_u32 s0, s0, 8
	s_addc_u32 s1, s1, 0
	s_or_b32 s6, vcc_lo, s6
	s_delay_alu instid0(VALU_DEP_1) | instskip(NEXT) | instid1(VALU_DEP_2)
	v_or_b32_e32 v21, v31, v21
	v_or_b32_e32 v20, v30, v20
	s_and_not1_b32 exec_lo, exec_lo, s6
	s_cbranch_execnz .LBB1_331
; %bb.332:                              ;   in Loop: Header=BB1_280 Depth=1
	s_or_b32 exec_lo, exec_lo, s6
.LBB1_333:                              ;   in Loop: Header=BB1_280 Depth=1
	s_delay_alu instid0(SALU_CYCLE_1)
	s_or_b32 exec_lo, exec_lo, s5
                                        ; implicit-def: $vgpr22_vgpr23
.LBB1_334:                              ;   in Loop: Header=BB1_280 Depth=1
	s_and_not1_saveexec_b32 s0, s4
	s_cbranch_execz .LBB1_336
; %bb.335:                              ;   in Loop: Header=BB1_280 Depth=1
	flat_load_b64 v[20:21], v[22:23]
	s_waitcnt vmcnt(0) lgkmcnt(0)
	v_and_b32_e32 v6, 0xff, v21
	v_and_b32_e32 v22, 0xff00, v21
	;; [unrolled: 1-line block ×4, first 2 shown]
	v_or3_b32 v20, v20, 0, 0
	s_delay_alu instid0(VALU_DEP_4) | instskip(NEXT) | instid1(VALU_DEP_1)
	v_or_b32_e32 v6, v6, v22
	v_or3_b32 v21, v6, v23, v21
.LBB1_336:                              ;   in Loop: Header=BB1_280 Depth=1
	s_or_b32 exec_lo, exec_lo, s0
	v_readfirstlane_b32 s0, v35
	v_mov_b32_e32 v30, 0
	v_mov_b32_e32 v31, 0
	s_delay_alu instid0(VALU_DEP_3) | instskip(NEXT) | instid1(VALU_DEP_1)
	v_cmp_eq_u32_e64 s0, s0, v35
	s_and_saveexec_b32 s1, s0
	s_cbranch_execz .LBB1_342
; %bb.337:                              ;   in Loop: Header=BB1_280 Depth=1
	global_load_b64 v[24:25], v7, s[2:3] offset:24 glc
	s_waitcnt vmcnt(0)
	buffer_gl1_inv
	buffer_gl0_inv
	s_clause 0x1
	global_load_b64 v[22:23], v7, s[2:3] offset:40
	global_load_b64 v[30:31], v7, s[2:3]
	s_mov_b32 s4, exec_lo
	s_waitcnt vmcnt(1)
	v_and_b32_e32 v6, v23, v25
	v_and_b32_e32 v22, v22, v24
	s_delay_alu instid0(VALU_DEP_2) | instskip(NEXT) | instid1(VALU_DEP_2)
	v_mul_lo_u32 v6, v6, 24
	v_mul_hi_u32 v23, v22, 24
	v_mul_lo_u32 v22, v22, 24
	s_delay_alu instid0(VALU_DEP_2) | instskip(SKIP_1) | instid1(VALU_DEP_2)
	v_add_nc_u32_e32 v6, v23, v6
	s_waitcnt vmcnt(0)
	v_add_co_u32 v22, vcc_lo, v30, v22
	s_delay_alu instid0(VALU_DEP_2)
	v_add_co_ci_u32_e32 v23, vcc_lo, v31, v6, vcc_lo
	global_load_b64 v[22:23], v[22:23], off glc
	s_waitcnt vmcnt(0)
	global_atomic_cmpswap_b64 v[30:31], v7, v[22:25], s[2:3] offset:24 glc
	s_waitcnt vmcnt(0)
	buffer_gl1_inv
	buffer_gl0_inv
	v_cmpx_ne_u64_e64 v[30:31], v[24:25]
	s_cbranch_execz .LBB1_341
; %bb.338:                              ;   in Loop: Header=BB1_280 Depth=1
	s_mov_b32 s5, 0
	.p2align	6
.LBB1_339:                              ;   Parent Loop BB1_280 Depth=1
                                        ; =>  This Inner Loop Header: Depth=2
	s_sleep 1
	s_clause 0x1
	global_load_b64 v[22:23], v7, s[2:3] offset:40
	global_load_b64 v[36:37], v7, s[2:3]
	v_dual_mov_b32 v24, v30 :: v_dual_mov_b32 v25, v31
	s_waitcnt vmcnt(1)
	s_delay_alu instid0(VALU_DEP_1) | instskip(NEXT) | instid1(VALU_DEP_2)
	v_and_b32_e32 v6, v22, v24
	v_and_b32_e32 v33, v23, v25
	s_waitcnt vmcnt(0)
	s_delay_alu instid0(VALU_DEP_2) | instskip(NEXT) | instid1(VALU_DEP_1)
	v_mad_u64_u32 v[30:31], null, v6, 24, v[36:37]
	v_mov_b32_e32 v6, v31
	s_delay_alu instid0(VALU_DEP_1) | instskip(NEXT) | instid1(VALU_DEP_1)
	v_mad_u64_u32 v[22:23], null, v33, 24, v[6:7]
	v_mov_b32_e32 v31, v22
	global_load_b64 v[22:23], v[30:31], off glc
	s_waitcnt vmcnt(0)
	global_atomic_cmpswap_b64 v[30:31], v7, v[22:25], s[2:3] offset:24 glc
	s_waitcnt vmcnt(0)
	buffer_gl1_inv
	buffer_gl0_inv
	v_cmp_eq_u64_e32 vcc_lo, v[30:31], v[24:25]
	s_or_b32 s5, vcc_lo, s5
	s_delay_alu instid0(SALU_CYCLE_1)
	s_and_not1_b32 exec_lo, exec_lo, s5
	s_cbranch_execnz .LBB1_339
; %bb.340:                              ;   in Loop: Header=BB1_280 Depth=1
	s_or_b32 exec_lo, exec_lo, s5
.LBB1_341:                              ;   in Loop: Header=BB1_280 Depth=1
	s_delay_alu instid0(SALU_CYCLE_1)
	s_or_b32 exec_lo, exec_lo, s4
.LBB1_342:                              ;   in Loop: Header=BB1_280 Depth=1
	s_delay_alu instid0(SALU_CYCLE_1)
	s_or_b32 exec_lo, exec_lo, s1
	s_clause 0x1
	global_load_b64 v[36:37], v7, s[2:3] offset:40
	global_load_b128 v[22:25], v7, s[2:3]
	v_readfirstlane_b32 s4, v30
	v_readfirstlane_b32 s5, v31
	s_mov_b32 s1, exec_lo
	s_waitcnt vmcnt(1)
	v_readfirstlane_b32 s6, v36
	v_readfirstlane_b32 s7, v37
	s_delay_alu instid0(VALU_DEP_1) | instskip(NEXT) | instid1(SALU_CYCLE_1)
	s_and_b64 s[6:7], s[4:5], s[6:7]
	s_mul_i32 s13, s7, 24
	s_mul_hi_u32 s14, s6, 24
	s_mul_i32 s15, s6, 24
	s_add_i32 s14, s14, s13
	s_waitcnt vmcnt(0)
	v_add_co_u32 v30, vcc_lo, v22, s15
	v_add_co_ci_u32_e32 v31, vcc_lo, s14, v23, vcc_lo
	s_and_saveexec_b32 s13, s0
	s_cbranch_execz .LBB1_344
; %bb.343:                              ;   in Loop: Header=BB1_280 Depth=1
	v_mov_b32_e32 v6, s1
	global_store_b128 v[30:31], v[6:9], off offset:8
.LBB1_344:                              ;   in Loop: Header=BB1_280 Depth=1
	s_or_b32 exec_lo, exec_lo, s13
	v_cmp_lt_u64_e32 vcc_lo, 56, v[26:27]
	v_or_b32_e32 v6, 0, v1
	v_or_b32_e32 v33, v0, v32
	v_lshl_add_u32 v36, v28, 2, 28
	s_lshl_b64 s[6:7], s[6:7], 12
	s_delay_alu instid0(SALU_CYCLE_1) | instskip(NEXT) | instid1(VALU_DEP_1)
	v_add_co_u32 v24, s1, v24, s6
	v_add_co_ci_u32_e64 v25, s1, s7, v25, s1
	v_dual_cndmask_b32 v1, v6, v1 :: v_dual_cndmask_b32 v0, v33, v0
	v_and_b32_e32 v6, 0x1e0, v36
	s_delay_alu instid0(VALU_DEP_4) | instskip(NEXT) | instid1(VALU_DEP_4)
	v_readfirstlane_b32 s6, v24
	v_readfirstlane_b32 s7, v25
	s_delay_alu instid0(VALU_DEP_3)
	v_and_or_b32 v0, 0xffffff1f, v0, v6
	s_clause 0x3
	global_store_b128 v34, v[0:3], s[6:7]
	global_store_b128 v34, v[10:13], s[6:7] offset:16
	global_store_b128 v34, v[14:17], s[6:7] offset:32
	;; [unrolled: 1-line block ×3, first 2 shown]
	s_and_saveexec_b32 s1, s0
	s_cbranch_execz .LBB1_352
; %bb.345:                              ;   in Loop: Header=BB1_280 Depth=1
	s_clause 0x1
	global_load_b64 v[14:15], v7, s[2:3] offset:32 glc
	global_load_b64 v[0:1], v7, s[2:3] offset:40
	v_dual_mov_b32 v12, s4 :: v_dual_mov_b32 v13, s5
	s_waitcnt vmcnt(0)
	v_readfirstlane_b32 s6, v0
	v_readfirstlane_b32 s7, v1
	s_delay_alu instid0(VALU_DEP_1) | instskip(NEXT) | instid1(SALU_CYCLE_1)
	s_and_b64 s[6:7], s[6:7], s[4:5]
	s_mul_i32 s7, s7, 24
	s_mul_hi_u32 s13, s6, 24
	s_mul_i32 s6, s6, 24
	s_add_i32 s13, s13, s7
	v_add_co_u32 v10, vcc_lo, v22, s6
	v_add_co_ci_u32_e32 v11, vcc_lo, s13, v23, vcc_lo
	s_mov_b32 s6, exec_lo
	global_store_b64 v[10:11], v[14:15], off
	s_waitcnt_vscnt null, 0x0
	global_atomic_cmpswap_b64 v[2:3], v7, v[12:15], s[2:3] offset:32 glc
	s_waitcnt vmcnt(0)
	v_cmpx_ne_u64_e64 v[2:3], v[14:15]
	s_cbranch_execz .LBB1_348
; %bb.346:                              ;   in Loop: Header=BB1_280 Depth=1
	s_mov_b32 s7, 0
.LBB1_347:                              ;   Parent Loop BB1_280 Depth=1
                                        ; =>  This Inner Loop Header: Depth=2
	v_dual_mov_b32 v0, s4 :: v_dual_mov_b32 v1, s5
	s_sleep 1
	global_store_b64 v[10:11], v[2:3], off
	s_waitcnt_vscnt null, 0x0
	global_atomic_cmpswap_b64 v[0:1], v7, v[0:3], s[2:3] offset:32 glc
	s_waitcnt vmcnt(0)
	v_cmp_eq_u64_e32 vcc_lo, v[0:1], v[2:3]
	v_dual_mov_b32 v3, v1 :: v_dual_mov_b32 v2, v0
	s_or_b32 s7, vcc_lo, s7
	s_delay_alu instid0(SALU_CYCLE_1)
	s_and_not1_b32 exec_lo, exec_lo, s7
	s_cbranch_execnz .LBB1_347
.LBB1_348:                              ;   in Loop: Header=BB1_280 Depth=1
	s_or_b32 exec_lo, exec_lo, s6
	global_load_b64 v[0:1], v7, s[2:3] offset:16
	s_mov_b32 s7, exec_lo
	s_mov_b32 s6, exec_lo
	v_mbcnt_lo_u32_b32 v2, s7, 0
	s_delay_alu instid0(VALU_DEP_1)
	v_cmpx_eq_u32_e32 0, v2
	s_cbranch_execz .LBB1_350
; %bb.349:                              ;   in Loop: Header=BB1_280 Depth=1
	s_bcnt1_i32_b32 s7, s7
	s_delay_alu instid0(SALU_CYCLE_1)
	v_mov_b32_e32 v6, s7
	s_waitcnt vmcnt(0)
	global_atomic_add_u64 v[0:1], v[6:7], off offset:8
.LBB1_350:                              ;   in Loop: Header=BB1_280 Depth=1
	s_or_b32 exec_lo, exec_lo, s6
	s_waitcnt vmcnt(0)
	global_load_b64 v[2:3], v[0:1], off offset:16
	s_waitcnt vmcnt(0)
	v_cmp_eq_u64_e32 vcc_lo, 0, v[2:3]
	s_cbranch_vccnz .LBB1_352
; %bb.351:                              ;   in Loop: Header=BB1_280 Depth=1
	global_load_b32 v6, v[0:1], off offset:24
	s_waitcnt vmcnt(0)
	v_and_b32_e32 v0, 0xffffff, v6
	s_waitcnt_vscnt null, 0x0
	global_store_b64 v[2:3], v[6:7], off
	v_readfirstlane_b32 m0, v0
	s_sendmsg sendmsg(MSG_INTERRUPT)
.LBB1_352:                              ;   in Loop: Header=BB1_280 Depth=1
	s_or_b32 exec_lo, exec_lo, s1
	v_add_co_u32 v0, vcc_lo, v24, v34
	v_add_co_ci_u32_e32 v1, vcc_lo, 0, v25, vcc_lo
	s_branch .LBB1_356
	.p2align	6
.LBB1_353:                              ;   in Loop: Header=BB1_356 Depth=2
	s_or_b32 exec_lo, exec_lo, s1
	s_delay_alu instid0(VALU_DEP_1) | instskip(NEXT) | instid1(VALU_DEP_1)
	v_readfirstlane_b32 s1, v2
	s_cmp_eq_u32 s1, 0
	s_cbranch_scc1 .LBB1_355
; %bb.354:                              ;   in Loop: Header=BB1_356 Depth=2
	s_sleep 1
	s_cbranch_execnz .LBB1_356
	s_branch .LBB1_358
	.p2align	6
.LBB1_355:                              ;   in Loop: Header=BB1_280 Depth=1
	s_branch .LBB1_358
.LBB1_356:                              ;   Parent Loop BB1_280 Depth=1
                                        ; =>  This Inner Loop Header: Depth=2
	v_mov_b32_e32 v2, 1
	s_and_saveexec_b32 s1, s0
	s_cbranch_execz .LBB1_353
; %bb.357:                              ;   in Loop: Header=BB1_356 Depth=2
	global_load_b32 v2, v[30:31], off offset:20 glc
	s_waitcnt vmcnt(0)
	buffer_gl1_inv
	buffer_gl0_inv
	v_and_b32_e32 v2, 1, v2
	s_branch .LBB1_353
.LBB1_358:                              ;   in Loop: Header=BB1_280 Depth=1
	global_load_b128 v[0:3], v[0:1], off
	s_and_saveexec_b32 s1, s0
	s_cbranch_execz .LBB1_279
; %bb.359:                              ;   in Loop: Header=BB1_280 Depth=1
	s_clause 0x2
	global_load_b64 v[2:3], v7, s[2:3] offset:40
	global_load_b64 v[14:15], v7, s[2:3] offset:24 glc
	global_load_b64 v[12:13], v7, s[2:3]
	s_waitcnt vmcnt(2)
	v_add_co_u32 v6, vcc_lo, v2, 1
	v_add_co_ci_u32_e32 v16, vcc_lo, 0, v3, vcc_lo
	s_delay_alu instid0(VALU_DEP_2) | instskip(NEXT) | instid1(VALU_DEP_2)
	v_add_co_u32 v10, vcc_lo, v6, s4
	v_add_co_ci_u32_e32 v11, vcc_lo, s5, v16, vcc_lo
	s_delay_alu instid0(VALU_DEP_1) | instskip(SKIP_1) | instid1(VALU_DEP_1)
	v_cmp_eq_u64_e32 vcc_lo, 0, v[10:11]
	v_dual_cndmask_b32 v11, v11, v16 :: v_dual_cndmask_b32 v10, v10, v6
	v_and_b32_e32 v3, v11, v3
	s_delay_alu instid0(VALU_DEP_2) | instskip(NEXT) | instid1(VALU_DEP_1)
	v_and_b32_e32 v2, v10, v2
	v_mul_hi_u32 v6, v2, 24
	v_mul_lo_u32 v2, v2, 24
	s_waitcnt vmcnt(0)
	s_delay_alu instid0(VALU_DEP_1) | instskip(SKIP_2) | instid1(VALU_DEP_1)
	v_add_co_u32 v2, vcc_lo, v12, v2
	v_mov_b32_e32 v12, v14
	v_mul_lo_u32 v3, v3, 24
	v_add_nc_u32_e32 v3, v6, v3
	s_delay_alu instid0(VALU_DEP_1)
	v_add_co_ci_u32_e32 v3, vcc_lo, v13, v3, vcc_lo
	v_mov_b32_e32 v13, v15
	global_store_b64 v[2:3], v[14:15], off
	s_waitcnt_vscnt null, 0x0
	global_atomic_cmpswap_b64 v[12:13], v7, v[10:13], s[2:3] offset:24 glc
	s_waitcnt vmcnt(0)
	v_cmp_ne_u64_e32 vcc_lo, v[12:13], v[14:15]
	s_and_b32 exec_lo, exec_lo, vcc_lo
	s_cbranch_execz .LBB1_279
; %bb.360:                              ;   in Loop: Header=BB1_280 Depth=1
	s_mov_b32 s0, 0
.LBB1_361:                              ;   Parent Loop BB1_280 Depth=1
                                        ; =>  This Inner Loop Header: Depth=2
	s_sleep 1
	global_store_b64 v[2:3], v[12:13], off
	s_waitcnt_vscnt null, 0x0
	global_atomic_cmpswap_b64 v[14:15], v7, v[10:13], s[2:3] offset:24 glc
	s_waitcnt vmcnt(0)
	v_cmp_eq_u64_e32 vcc_lo, v[14:15], v[12:13]
	v_dual_mov_b32 v12, v14 :: v_dual_mov_b32 v13, v15
	s_or_b32 s0, vcc_lo, s0
	s_delay_alu instid0(SALU_CYCLE_1)
	s_and_not1_b32 exec_lo, exec_lo, s0
	s_cbranch_execnz .LBB1_361
	s_branch .LBB1_279
.LBB1_362:
	s_or_b32 exec_lo, exec_lo, s11
                                        ; implicit-def: $vgpr34
                                        ; implicit-def: $vgpr35
.LBB1_363:
	s_and_not1_saveexec_b32 s1, s10
	s_cbranch_execz .LBB1_391
; %bb.364:
	v_readfirstlane_b32 s0, v35
	v_mov_b32_e32 v8, 0
	v_mov_b32_e32 v9, 0
	s_delay_alu instid0(VALU_DEP_3) | instskip(NEXT) | instid1(VALU_DEP_1)
	v_cmp_eq_u32_e64 s0, s0, v35
	s_and_saveexec_b32 s4, s0
	s_cbranch_execz .LBB1_370
; %bb.365:
	s_waitcnt vmcnt(0)
	v_mov_b32_e32 v2, 0
	s_mov_b32 s5, exec_lo
	global_load_b64 v[5:6], v2, s[2:3] offset:24 glc
	s_waitcnt vmcnt(0)
	buffer_gl1_inv
	buffer_gl0_inv
	s_clause 0x1
	global_load_b64 v[3:4], v2, s[2:3] offset:40
	global_load_b64 v[7:8], v2, s[2:3]
	s_waitcnt vmcnt(1)
	v_and_b32_e32 v3, v3, v5
	v_and_b32_e32 v4, v4, v6
	s_delay_alu instid0(VALU_DEP_2) | instskip(NEXT) | instid1(VALU_DEP_2)
	v_mul_hi_u32 v9, v3, 24
	v_mul_lo_u32 v4, v4, 24
	v_mul_lo_u32 v3, v3, 24
	s_delay_alu instid0(VALU_DEP_2) | instskip(SKIP_1) | instid1(VALU_DEP_2)
	v_add_nc_u32_e32 v4, v9, v4
	s_waitcnt vmcnt(0)
	v_add_co_u32 v3, vcc_lo, v7, v3
	s_delay_alu instid0(VALU_DEP_2)
	v_add_co_ci_u32_e32 v4, vcc_lo, v8, v4, vcc_lo
	global_load_b64 v[3:4], v[3:4], off glc
	s_waitcnt vmcnt(0)
	global_atomic_cmpswap_b64 v[8:9], v2, v[3:6], s[2:3] offset:24 glc
	s_waitcnt vmcnt(0)
	buffer_gl1_inv
	buffer_gl0_inv
	v_cmpx_ne_u64_e64 v[8:9], v[5:6]
	s_cbranch_execz .LBB1_369
; %bb.366:
	s_mov_b32 s6, 0
	.p2align	6
.LBB1_367:                              ; =>This Inner Loop Header: Depth=1
	s_sleep 1
	s_clause 0x1
	global_load_b64 v[3:4], v2, s[2:3] offset:40
	global_load_b64 v[10:11], v2, s[2:3]
	v_dual_mov_b32 v5, v8 :: v_dual_mov_b32 v6, v9
	s_waitcnt vmcnt(1)
	s_delay_alu instid0(VALU_DEP_1) | instskip(NEXT) | instid1(VALU_DEP_2)
	v_and_b32_e32 v3, v3, v5
	v_and_b32_e32 v4, v4, v6
	s_waitcnt vmcnt(0)
	s_delay_alu instid0(VALU_DEP_2) | instskip(NEXT) | instid1(VALU_DEP_1)
	v_mad_u64_u32 v[7:8], null, v3, 24, v[10:11]
	v_mov_b32_e32 v3, v8
	s_delay_alu instid0(VALU_DEP_1)
	v_mad_u64_u32 v[8:9], null, v4, 24, v[3:4]
	global_load_b64 v[3:4], v[7:8], off glc
	s_waitcnt vmcnt(0)
	global_atomic_cmpswap_b64 v[8:9], v2, v[3:6], s[2:3] offset:24 glc
	s_waitcnt vmcnt(0)
	buffer_gl1_inv
	buffer_gl0_inv
	v_cmp_eq_u64_e32 vcc_lo, v[8:9], v[5:6]
	s_or_b32 s6, vcc_lo, s6
	s_delay_alu instid0(SALU_CYCLE_1)
	s_and_not1_b32 exec_lo, exec_lo, s6
	s_cbranch_execnz .LBB1_367
; %bb.368:
	s_or_b32 exec_lo, exec_lo, s6
.LBB1_369:
	s_delay_alu instid0(SALU_CYCLE_1)
	s_or_b32 exec_lo, exec_lo, s5
.LBB1_370:
	s_delay_alu instid0(SALU_CYCLE_1)
	s_or_b32 exec_lo, exec_lo, s4
	s_waitcnt vmcnt(0)
	v_mov_b32_e32 v2, 0
	v_readfirstlane_b32 s4, v8
	v_readfirstlane_b32 s5, v9
	s_mov_b32 s10, exec_lo
	s_clause 0x1
	global_load_b64 v[10:11], v2, s[2:3] offset:40
	global_load_b128 v[4:7], v2, s[2:3]
	s_waitcnt vmcnt(1)
	v_readfirstlane_b32 s6, v10
	v_readfirstlane_b32 s7, v11
	s_delay_alu instid0(VALU_DEP_1) | instskip(NEXT) | instid1(SALU_CYCLE_1)
	s_and_b64 s[6:7], s[4:5], s[6:7]
	s_mul_i32 s11, s7, 24
	s_mul_hi_u32 s12, s6, 24
	s_mul_i32 s13, s6, 24
	s_add_i32 s12, s12, s11
	s_waitcnt vmcnt(0)
	v_add_co_u32 v8, vcc_lo, v4, s13
	v_add_co_ci_u32_e32 v9, vcc_lo, s12, v5, vcc_lo
	s_and_saveexec_b32 s11, s0
	s_cbranch_execz .LBB1_372
; %bb.371:
	v_dual_mov_b32 v10, s10 :: v_dual_mov_b32 v11, v2
	v_dual_mov_b32 v12, 2 :: v_dual_mov_b32 v13, 1
	global_store_b128 v[8:9], v[10:13], off offset:8
.LBB1_372:
	s_or_b32 exec_lo, exec_lo, s11
	s_lshl_b64 s[6:7], s[6:7], 12
	s_mov_b32 s12, 0
	v_add_co_u32 v6, vcc_lo, v6, s6
	v_add_co_ci_u32_e32 v7, vcc_lo, s7, v7, vcc_lo
	s_mov_b32 s13, s12
	s_delay_alu instid0(VALU_DEP_2)
	v_readfirstlane_b32 s6, v6
	v_add_co_u32 v6, vcc_lo, v6, v34
	s_mov_b32 s14, s12
	s_mov_b32 s15, s12
	v_and_or_b32 v0, 0xffffff1f, v0, 32
	v_dual_mov_b32 v3, v2 :: v_dual_mov_b32 v10, s12
	v_readfirstlane_b32 s7, v7
	v_add_co_ci_u32_e32 v7, vcc_lo, 0, v7, vcc_lo
	v_dual_mov_b32 v11, s13 :: v_dual_mov_b32 v12, s14
	v_mov_b32_e32 v13, s15
	s_clause 0x3
	global_store_b128 v34, v[0:3], s[6:7]
	global_store_b128 v34, v[10:13], s[6:7] offset:16
	global_store_b128 v34, v[10:13], s[6:7] offset:32
	;; [unrolled: 1-line block ×3, first 2 shown]
	s_and_saveexec_b32 s6, s0
	s_cbranch_execz .LBB1_380
; %bb.373:
	v_dual_mov_b32 v10, 0 :: v_dual_mov_b32 v11, s4
	v_mov_b32_e32 v12, s5
	s_clause 0x1
	global_load_b64 v[13:14], v10, s[2:3] offset:32 glc
	global_load_b64 v[0:1], v10, s[2:3] offset:40
	s_waitcnt vmcnt(0)
	v_readfirstlane_b32 s10, v0
	v_readfirstlane_b32 s11, v1
	s_delay_alu instid0(VALU_DEP_1) | instskip(NEXT) | instid1(SALU_CYCLE_1)
	s_and_b64 s[10:11], s[10:11], s[4:5]
	s_mul_i32 s7, s11, 24
	s_mul_hi_u32 s11, s10, 24
	s_mul_i32 s10, s10, 24
	s_add_i32 s11, s11, s7
	v_add_co_u32 v4, vcc_lo, v4, s10
	v_add_co_ci_u32_e32 v5, vcc_lo, s11, v5, vcc_lo
	s_mov_b32 s7, exec_lo
	global_store_b64 v[4:5], v[13:14], off
	s_waitcnt_vscnt null, 0x0
	global_atomic_cmpswap_b64 v[2:3], v10, v[11:14], s[2:3] offset:32 glc
	s_waitcnt vmcnt(0)
	v_cmpx_ne_u64_e64 v[2:3], v[13:14]
	s_cbranch_execz .LBB1_376
; %bb.374:
	s_mov_b32 s10, 0
.LBB1_375:                              ; =>This Inner Loop Header: Depth=1
	v_dual_mov_b32 v0, s4 :: v_dual_mov_b32 v1, s5
	s_sleep 1
	global_store_b64 v[4:5], v[2:3], off
	s_waitcnt_vscnt null, 0x0
	global_atomic_cmpswap_b64 v[0:1], v10, v[0:3], s[2:3] offset:32 glc
	s_waitcnt vmcnt(0)
	v_cmp_eq_u64_e32 vcc_lo, v[0:1], v[2:3]
	v_dual_mov_b32 v3, v1 :: v_dual_mov_b32 v2, v0
	s_or_b32 s10, vcc_lo, s10
	s_delay_alu instid0(SALU_CYCLE_1)
	s_and_not1_b32 exec_lo, exec_lo, s10
	s_cbranch_execnz .LBB1_375
.LBB1_376:
	s_or_b32 exec_lo, exec_lo, s7
	v_mov_b32_e32 v3, 0
	s_mov_b32 s10, exec_lo
	s_mov_b32 s7, exec_lo
	v_mbcnt_lo_u32_b32 v2, s10, 0
	global_load_b64 v[0:1], v3, s[2:3] offset:16
	v_cmpx_eq_u32_e32 0, v2
	s_cbranch_execz .LBB1_378
; %bb.377:
	s_bcnt1_i32_b32 s10, s10
	s_delay_alu instid0(SALU_CYCLE_1)
	v_mov_b32_e32 v2, s10
	s_waitcnt vmcnt(0)
	global_atomic_add_u64 v[0:1], v[2:3], off offset:8
.LBB1_378:
	s_or_b32 exec_lo, exec_lo, s7
	s_waitcnt vmcnt(0)
	global_load_b64 v[2:3], v[0:1], off offset:16
	s_waitcnt vmcnt(0)
	v_cmp_eq_u64_e32 vcc_lo, 0, v[2:3]
	s_cbranch_vccnz .LBB1_380
; %bb.379:
	global_load_b32 v0, v[0:1], off offset:24
	s_waitcnt vmcnt(0)
	v_dual_mov_b32 v1, 0 :: v_dual_and_b32 v4, 0xffffff, v0
	s_waitcnt_vscnt null, 0x0
	global_store_b64 v[2:3], v[0:1], off
	v_readfirstlane_b32 m0, v4
	s_sendmsg sendmsg(MSG_INTERRUPT)
.LBB1_380:
	s_or_b32 exec_lo, exec_lo, s6
	s_branch .LBB1_384
	.p2align	6
.LBB1_381:                              ;   in Loop: Header=BB1_384 Depth=1
	s_or_b32 exec_lo, exec_lo, s6
	s_delay_alu instid0(VALU_DEP_1) | instskip(NEXT) | instid1(VALU_DEP_1)
	v_readfirstlane_b32 s6, v0
	s_cmp_eq_u32 s6, 0
	s_cbranch_scc1 .LBB1_383
; %bb.382:                              ;   in Loop: Header=BB1_384 Depth=1
	s_sleep 1
	s_cbranch_execnz .LBB1_384
	s_branch .LBB1_386
	.p2align	6
.LBB1_383:
	s_branch .LBB1_386
.LBB1_384:                              ; =>This Inner Loop Header: Depth=1
	v_mov_b32_e32 v0, 1
	s_and_saveexec_b32 s6, s0
	s_cbranch_execz .LBB1_381
; %bb.385:                              ;   in Loop: Header=BB1_384 Depth=1
	global_load_b32 v0, v[8:9], off offset:20 glc
	s_waitcnt vmcnt(0)
	buffer_gl1_inv
	buffer_gl0_inv
	v_and_b32_e32 v0, 1, v0
	s_branch .LBB1_381
.LBB1_386:
	global_load_b64 v[0:1], v[6:7], off
	s_and_saveexec_b32 s6, s0
	s_cbranch_execz .LBB1_390
; %bb.387:
	v_mov_b32_e32 v8, 0
	s_clause 0x2
	global_load_b64 v[4:5], v8, s[2:3] offset:40
	global_load_b64 v[9:10], v8, s[2:3] offset:24 glc
	global_load_b64 v[6:7], v8, s[2:3]
	s_waitcnt vmcnt(2)
	v_add_co_u32 v11, vcc_lo, v4, 1
	v_add_co_ci_u32_e32 v12, vcc_lo, 0, v5, vcc_lo
	s_delay_alu instid0(VALU_DEP_2) | instskip(NEXT) | instid1(VALU_DEP_2)
	v_add_co_u32 v2, vcc_lo, v11, s4
	v_add_co_ci_u32_e32 v3, vcc_lo, s5, v12, vcc_lo
	s_delay_alu instid0(VALU_DEP_1) | instskip(SKIP_1) | instid1(VALU_DEP_1)
	v_cmp_eq_u64_e32 vcc_lo, 0, v[2:3]
	v_dual_cndmask_b32 v3, v3, v12 :: v_dual_cndmask_b32 v2, v2, v11
	v_and_b32_e32 v5, v3, v5
	s_delay_alu instid0(VALU_DEP_2) | instskip(NEXT) | instid1(VALU_DEP_2)
	v_and_b32_e32 v4, v2, v4
	v_mul_lo_u32 v5, v5, 24
	s_delay_alu instid0(VALU_DEP_2) | instskip(SKIP_1) | instid1(VALU_DEP_2)
	v_mul_hi_u32 v11, v4, 24
	v_mul_lo_u32 v4, v4, 24
	v_add_nc_u32_e32 v5, v11, v5
	s_waitcnt vmcnt(0)
	s_delay_alu instid0(VALU_DEP_2) | instskip(SKIP_1) | instid1(VALU_DEP_3)
	v_add_co_u32 v6, vcc_lo, v6, v4
	v_mov_b32_e32 v4, v9
	v_add_co_ci_u32_e32 v7, vcc_lo, v7, v5, vcc_lo
	v_mov_b32_e32 v5, v10
	global_store_b64 v[6:7], v[9:10], off
	s_waitcnt_vscnt null, 0x0
	global_atomic_cmpswap_b64 v[4:5], v8, v[2:5], s[2:3] offset:24 glc
	s_waitcnt vmcnt(0)
	v_cmp_ne_u64_e32 vcc_lo, v[4:5], v[9:10]
	s_and_b32 exec_lo, exec_lo, vcc_lo
	s_cbranch_execz .LBB1_390
; %bb.388:
	s_mov_b32 s0, 0
.LBB1_389:                              ; =>This Inner Loop Header: Depth=1
	s_sleep 1
	global_store_b64 v[6:7], v[4:5], off
	s_waitcnt_vscnt null, 0x0
	global_atomic_cmpswap_b64 v[9:10], v8, v[2:5], s[2:3] offset:24 glc
	s_waitcnt vmcnt(0)
	v_cmp_eq_u64_e32 vcc_lo, v[9:10], v[4:5]
	v_dual_mov_b32 v4, v9 :: v_dual_mov_b32 v5, v10
	s_or_b32 s0, vcc_lo, s0
	s_delay_alu instid0(SALU_CYCLE_1)
	s_and_not1_b32 exec_lo, exec_lo, s0
	s_cbranch_execnz .LBB1_389
.LBB1_390:
	s_or_b32 exec_lo, exec_lo, s6
.LBB1_391:
	s_delay_alu instid0(SALU_CYCLE_1)
	s_or_b32 exec_lo, exec_lo, s1
	s_getpc_b64 s[0:1]
	s_add_u32 s0, s0, .str.1@rel32@lo+4
	s_addc_u32 s1, s1, .str.1@rel32@hi+12
	s_getpc_b64 s[2:3]
	s_add_u32 s2, s2, .str.1@rel32@lo+32
	s_addc_u32 s3, s3, .str.1@rel32@hi+40
	s_sub_i32 s4, s2, s0
	s_getpc_b64 s[2:3]
	s_add_u32 s2, s2, __ockl_fprintf_append_string_n@rel32@lo+4
	s_addc_u32 s3, s3, __ockl_fprintf_append_string_n@rel32@hi+12
	s_ashr_i32 s5, s4, 31
	s_waitcnt vmcnt(0)
	v_dual_mov_b32 v2, s0 :: v_dual_mov_b32 v3, s1
	v_dual_mov_b32 v4, s4 :: v_dual_mov_b32 v5, s5
	v_mov_b32_e32 v6, 1
	s_swappc_b64 s[30:31], s[2:3]
	s_trap 2
	s_sendmsg_rtn_b32 s0, sendmsg(MSG_RTN_GET_DOORBELL)
	s_mov_b32 ttmp2, m0
	s_waitcnt lgkmcnt(0)
	s_and_b32 s0, s0, 0x3ff
	s_delay_alu instid0(SALU_CYCLE_1) | instskip(NEXT) | instid1(SALU_CYCLE_1)
	s_bitset1_b32 s0, 10
	s_mov_b32 m0, s0
	s_sendmsg sendmsg(MSG_INTERRUPT)
	s_mov_b32 m0, ttmp2
.LBB1_392:                              ; =>This Inner Loop Header: Depth=1
	s_sethalt 5
	s_branch .LBB1_392
.Lfunc_end1:
	.size	__assert_fail, .Lfunc_end1-__assert_fail
                                        ; -- End function
	.section	.AMDGPU.csdata,"",@progbits
; Function info:
; codeLenInByte = 16148
; NumSgprs: 36
; NumVgprs: 41
; ScratchSize: 64
; MemoryBound: 0
	.text
	.p2align	2                               ; -- Begin function _ZN12_GLOBAL__N_17runRingI11rccl_float87FuncSumIS1_E11ProtoSimpleILi2ELi2ELi0ELi1ELi0ELi0EELi0ELi0ELi1ELi0EEEviiP15ncclDevWorkColl
	.type	_ZN12_GLOBAL__N_17runRingI11rccl_float87FuncSumIS1_E11ProtoSimpleILi2ELi2ELi0ELi1ELi0ELi0EELi0ELi0ELi1ELi0EEEviiP15ncclDevWorkColl,@function
_ZN12_GLOBAL__N_17runRingI11rccl_float87FuncSumIS1_E11ProtoSimpleILi2ELi2ELi0ELi1ELi0ELi0EELi0ELi0ELi1ELi0EEEviiP15ncclDevWorkColl: ; @_ZN12_GLOBAL__N_17runRingI11rccl_float87FuncSumIS1_E11ProtoSimpleILi2ELi2ELi0ELi1ELi0ELi0EELi0ELi0ELi1ELi0EEEviiP15ncclDevWorkColl
; %bb.0:
	s_waitcnt vmcnt(0) expcnt(0) lgkmcnt(0)
	s_mov_b32 s0, s33
	s_mov_b32 s33, s32
	s_or_saveexec_b32 s1, -1
	s_clause 0x1
	scratch_store_b32 off, v41, s33 offset:4
	; meta instruction
	scratch_store_b32 off, v42, s33 offset:8
	s_mov_b32 exec_lo, s1
	v_writelane_b32 v41, s0, 13
	s_add_i32 s32, s32, 16
	scratch_store_b32 off, v40, s33         ; 4-byte Folded Spill
	v_writelane_b32 v41, s34, 0
	v_writelane_b32 v41, s35, 1
	;; [unrolled: 1-line block ×13, first 2 shown]
	s_cbranch_execz .LBB2_1
; %bb.4886:
	s_getpc_b64 s[46:47]
.Lpost_getpc0:
	s_add_u32 s46, s46, (.LBB2_4348-.Lpost_getpc0)&4294967295
	s_addc_u32 s47, s47, (.LBB2_4348-.Lpost_getpc0)>>32
	s_setpc_b64 s[46:47]
.LBB2_1:
	flat_load_b32 v7, v[2:3]
	ds_load_b32 v6, v0
	s_mov_b32 s0, exec_lo
                                        ; implicit-def: $vgpr14_vgpr15
                                        ; implicit-def: $vgpr16_vgpr17
                                        ; implicit-def: $vgpr4_vgpr5
	s_waitcnt lgkmcnt(0)
	v_readfirstlane_b32 s19, v6
	s_waitcnt vmcnt(0)
	v_and_b32_e32 v8, 0xff, v7
	s_delay_alu instid0(VALU_DEP_1)
	v_cmpx_ne_u32_e64 v8, v6
	s_xor_b32 s0, exec_lo, s0
	s_cbranch_execz .LBB2_2
; %bb.4888:
	s_getpc_b64 s[46:47]
.Lpost_getpc1:
	s_add_u32 s46, s46, (.LBB2_4350-.Lpost_getpc1)&4294967295
	s_addc_u32 s47, s47, (.LBB2_4350-.Lpost_getpc1)>>32
	s_setpc_b64 s[46:47]
.LBB2_2:
	s_and_not1_saveexec_b32 s0, s0
	s_cbranch_execz .LBB2_3
; %bb.4890:
	s_getpc_b64 s[46:47]
.Lpost_getpc2:
	s_add_u32 s46, s46, (.LBB2_4355-.Lpost_getpc2)&4294967295
	s_addc_u32 s47, s47, (.LBB2_4355-.Lpost_getpc2)>>32
	s_setpc_b64 s[46:47]
.LBB2_3:
	s_or_b32 exec_lo, exec_lo, s0
	s_cbranch_execz .LBB2_4
; %bb.4892:
	s_getpc_b64 s[46:47]
.Lpost_getpc3:
	s_add_u32 s46, s46, (.LBB2_4356-.Lpost_getpc3)&4294967295
	s_addc_u32 s47, s47, (.LBB2_4356-.Lpost_getpc3)>>32
	s_setpc_b64 s[46:47]
.LBB2_4:
	ds_load_b64 v[6:7], v0
	s_mov_b32 s1, exec_lo
	s_waitcnt lgkmcnt(0)
	v_cmp_ne_u32_e32 vcc_lo, -1, v6
	v_cndmask_b32_e64 v15, 0, 1, vcc_lo
	v_cmp_ne_u32_e32 vcc_lo, -1, v7
	s_delay_alu instid0(VALU_DEP_2) | instskip(NEXT) | instid1(VALU_DEP_1)
	v_add_co_ci_u32_e64 v8, s0, 0, v15, vcc_lo
	v_lshlrev_b32_e32 v6, 1, v8
	s_delay_alu instid0(VALU_DEP_1)
	v_cmpx_le_i32_e64 v6, v1
	s_xor_b32 s18, exec_lo, s1
	s_cbranch_execnz .LBB2_5
; %bb.4894:
	s_getpc_b64 s[46:47]
.Lpost_getpc4:
	s_add_u32 s46, s46, (.LBB2_4599-.Lpost_getpc4)&4294967295
	s_addc_u32 s47, s47, (.LBB2_4599-.Lpost_getpc4)>>32
	s_setpc_b64 s[46:47]
.LBB2_5:
	s_clause 0x3
	flat_load_b64 v[32:33], v[2:3] offset:104
	flat_load_b128 v[10:13], v[2:3] offset:16
	flat_load_u16 v7, v[2:3] offset:8
	flat_load_b32 v6, v[2:3] offset:4
	s_cbranch_execz .LBB2_6
; %bb.4896:
	s_getpc_b64 s[46:47]
.Lpost_getpc5:
	s_add_u32 s46, s46, (.LBB2_4358-.Lpost_getpc5)&4294967295
	s_addc_u32 s47, s47, (.LBB2_4358-.Lpost_getpc5)>>32
	s_setpc_b64 s[46:47]
.LBB2_6:
	s_load_b32 s0, s[8:9], 0x0
	v_dual_mov_b32 v9, 0 :: v_dual_mov_b32 v30, 4
	s_waitcnt lgkmcnt(0)
	s_cmp_lt_u32 s12, s0
	s_cselect_b32 s0, 12, 18
	s_delay_alu instid0(SALU_CYCLE_1)
	s_add_u32 s0, s8, s0
	s_addc_u32 s1, s9, 0
	global_load_u16 v36, v9, s[0:1]
	ds_load_b32 v9, v0
	s_mov_b32 s1, exec_lo
	s_waitcnt lgkmcnt(0)
	v_readfirstlane_b32 s5, v9
	v_cmpx_ge_i32_e64 v0, v15
	s_cbranch_execz .LBB2_16
; %bb.7:
	v_cmp_le_u32_e64 s0, v8, v0
                                        ; implicit-def: $vgpr30
	s_delay_alu instid0(VALU_DEP_1) | instskip(NEXT) | instid1(SALU_CYCLE_1)
	s_and_saveexec_b32 s2, s0
	s_xor_b32 s0, exec_lo, s2
	s_cbranch_execz .LBB2_13
; %bb.8:
	v_cndmask_b32_e64 v9, 0, 1, vcc_lo
	s_mov_b32 s2, exec_lo
                                        ; implicit-def: $sgpr3
	s_delay_alu instid0(VALU_DEP_1) | instskip(NEXT) | instid1(VALU_DEP_1)
	v_sub_nc_u32_e32 v9, v1, v9
	v_cmpx_ge_u32_e64 v0, v9
	s_xor_b32 s2, exec_lo, s2
; %bb.9:
	s_mov_b32 s3, 16
                                        ; implicit-def: $vgpr8
; %bb.10:
	s_or_saveexec_b32 s2, s2
	v_mov_b32_e32 v30, s3
	s_xor_b32 exec_lo, exec_lo, s2
; %bb.11:
	v_sub_nc_u32_e32 v8, v1, v8
	s_delay_alu instid0(VALU_DEP_1) | instskip(SKIP_1) | instid1(VALU_DEP_1)
	v_cmp_ge_i32_e32 vcc_lo, v0, v8
	v_cndmask_b32_e64 v8, 0, 1, vcc_lo
	v_lshlrev_b32_e32 v30, 5, v8
; %bb.12:
	s_or_b32 exec_lo, exec_lo, s2
.LBB2_13:
	s_and_not1_saveexec_b32 s0, s0
; %bb.14:
	v_mov_b32_e32 v30, 8
; %bb.15:
	s_or_b32 exec_lo, exec_lo, s0
.LBB2_16:
	s_delay_alu instid0(SALU_CYCLE_1) | instskip(NEXT) | instid1(VALU_DEP_1)
	s_or_b32 exec_lo, exec_lo, s1
	v_and_b32_e32 v8, 36, v30
	s_delay_alu instid0(VALU_DEP_1)
	v_cmp_ne_u32_e32 vcc_lo, 0, v8
	v_mov_b32_e32 v8, -1
	s_and_saveexec_b32 s0, vcc_lo
	s_cbranch_execz .LBB2_19
; %bb.17:
	s_cbranch_execz .LBB2_18
; %bb.4898:
	s_getpc_b64 s[46:47]
.Lpost_getpc6:
	s_add_u32 s46, s46, (.LBB2_4360-.Lpost_getpc6)&4294967295
	s_addc_u32 s47, s47, (.LBB2_4360-.Lpost_getpc6)>>32
	s_setpc_b64 s[46:47]
.LBB2_18:
	ds_load_b32 v8, v0
.LBB2_19:
	s_or_b32 exec_lo, exec_lo, s0
	v_and_b32_e32 v9, 24, v30
	s_mov_b32 s1, exec_lo
	s_delay_alu instid0(VALU_DEP_1)
	v_cmpx_ne_u32_e32 0, v9
	s_cbranch_execz .LBB2_22
; %bb.20:
	s_cbranch_execz .LBB2_21
; %bb.4900:
	s_getpc_b64 s[46:47]
.Lpost_getpc7:
	s_add_u32 s46, s46, (.LBB2_4362-.Lpost_getpc7)&4294967295
	s_addc_u32 s47, s47, (.LBB2_4362-.Lpost_getpc7)>>32
	s_setpc_b64 s[46:47]
.LBB2_21:
	s_waitcnt lgkmcnt(0)
	ds_load_b32 v8, v0
.LBB2_22:
	s_or_b32 exec_lo, exec_lo, s1
	s_waitcnt vmcnt(1)
	v_lshrrev_b64 v[6:7], 31, v[6:7]
	v_mov_b32_e32 v20, 0
	v_mov_b32_e32 v21, 0
                                        ; implicit-def: $vgpr18_vgpr19
                                        ; implicit-def: $vgpr80
                                        ; implicit-def: $vgpr24_vgpr25
                                        ; implicit-def: $vgpr26_vgpr27
                                        ; implicit-def: $vgpr34_vgpr35
                                        ; implicit-def: $vgpr22_vgpr23
	s_delay_alu instid0(VALU_DEP_2) | instskip(NEXT) | instid1(VALU_DEP_2)
	v_dual_mov_b32 v6, v20 :: v_dual_and_b32 v37, 3, v6
	v_mov_b32_e32 v7, v21
	s_and_saveexec_b32 s0, vcc_lo
	s_cbranch_execz .LBB2_35
; %bb.23:
	s_cbranch_execz .LBB2_24
; %bb.4902:
	s_getpc_b64 s[46:47]
.Lpost_getpc8:
	s_add_u32 s46, s46, (.LBB2_4364-.Lpost_getpc8)&4294967295
	s_addc_u32 s47, s47, (.LBB2_4364-.Lpost_getpc8)>>32
	s_setpc_b64 s[46:47]
.LBB2_24:
	ds_load_b64 v[6:7], v0
	s_waitcnt lgkmcnt(1)
	v_ashrrev_i32_e32 v9, 31, v8
	s_mov_b32 s1, exec_lo
	s_delay_alu instid0(VALU_DEP_1) | instskip(SKIP_2) | instid1(VALU_DEP_2)
	v_lshlrev_b64 v[18:19], 3, v[8:9]
	v_and_b32_e32 v9, 0xffff, v37
	s_waitcnt lgkmcnt(0)
	v_add_co_u32 v6, vcc_lo, v6, v18
	s_delay_alu instid0(VALU_DEP_3)
	v_add_co_ci_u32_e32 v7, vcc_lo, v7, v19, vcc_lo
	flat_load_b64 v[6:7], v[6:7]
	s_waitcnt vmcnt(0) lgkmcnt(0)
	v_mad_u64_u32 v[18:19], null, 0xa8, v9, v[6:7]
	flat_load_b32 v6, v[18:19] offset:640
	v_add_co_u32 v20, vcc_lo, 0x1f8, v18
	v_add_co_ci_u32_e32 v21, vcc_lo, 0, v19, vcc_lo
                                        ; implicit-def: $vgpr18_vgpr19
	s_waitcnt vmcnt(0) lgkmcnt(0)
	v_cmpx_eq_u32_e32 1, v6
	s_cbranch_execz .LBB2_27
; %bb.25:
	flat_load_b64 v[18:19], v[20:21] offset:144
	s_waitcnt vmcnt(0) lgkmcnt(0)
	flat_load_b64 v[6:7], v[18:19]
	s_cbranch_execz .LBB2_26
; %bb.4904:
	s_getpc_b64 s[46:47]
.Lpost_getpc9:
	s_add_u32 s46, s46, (.LBB2_4372-.Lpost_getpc9)&4294967295
	s_addc_u32 s47, s47, (.LBB2_4372-.Lpost_getpc9)>>32
	s_setpc_b64 s[46:47]
.LBB2_26:
	s_waitcnt vmcnt(0) lgkmcnt(0)
	ds_store_b64 v0, v[6:7]
	flat_load_b64 v[6:7], v[18:19] offset:8
	v_or_b32_e32 v30, 0x2000, v30
	s_waitcnt vmcnt(0) lgkmcnt(0)
	ds_store_b64 v0, v[6:7]
	flat_load_b64 v[6:7], v[18:19] offset:16
	s_waitcnt vmcnt(0) lgkmcnt(0)
	ds_store_b64 v0, v[6:7]
.LBB2_27:
	s_or_b32 exec_lo, exec_lo, s1
	flat_load_b64 v[6:7], v[20:21] offset:104
	v_and_b32_e32 v9, 32, v30
	s_mov_b32 s1, exec_lo
                                        ; implicit-def: $vgpr22_vgpr23
	s_waitcnt vmcnt(0) lgkmcnt(0)
	v_add_co_u32 v6, vcc_lo, v6, 3
	v_add_co_ci_u32_e32 v25, vcc_lo, 0, v7, vcc_lo
	s_delay_alu instid0(VALU_DEP_2)
	v_and_b32_e32 v24, -4, v6
	v_cmpx_ne_u32_e32 0, v9
	s_cbranch_execz .LBB2_29
; %bb.28:
	flat_load_b64 v[22:23], v[20:21] offset:56
	s_waitcnt vmcnt(0) lgkmcnt(0)
	s_waitcnt_vscnt null, 0x0
	flat_store_b64 v[22:23], v[24:25]
.LBB2_29:
	s_or_b32 exec_lo, exec_lo, s1
	v_dual_mov_b32 v6, 0 :: v_dual_and_b32 v9, 4, v30
	v_mov_b32_e32 v7, 0
	s_mov_b32 s1, exec_lo
                                        ; implicit-def: $vgpr80
                                        ; implicit-def: $vgpr26_vgpr27
                                        ; implicit-def: $vgpr34_vgpr35
	s_delay_alu instid0(VALU_DEP_2)
	v_cmpx_ne_u32_e32 0, v9
	s_cbranch_execz .LBB2_34
; %bb.30:
	v_and_b32_e32 v6, 0x800, v30
	s_mov_b32 s2, exec_lo
	s_delay_alu instid0(VALU_DEP_1)
	v_cmpx_eq_u32_e32 0, v6
	s_cbranch_execz .LBB2_33
; %bb.31:
	s_cbranch_execz .LBB2_32
; %bb.4906:
	s_getpc_b64 s[46:47]
.Lpost_getpc10:
	s_add_u32 s46, s46, (.LBB2_4374-.Lpost_getpc10)&4294967295
	s_addc_u32 s47, s47, (.LBB2_4374-.Lpost_getpc10)>>32
	s_setpc_b64 s[46:47]
.LBB2_32:
	ds_store_b64 v0, v[20:21]
.LBB2_33:
	s_or_b32 exec_lo, exec_lo, s2
	flat_load_b64 v[22:23], v[20:21] offset:48
	v_or_b32_e32 v9, 0x100, v30
	s_waitcnt vmcnt(0) lgkmcnt(0)
	flat_load_b64 v[34:35], v[22:23] glc
	s_clause 0x2
	flat_load_b64 v[6:7], v[20:21] offset:96
	flat_load_b32 v80, v[20:21] offset:72
	flat_load_b64 v[26:27], v[20:21] offset:16
	s_waitcnt vmcnt(2) lgkmcnt(2)
	v_cmp_eq_u64_e32 vcc_lo, 0, v[6:7]
	v_cndmask_b32_e32 v30, v9, v30, vcc_lo
.LBB2_34:
	s_or_b32 exec_lo, exec_lo, s1
.LBB2_35:
	s_delay_alu instid0(SALU_CYCLE_1) | instskip(NEXT) | instid1(VALU_DEP_1)
	s_or_b32 exec_lo, exec_lo, s0
	v_and_b32_e32 v9, 24, v30
	s_mov_b32 s0, exec_lo
                                        ; implicit-def: $vgpr28_vgpr29
	s_delay_alu instid0(VALU_DEP_1)
	v_cmpx_ne_u32_e32 0, v9
	s_cbranch_execz .LBB2_45
; %bb.36:
	s_cbranch_execz .LBB2_37
; %bb.4908:
	s_getpc_b64 s[46:47]
.Lpost_getpc11:
	s_add_u32 s46, s46, (.LBB2_4366-.Lpost_getpc11)&4294967295
	s_addc_u32 s47, s47, (.LBB2_4366-.Lpost_getpc11)>>32
	s_setpc_b64 s[46:47]
.LBB2_37:
	ds_load_b64 v[6:7], v0
	s_waitcnt lgkmcnt(1)
	v_ashrrev_i32_e32 v9, 31, v8
	v_or_b32_e32 v24, 0x100, v30
	s_mov_b32 s1, exec_lo
                                        ; implicit-def: $vgpr28_vgpr29
	s_delay_alu instid0(VALU_DEP_2) | instskip(SKIP_1) | instid1(VALU_DEP_1)
	v_lshlrev_b64 v[8:9], 3, v[8:9]
	s_waitcnt lgkmcnt(0)
	v_add_co_u32 v6, vcc_lo, v6, v8
	s_delay_alu instid0(VALU_DEP_2)
	v_add_co_ci_u32_e32 v7, vcc_lo, v7, v9, vcc_lo
	v_and_b32_e32 v8, 0xffff, v37
	flat_load_b64 v[6:7], v[6:7]
	s_waitcnt vmcnt(0) lgkmcnt(0)
	v_mad_u64_u32 v[20:21], null, 0xa8, v8, v[6:7]
	flat_load_b128 v[6:9], v[20:21] offset:96
	s_waitcnt vmcnt(0) lgkmcnt(0)
	v_cmp_eq_u64_e32 vcc_lo, 0, v[6:7]
	v_cndmask_b32_e32 v30, v24, v30, vcc_lo
	s_delay_alu instid0(VALU_DEP_1) | instskip(NEXT) | instid1(VALU_DEP_1)
	v_and_b32_e32 v24, 16, v30
	v_cmpx_ne_u32_e32 0, v24
; %bb.38:
	s_clause 0x2
	flat_load_b64 v[28:29], v[20:21] offset:120
	flat_load_b64 v[22:23], v[20:21] offset:48
	;; [unrolled: 1-line block ×3, first 2 shown]
; %bb.39:
	s_or_b32 exec_lo, exec_lo, s1
	v_and_b32_e32 v24, 8, v30
	s_mov_b32 s1, exec_lo
	s_delay_alu instid0(VALU_DEP_1)
	v_cmpx_ne_u32_e32 0, v24
	s_cbranch_execz .LBB2_44
; %bb.40:
	s_waitcnt vmcnt(1) lgkmcnt(1)
	v_and_b32_e32 v22, 0x800, v30
	s_mov_b32 s2, exec_lo
	s_delay_alu instid0(VALU_DEP_1)
	v_cmpx_eq_u32_e32 0, v22
	s_cbranch_execz .LBB2_43
; %bb.41:
	s_cbranch_execz .LBB2_42
; %bb.4910:
	s_getpc_b64 s[46:47]
.Lpost_getpc12:
	s_add_u32 s46, s46, (.LBB2_4376-.Lpost_getpc12)&4294967295
	s_addc_u32 s47, s47, (.LBB2_4376-.Lpost_getpc12)>>32
	s_setpc_b64 s[46:47]
.LBB2_42:
	ds_store_b64 v0, v[20:21]
.LBB2_43:
	s_or_b32 exec_lo, exec_lo, s2
	flat_load_b64 v[22:23], v[20:21] offset:56
	s_waitcnt vmcnt(0) lgkmcnt(0)
	flat_load_b64 v[34:35], v[22:23] glc
	s_clause 0x1
	flat_load_b32 v80, v[20:21] offset:72
	flat_load_b64 v[26:27], v[20:21] offset:16
.LBB2_44:
	s_or_b32 exec_lo, exec_lo, s1
	v_add_co_u32 v8, vcc_lo, v8, 3
	v_add_co_ci_u32_e32 v25, vcc_lo, 0, v9, vcc_lo
	s_delay_alu instid0(VALU_DEP_2)
	v_and_b32_e32 v24, -4, v8
.LBB2_45:
	s_or_b32 exec_lo, exec_lo, s0
	v_cmp_eq_u32_e64 s0, 0, v0
	s_delay_alu instid0(VALU_DEP_1)
	s_and_saveexec_b32 s1, s0
	s_cbranch_execz .LBB2_48
; %bb.46:
	s_waitcnt lgkmcnt(0)
	flat_load_b64 v[8:9], v[2:3] offset:32
	ds_store_2addr_b64 v0, v[12:13], v[10:11] offset1:1
	s_cbranch_execz .LBB2_47
; %bb.4912:
	s_getpc_b64 s[46:47]
.Lpost_getpc13:
	s_add_u32 s46, s46, (.LBB2_4368-.Lpost_getpc13)&4294967295
	s_addc_u32 s47, s47, (.LBB2_4368-.Lpost_getpc13)>>32
	s_setpc_b64 s[46:47]
.LBB2_47:
	s_waitcnt vmcnt(0) lgkmcnt(1)
	ds_store_b64 v0, v[8:9]
	ds_store_b64 v0, v[32:33]
.LBB2_48:
	s_or_b32 exec_lo, exec_lo, s1
	s_waitcnt vmcnt(0)
	v_dual_mov_b32 v32, 0 :: v_dual_and_b32 v81, 0xffff, v36
	v_mov_b32_e32 v33, 0
	s_mov_b32 s20, exec_lo
	v_cmpx_lt_i64_e32 0, v[4:5]
	s_cbranch_execnz .LBB2_49
; %bb.4914:
	s_getpc_b64 s[46:47]
.Lpost_getpc14:
	s_add_u32 s46, s46, (.LBB2_4342-.Lpost_getpc14)&4294967295
	s_addc_u32 s47, s47, (.LBB2_4342-.Lpost_getpc14)>>32
	s_setpc_b64 s[46:47]
.LBB2_49:
	s_waitcnt lgkmcnt(0)
	flat_load_b32 v8, v[2:3] offset:4
	v_dual_mov_b32 v3, 0 :: v_dual_and_b32 v2, 31, v31
	s_ashr_i32 s21, s19, 31
	s_add_u32 s22, s19, -1
	s_addc_u32 s23, s21, -1
	s_not_b32 s2, s19
	v_cmp_ge_i32_e32 vcc_lo, v0, v1
	v_cmp_eq_u32_e64 s1, 0, v2
	s_cmp_gt_i32 s19, 0
	s_cselect_b32 s26, s2, -1
	s_cbranch_execz .LBB2_50
; %bb.4916:
	s_getpc_b64 s[46:47]
.Lpost_getpc15:
	s_add_u32 s46, s46, (.LBB2_4370-.Lpost_getpc15)&4294967295
	s_addc_u32 s47, s47, (.LBB2_4370-.Lpost_getpc15)>>32
	s_setpc_b64 s[46:47]
.LBB2_50:
	v_ashrrev_i32_e32 v9, 31, v0
	v_lshrrev_b32_e32 v83, 5, v1
	v_and_b32_e32 v2, 0x3ffffe00, v14
	s_mov_b32 s2, 0
                                        ; implicit-def: $vgpr42 : SGPR spill to VGPR lane
	s_waitcnt vmcnt(0) lgkmcnt(0)
	v_and_b32_e32 v8, 1, v8
	v_lshrrev_b32_e32 v9, 27, v9
	v_writelane_b32 v42, s2, 0
	s_ashr_i32 s2, s5, 31
	s_add_i32 s25, s19, s19
	s_lshr_b32 s2, s2, 25
	v_dual_mov_b32 v48, 0 :: v_dual_add_nc_u32 v9, v0, v9
	v_dual_mov_b32 v49, 0 :: v_dual_lshlrev_b32 v86, 9, v83
	s_delay_alu instid0(VALU_DEP_2) | instskip(NEXT) | instid1(VALU_DEP_3)
	v_dual_mov_b32 v32, v48 :: v_dual_and_b32 v99, 0xffffffe0, v1
	v_dual_mov_b32 v119, 1 :: v_dual_and_b32 v10, 0xffffffe0, v9
	v_ashrrev_i32_e32 v84, 5, v9
	v_lshl_add_u32 v9, v83, 10, 0xfffffc00
	v_mov_b32_e32 v33, v49
	s_delay_alu instid0(VALU_DEP_4) | instskip(SKIP_4) | instid1(VALU_DEP_3)
	v_sub_nc_u32_e32 v85, v0, v10
	v_add_nc_u32_e32 v87, 0xfffffe00, v86
	v_dual_mov_b32 v51, v3 :: v_dual_lshlrev_b32 v10, 10, v84
	v_add_co_u32 v96, s7, 0x400, v9
	v_mov_b32_e32 v50, v2
	v_lshl_add_u32 v38, v85, 4, v10
	v_ashrrev_i32_e32 v10, 31, v9
	v_lshl_add_u32 v9, v83, 8, 0xffffff00
	v_ashrrev_i32_e32 v98, 31, v87
	v_subrev_nc_u32_e32 v102, 32, v99
	s_add_i32 s26, s26, s25
	v_add_co_ci_u32_e64 v97, s7, 0, v10, s7
	v_add_co_u32 v100, s7, 0x200, v87
	v_ashrrev_i32_e32 v10, 31, v9
	v_add_co_ci_u32_e64 v101, s7, 0, v98, s7
	v_add_co_u32 v103, s7, 0x100, v9
	v_ashrrev_i32_e32 v113, 31, v102
	s_delay_alu instid0(VALU_DEP_4) | instskip(SKIP_2) | instid1(VALU_DEP_3)
	v_add_co_ci_u32_e64 v112, s7, 0, v10, s7
	v_add_co_u32 v114, s7, v102, 32
	s_add_i32 s5, s5, s2
	v_add_co_ci_u32_e64 v115, s7, 0, v113, s7
	v_cmp_eq_u32_e64 s7, 1, v8
	s_ashr_i32 s27, s26, 31
	s_ashr_i32 s28, s5, 7
	s_cmp_gt_i32 s19, 2
	v_lshlrev_b32_e32 v116, 4, v0
	s_cselect_b32 s29, -1, 0
	s_add_i32 s2, s19, 1
	s_xor_b32 vcc_hi, s7, -1
	v_mad_i64_i32 v[36:37], null, v2, s19, 0
	s_cmp_le_i32 s19, s2
	v_cmp_eq_u64_e64 s10, 0, v[28:29]
	v_cmp_ne_u64_e64 s11, 0, v[28:29]
	s_cselect_b32 s4, s19, 0
	v_ashrrev_i32_e32 v82, 31, v80
	v_cmp_eq_u32_e64 s36, 32, v1
	v_cmp_ne_u32_e64 s37, 32, v1
	v_cmp_ne_u32_e64 s3, v81, v1
	v_cmp_gt_i32_e64 s5, 1, v85
	v_cmp_lt_i32_e64 s6, v85, v15
	v_ashrrev_i32_e32 v39, 31, v38
	v_cmp_le_i32_e64 s12, v85, v15
	v_sub_nc_u32_e32 v117, 0, v84
	v_ashrrev_i32_e32 v118, 31, v116
	s_sub_i32 s14, s2, s4
	s_add_i32 s31, s19, -2
	s_ashr_i32 s30, s14, 31
	s_xor_b32 s34, vcc_lo, -1
	s_sub_i32 s35, 0, s19
.LBB2_51:                               ; =>This Loop Header: Depth=1
                                        ;     Child Loop BB2_59 Depth 2
                                        ;       Child Loop BB2_68 Depth 3
                                        ;       Child Loop BB2_95 Depth 3
	;; [unrolled: 1-line block ×9, first 2 shown]
                                        ;     Child Loop BB2_222 Depth 2
                                        ;       Child Loop BB2_228 Depth 3
                                        ;       Child Loop BB2_255 Depth 3
                                        ;       Child Loop BB2_282 Depth 3
                                        ;     Child Loop BB2_303 Depth 2
                                        ;       Child Loop BB2_305 Depth 3
                                        ;         Child Loop BB2_314 Depth 4
                                        ;         Child Loop BB2_344 Depth 4
	;; [unrolled: 1-line block ×9, first 2 shown]
                                        ;       Child Loop BB2_1455 Depth 3
                                        ;         Child Loop BB2_1461 Depth 4
                                        ;         Child Loop BB2_1493 Depth 4
	;; [unrolled: 1-line block ×3, first 2 shown]
                                        ;     Child Loop BB2_1542 Depth 2
                                        ;       Child Loop BB2_1551 Depth 3
                                        ;       Child Loop BB2_1581 Depth 3
	;; [unrolled: 1-line block ×4, first 2 shown]
                                        ;         Child Loop BB2_1886 Depth 4
                                        ;       Child Loop BB2_2021 Depth 3
                                        ;         Child Loop BB2_2278 Depth 4
                                        ;       Child Loop BB2_2420 Depth 3
                                        ;       Child Loop BB2_2615 Depth 3
                                        ;         Child Loop BB2_2632 Depth 4
                                        ;       Child Loop BB2_2656 Depth 3
                                        ;       Child Loop BB2_3046 Depth 3
	;; [unrolled: 1-line block ×6, first 2 shown]
                                        ;     Child Loop BB2_3718 Depth 2
                                        ;       Child Loop BB2_3724 Depth 3
                                        ;       Child Loop BB2_3756 Depth 3
	;; [unrolled: 1-line block ×3, first 2 shown]
                                        ;     Child Loop BB2_3804 Depth 2
                                        ;       Child Loop BB2_3806 Depth 3
                                        ;         Child Loop BB2_3815 Depth 4
                                        ;         Child Loop BB2_3845 Depth 4
	;; [unrolled: 1-line block ×4, first 2 shown]
                                        ;           Child Loop BB2_3894 Depth 5
                                        ;         Child Loop BB2_3901 Depth 4
                                        ;           Child Loop BB2_3902 Depth 5
                                        ;         Child Loop BB2_3913 Depth 4
                                        ;         Child Loop BB2_3919 Depth 4
                                        ;           Child Loop BB2_3920 Depth 5
                                        ;         Child Loop BB2_3933 Depth 4
                                        ;         Child Loop BB2_3939 Depth 4
	;; [unrolled: 1-line block ×6, first 2 shown]
                                        ;       Child Loop BB2_4014 Depth 3
                                        ;         Child Loop BB2_4020 Depth 4
                                        ;         Child Loop BB2_4052 Depth 4
	;; [unrolled: 1-line block ×3, first 2 shown]
                                        ;     Child Loop BB2_4102 Depth 2
                                        ;       Child Loop BB2_4111 Depth 3
                                        ;       Child Loop BB2_4138 Depth 3
	;; [unrolled: 1-line block ×9, first 2 shown]
                                        ;     Child Loop BB2_4263 Depth 2
                                        ;       Child Loop BB2_4269 Depth 3
                                        ;       Child Loop BB2_4296 Depth 3
                                        ;       Child Loop BB2_4323 Depth 3
	v_sub_co_u32 v52, vcc_lo, v4, v48
	v_sub_co_ci_u32_e32 v53, vcc_lo, v5, v49, vcc_lo
	s_mov_b32 s2, exec_lo
	s_delay_alu instid0(VALU_DEP_1)
	v_cmpx_lt_i64_e64 v[52:53], v[36:37]
	s_cbranch_execz .LBB2_57
; %bb.52:                               ;   in Loop: Header=BB2_51 Depth=1
	v_add_co_u32 v2, vcc_lo, s22, v52
	v_add_co_ci_u32_e32 v10, vcc_lo, s23, v53, vcc_lo
	v_mov_b32_e32 v8, v3
	s_delay_alu instid0(VALU_DEP_2) | instskip(NEXT) | instid1(VALU_DEP_1)
	v_or_b32_e32 v9, s21, v10
	v_cmp_ne_u64_e32 vcc_lo, 0, v[8:9]
                                        ; implicit-def: $vgpr8_vgpr9
	s_and_saveexec_b32 s4, vcc_lo
	s_delay_alu instid0(SALU_CYCLE_1)
	s_xor_b32 s4, exec_lo, s4
	s_cbranch_execz .LBB2_54
; %bb.53:                               ;   in Loop: Header=BB2_51 Depth=1
	s_add_u32 s16, s19, s21
	s_mov_b32 s24, s27
	s_mov_b32 s27, s37
	;; [unrolled: 1-line block ×5, first 2 shown]
	s_addc_u32 s17, s21, s21
	s_delay_alu instid0(SALU_CYCLE_1) | instskip(NEXT) | instid1(SALU_CYCLE_1)
	s_xor_b64 s[16:17], s[16:17], s[14:15]
	v_cvt_f32_u32_e32 v8, s16
	v_cvt_f32_u32_e32 v9, s17
	s_sub_u32 s13, 0, s16
	s_subb_u32 s38, 0, s17
	s_delay_alu instid0(VALU_DEP_1) | instskip(NEXT) | instid1(VALU_DEP_1)
	v_fmac_f32_e32 v8, 0x4f800000, v9
	v_rcp_f32_e32 v8, v8
	s_waitcnt_depctr 0xfff
	v_mul_f32_e32 v8, 0x5f7ffffc, v8
	s_delay_alu instid0(VALU_DEP_1) | instskip(NEXT) | instid1(VALU_DEP_1)
	v_mul_f32_e32 v9, 0x2f800000, v8
	v_trunc_f32_e32 v9, v9
	s_delay_alu instid0(VALU_DEP_1) | instskip(SKIP_1) | instid1(VALU_DEP_2)
	v_fmac_f32_e32 v8, 0xcf800000, v9
	v_cvt_u32_f32_e32 v9, v9
	v_cvt_u32_f32_e32 v8, v8
	s_delay_alu instid0(VALU_DEP_2) | instskip(NEXT) | instid1(VALU_DEP_2)
	v_mul_lo_u32 v11, s13, v9
	v_mul_hi_u32 v12, s13, v8
	v_mul_lo_u32 v13, s38, v8
	s_delay_alu instid0(VALU_DEP_2) | instskip(SKIP_1) | instid1(VALU_DEP_2)
	v_add_nc_u32_e32 v11, v12, v11
	v_mul_lo_u32 v12, s13, v8
	v_add_nc_u32_e32 v11, v11, v13
	s_delay_alu instid0(VALU_DEP_2) | instskip(NEXT) | instid1(VALU_DEP_2)
	v_mul_hi_u32 v13, v8, v12
	v_mul_lo_u32 v14, v8, v11
	v_mul_hi_u32 v15, v8, v11
	v_mul_hi_u32 v50, v9, v12
	v_mul_lo_u32 v12, v9, v12
	v_mul_hi_u32 v51, v9, v11
	v_mul_lo_u32 v11, v9, v11
	v_add_co_u32 v13, vcc_lo, v13, v14
	v_add_co_ci_u32_e32 v14, vcc_lo, 0, v15, vcc_lo
	s_delay_alu instid0(VALU_DEP_2) | instskip(NEXT) | instid1(VALU_DEP_2)
	v_add_co_u32 v12, vcc_lo, v13, v12
	v_add_co_ci_u32_e32 v12, vcc_lo, v14, v50, vcc_lo
	v_add_co_ci_u32_e32 v13, vcc_lo, 0, v51, vcc_lo
	v_ashrrev_i32_e32 v50, 31, v10
	s_delay_alu instid0(VALU_DEP_3) | instskip(NEXT) | instid1(VALU_DEP_3)
	v_add_co_u32 v11, vcc_lo, v12, v11
	v_add_co_ci_u32_e32 v12, vcc_lo, 0, v13, vcc_lo
	s_delay_alu instid0(VALU_DEP_2) | instskip(NEXT) | instid1(VALU_DEP_2)
	v_add_co_u32 v8, vcc_lo, v8, v11
	v_add_co_ci_u32_e32 v9, vcc_lo, v9, v12, vcc_lo
	s_delay_alu instid0(VALU_DEP_2) | instskip(SKIP_1) | instid1(VALU_DEP_3)
	v_mul_hi_u32 v11, s13, v8
	v_mul_lo_u32 v13, s38, v8
	v_mul_lo_u32 v12, s13, v9
	s_delay_alu instid0(VALU_DEP_1) | instskip(SKIP_1) | instid1(VALU_DEP_2)
	v_add_nc_u32_e32 v11, v11, v12
	v_mul_lo_u32 v12, s13, v8
	v_add_nc_u32_e32 v11, v11, v13
	s_delay_alu instid0(VALU_DEP_2) | instskip(NEXT) | instid1(VALU_DEP_2)
	v_mul_hi_u32 v13, v8, v12
	v_mul_lo_u32 v14, v8, v11
	v_mul_hi_u32 v15, v8, v11
	v_mul_hi_u32 v51, v9, v12
	v_mul_lo_u32 v12, v9, v12
	v_mul_hi_u32 v54, v9, v11
	v_mul_lo_u32 v11, v9, v11
	v_add_co_u32 v13, vcc_lo, v13, v14
	v_add_co_ci_u32_e32 v14, vcc_lo, 0, v15, vcc_lo
	s_delay_alu instid0(VALU_DEP_2) | instskip(NEXT) | instid1(VALU_DEP_2)
	v_add_co_u32 v12, vcc_lo, v13, v12
	v_add_co_ci_u32_e32 v12, vcc_lo, v14, v51, vcc_lo
	v_add_co_ci_u32_e32 v13, vcc_lo, 0, v54, vcc_lo
	v_add_co_u32 v2, vcc_lo, v2, v50
	v_add_co_ci_u32_e32 v10, vcc_lo, v10, v50, vcc_lo
	s_delay_alu instid0(VALU_DEP_4) | instskip(NEXT) | instid1(VALU_DEP_4)
	v_add_co_u32 v11, vcc_lo, v12, v11
	v_add_co_ci_u32_e32 v12, vcc_lo, 0, v13, vcc_lo
	s_delay_alu instid0(VALU_DEP_4) | instskip(NEXT) | instid1(VALU_DEP_3)
	v_xor_b32_e32 v2, v2, v50
	v_add_co_u32 v13, vcc_lo, v8, v11
	s_delay_alu instid0(VALU_DEP_3) | instskip(SKIP_1) | instid1(VALU_DEP_3)
	v_add_co_ci_u32_e32 v14, vcc_lo, v9, v12, vcc_lo
	v_xor_b32_e32 v15, v10, v50
	v_mul_hi_u32 v51, v2, v13
	s_delay_alu instid0(VALU_DEP_3) | instskip(NEXT) | instid1(VALU_DEP_3)
	v_mad_u64_u32 v[8:9], null, v2, v14, 0
	v_mad_u64_u32 v[10:11], null, v15, v13, 0
	;; [unrolled: 1-line block ×3, first 2 shown]
	s_delay_alu instid0(VALU_DEP_3) | instskip(NEXT) | instid1(VALU_DEP_4)
	v_add_co_u32 v8, vcc_lo, v51, v8
	v_add_co_ci_u32_e32 v9, vcc_lo, 0, v9, vcc_lo
	s_delay_alu instid0(VALU_DEP_2) | instskip(NEXT) | instid1(VALU_DEP_2)
	v_add_co_u32 v8, vcc_lo, v8, v10
	v_add_co_ci_u32_e32 v8, vcc_lo, v9, v11, vcc_lo
	v_add_co_ci_u32_e32 v9, vcc_lo, 0, v13, vcc_lo
	s_delay_alu instid0(VALU_DEP_2) | instskip(NEXT) | instid1(VALU_DEP_2)
	v_add_co_u32 v10, vcc_lo, v8, v12
	v_add_co_ci_u32_e32 v11, vcc_lo, 0, v9, vcc_lo
	s_delay_alu instid0(VALU_DEP_2) | instskip(SKIP_1) | instid1(VALU_DEP_3)
	v_mul_lo_u32 v12, s17, v10
	v_mad_u64_u32 v[8:9], null, s16, v10, 0
	v_mul_lo_u32 v13, s16, v11
	s_delay_alu instid0(VALU_DEP_2) | instskip(NEXT) | instid1(VALU_DEP_2)
	v_sub_co_u32 v2, vcc_lo, v2, v8
	v_add3_u32 v9, v9, v13, v12
	s_delay_alu instid0(VALU_DEP_1) | instskip(NEXT) | instid1(VALU_DEP_1)
	v_sub_nc_u32_e32 v12, v15, v9
	v_subrev_co_ci_u32_e64 v8, s13, s17, v12, vcc_lo
	v_add_co_u32 v12, s13, v10, 2
	s_delay_alu instid0(VALU_DEP_1) | instskip(SKIP_3) | instid1(VALU_DEP_3)
	v_add_co_ci_u32_e64 v13, s13, 0, v11, s13
	v_sub_co_u32 v14, s13, v2, s16
	v_sub_co_ci_u32_e32 v9, vcc_lo, v15, v9, vcc_lo
	v_subrev_co_ci_u32_e64 v8, s13, 0, v8, s13
	v_cmp_le_u32_e32 vcc_lo, s16, v14
	s_delay_alu instid0(VALU_DEP_3) | instskip(SKIP_1) | instid1(VALU_DEP_4)
	v_cmp_eq_u32_e64 s13, s17, v9
	v_cndmask_b32_e64 v14, 0, -1, vcc_lo
	v_cmp_le_u32_e32 vcc_lo, s17, v8
	v_cndmask_b32_e64 v15, 0, -1, vcc_lo
	v_cmp_le_u32_e32 vcc_lo, s16, v2
	;; [unrolled: 2-line block ×3, first 2 shown]
	v_cndmask_b32_e64 v51, 0, -1, vcc_lo
	v_cmp_eq_u32_e32 vcc_lo, s17, v8
	s_delay_alu instid0(VALU_DEP_2) | instskip(SKIP_3) | instid1(VALU_DEP_3)
	v_cndmask_b32_e64 v2, v51, v2, s13
	v_cndmask_b32_e32 v8, v15, v14, vcc_lo
	v_add_co_u32 v14, vcc_lo, v10, 1
	v_add_co_ci_u32_e32 v15, vcc_lo, 0, v11, vcc_lo
	v_cmp_ne_u32_e32 vcc_lo, 0, v8
	s_delay_alu instid0(VALU_DEP_2)
	v_dual_cndmask_b32 v8, v15, v13 :: v_dual_cndmask_b32 v9, v14, v12
	v_cmp_ne_u32_e32 vcc_lo, 0, v2
	v_xor_b32_e32 v2, s14, v50
	s_mov_b32 s14, s37
	s_mov_b32 s37, s27
	;; [unrolled: 1-line block ×3, first 2 shown]
	v_dual_cndmask_b32 v8, v11, v8 :: v_dual_cndmask_b32 v9, v10, v9
	v_xor_b32_e32 v10, s15, v50
	s_delay_alu instid0(VALU_DEP_2) | instskip(NEXT) | instid1(VALU_DEP_2)
	v_xor_b32_e32 v9, v9, v2
	v_xor_b32_e32 v11, v8, v10
	s_delay_alu instid0(VALU_DEP_2) | instskip(NEXT) | instid1(VALU_DEP_2)
	v_sub_co_u32 v8, vcc_lo, v9, v2
	v_sub_co_ci_u32_e32 v9, vcc_lo, v11, v10, vcc_lo
                                        ; implicit-def: $vgpr2
.LBB2_54:                               ;   in Loop: Header=BB2_51 Depth=1
	s_and_not1_saveexec_b32 s4, s4
	s_cbranch_execz .LBB2_56
; %bb.55:                               ;   in Loop: Header=BB2_51 Depth=1
	v_cvt_f32_u32_e32 v8, s19
	s_delay_alu instid0(VALU_DEP_1) | instskip(SKIP_2) | instid1(VALU_DEP_1)
	v_rcp_iflag_f32_e32 v8, v8
	s_waitcnt_depctr 0xfff
	v_mul_f32_e32 v8, 0x4f7ffffe, v8
	v_cvt_u32_f32_e32 v8, v8
	s_delay_alu instid0(VALU_DEP_1) | instskip(NEXT) | instid1(VALU_DEP_1)
	v_mul_lo_u32 v9, s35, v8
	v_mul_hi_u32 v9, v8, v9
	s_delay_alu instid0(VALU_DEP_1) | instskip(NEXT) | instid1(VALU_DEP_1)
	v_add_nc_u32_e32 v8, v8, v9
	v_mul_hi_u32 v8, v2, v8
	s_delay_alu instid0(VALU_DEP_1) | instskip(NEXT) | instid1(VALU_DEP_1)
	v_mul_lo_u32 v9, v8, s19
	v_sub_nc_u32_e32 v2, v2, v9
	s_delay_alu instid0(VALU_DEP_1) | instskip(SKIP_1) | instid1(VALU_DEP_2)
	v_subrev_nc_u32_e32 v10, s19, v2
	v_cmp_le_u32_e32 vcc_lo, s19, v2
	v_dual_cndmask_b32 v2, v2, v10 :: v_dual_add_nc_u32 v9, 1, v8
	s_delay_alu instid0(VALU_DEP_1) | instskip(NEXT) | instid1(VALU_DEP_2)
	v_cndmask_b32_e32 v8, v8, v9, vcc_lo
	v_cmp_le_u32_e32 vcc_lo, s19, v2
	s_delay_alu instid0(VALU_DEP_2) | instskip(NEXT) | instid1(VALU_DEP_1)
	v_add_nc_u32_e32 v9, 1, v8
	v_cndmask_b32_e32 v2, v8, v9, vcc_lo
	s_delay_alu instid0(VALU_DEP_1)
	v_dual_mov_b32 v9, v3 :: v_dual_mov_b32 v8, v2
.LBB2_56:                               ;   in Loop: Header=BB2_51 Depth=1
	s_or_b32 exec_lo, exec_lo, s4
	s_delay_alu instid0(VALU_DEP_1) | instskip(NEXT) | instid1(VALU_DEP_2)
	v_add_co_u32 v2, vcc_lo, v8, 15
	v_add_co_ci_u32_e32 v51, vcc_lo, 0, v9, vcc_lo
	s_delay_alu instid0(VALU_DEP_2)
	v_and_b32_e32 v50, -16, v2
.LBB2_57:                               ;   in Loop: Header=BB2_51 Depth=1
	s_or_b32 exec_lo, exec_lo, s2
	s_delay_alu instid0(VALU_DEP_2) | instskip(NEXT) | instid1(VALU_DEP_2)
	v_mul_lo_u32 v2, v51, s26
	v_mul_lo_u32 v8, v50, s27
	v_mad_u64_u32 v[10:11], null, v50, s26, 0
	s_mov_b32 s16, 0
	v_mov_b32_e32 v55, 0
	s_delay_alu instid0(VALU_DEP_2) | instskip(NEXT) | instid1(VALU_DEP_3)
	v_add3_u32 v11, v11, v8, v2
	v_sub_co_u32 v8, vcc_lo, v52, v10
	s_delay_alu instid0(VALU_DEP_2) | instskip(NEXT) | instid1(VALU_DEP_1)
	v_sub_co_ci_u32_e32 v9, vcc_lo, v53, v11, vcc_lo
	v_cmp_lt_i64_e32 vcc_lo, v[50:51], v[8:9]
	v_cndmask_b32_e32 v8, v8, v50, vcc_lo
	v_add_co_u32 v128, vcc_lo, v48, v16
	v_add_co_ci_u32_e32 v129, vcc_lo, v49, v17, vcc_lo
	s_delay_alu instid0(VALU_DEP_3) | instskip(SKIP_1) | instid1(VALU_DEP_2)
	v_max_i32_e32 v54, 0, v8
	v_cmp_lt_i32_e32 vcc_lo, 0, v8
	v_add_nc_u32_e32 v2, 31, v54
	s_and_b32 s2, s34, vcc_lo
	s_delay_alu instid0(VALU_DEP_1) | instskip(NEXT) | instid1(VALU_DEP_1)
	v_lshrrev_b32_e32 v2, 1, v2
	v_dual_mov_b32 v2, 0 :: v_dual_and_b32 v9, 0x3ffffff0, v2
	s_delay_alu instid0(VALU_DEP_1)
	v_max_i32_e32 v8, s28, v9
	s_and_saveexec_b32 s15, s2
	s_cbranch_execz .LBB2_220
; %bb.58:                               ;   in Loop: Header=BB2_51 Depth=1
	v_mov_b32_e32 v55, 0
	s_mov_b32 s4, s29
	s_mov_b32 s29, s36
	s_mov_b32 s2, s11
	s_mov_b32 s11, s10
	s_mov_b32 s10, s6
	s_mov_b32 s6, vcc_hi
	s_mov_b32 vcc_hi, s5
	s_mov_b32 s5, s12
	s_mov_b32 s36, 1
	s_mov_b32 s17, -1
.LBB2_59:                               ;   Parent Loop BB2_51 Depth=1
                                        ; =>  This Loop Header: Depth=2
                                        ;       Child Loop BB2_68 Depth 3
                                        ;       Child Loop BB2_95 Depth 3
	;; [unrolled: 1-line block ×9, first 2 shown]
	s_and_saveexec_b32 s12, s0
	s_cbranch_execz .LBB2_62
; %bb.60:                               ;   in Loop: Header=BB2_59 Depth=2
	s_cbranch_execz .LBB2_61
; %bb.4918:
	s_getpc_b64 s[46:47]
.Lpost_getpc16:
	s_add_u32 s46, s46, (.LBB2_4393-.Lpost_getpc16)&4294967295
	s_addc_u32 s47, s47, (.LBB2_4393-.Lpost_getpc16)>>32
	s_setpc_b64 s[46:47]
.LBB2_61:                               ;   in Loop: Header=BB2_59 Depth=2
	ds_load_b64 v[12:13], v0
	s_waitcnt lgkmcnt(0)
	v_add_co_u32 v2, vcc_lo, v12, v128
	v_add_co_ci_u32_e32 v9, vcc_lo, v13, v129, vcc_lo
	v_ashrrev_i32_e32 v13, 31, v55
	s_delay_alu instid0(VALU_DEP_3) | instskip(NEXT) | instid1(VALU_DEP_3)
	v_add_co_u32 v2, vcc_lo, v2, v10
	v_add_co_ci_u32_e32 v9, vcc_lo, v9, v11, vcc_lo
	s_delay_alu instid0(VALU_DEP_2) | instskip(NEXT) | instid1(VALU_DEP_2)
	v_add_co_u32 v12, vcc_lo, v2, v55
	v_add_co_ci_u32_e32 v13, vcc_lo, v9, v13, vcc_lo
	v_mov_b32_e32 v2, v3
	ds_store_b64 v0, v[12:13]
	ds_store_b64 v0, v[2:3]
.LBB2_62:                               ;   in Loop: Header=BB2_59 Depth=2
	s_or_b32 exec_lo, exec_lo, s12
	v_and_b32_e32 v2, 8, v30
	s_mov_b32 s13, -1
	s_mov_b32 s12, exec_lo
	s_delay_alu instid0(VALU_DEP_1)
	v_cmpx_ne_u32_e32 0, v2
	s_cbranch_execz .LBB2_76
; %bb.63:                               ;   in Loop: Header=BB2_59 Depth=2
	v_add_co_u32 v14, vcc_lo, v34, 8
	v_add_co_ci_u32_e32 v15, vcc_lo, 0, v35, vcc_lo
	v_add_co_u32 v12, vcc_lo, v24, 2
	v_add_co_ci_u32_e32 v13, vcc_lo, 0, v25, vcc_lo
	v_mov_b32_e32 v2, 1
	s_mov_b32 s13, exec_lo
	s_delay_alu instid0(VALU_DEP_2)
	v_cmpx_lt_u64_e64 v[14:15], v[12:13]
	s_cbranch_execz .LBB2_75
; %bb.64:                               ;   in Loop: Header=BB2_59 Depth=2
	v_mov_b32_e32 v2, 0
	s_mov_b32 s24, 0
                                        ; implicit-def: $sgpr38
	s_branch .LBB2_68
.LBB2_65:                               ;   in Loop: Header=BB2_68 Depth=3
	s_or_b32 exec_lo, exec_lo, s42
	v_mov_b32_e32 v9, 0
	s_or_not1_b32 s41, s41, exec_lo
.LBB2_66:                               ;   in Loop: Header=BB2_68 Depth=3
	s_or_b32 exec_lo, exec_lo, s40
	s_delay_alu instid0(VALU_DEP_1) | instskip(SKIP_2) | instid1(SALU_CYCLE_1)
	v_mov_b32_e32 v2, v9
	s_and_not1_b32 vcc_lo, s38, exec_lo
	s_and_b32 s38, s41, exec_lo
	s_or_b32 s38, vcc_lo, s38
.LBB2_67:                               ;   in Loop: Header=BB2_68 Depth=3
	s_or_b32 exec_lo, exec_lo, s39
	s_waitcnt vmcnt(0) lgkmcnt(0)
	v_add_co_u32 v14, vcc_lo, v34, 8
	v_add_co_ci_u32_e32 v15, vcc_lo, 0, v35, vcc_lo
	s_xor_b32 s39, s38, -1
	s_delay_alu instid0(VALU_DEP_1) | instskip(SKIP_1) | instid1(SALU_CYCLE_1)
	v_cmp_ge_u64_e32 vcc_lo, v[14:15], v[12:13]
	s_or_b32 vcc_lo, s39, vcc_lo
	s_and_b32 vcc_lo, exec_lo, vcc_lo
	s_delay_alu instid0(SALU_CYCLE_1) | instskip(NEXT) | instid1(SALU_CYCLE_1)
	s_or_b32 s24, vcc_lo, s24
	s_and_not1_b32 exec_lo, exec_lo, s24
	s_cbranch_execz .LBB2_74
.LBB2_68:                               ;   Parent Loop BB2_51 Depth=1
                                        ;     Parent Loop BB2_59 Depth=2
                                        ; =>    This Inner Loop Header: Depth=3
	s_sleep 1
	flat_load_b64 v[34:35], v[22:23] glc
	v_and_b32_e32 v9, 64, v30
	s_and_not1_b32 s38, s38, exec_lo
	s_mov_b32 s39, exec_lo
	s_delay_alu instid0(VALU_DEP_1)
	v_cmpx_eq_u32_e32 0, v9
	s_cbranch_execz .LBB2_67
; %bb.69:                               ;   in Loop: Header=BB2_68 Depth=3
	v_add_nc_u32_e32 v9, 1, v2
	s_mov_b32 s41, -1
	s_mov_b32 s40, exec_lo
	v_cmpx_lt_i32_e32 0x270e, v2
	s_cbranch_execz .LBB2_66
; %bb.70:                               ;   in Loop: Header=BB2_68 Depth=3
	s_cbranch_execz .LBB2_71
; %bb.4920:
	s_getpc_b64 s[46:47]
.Lpost_getpc17:
	s_add_u32 s46, s46, (.LBB2_4415-.Lpost_getpc17)&4294967295
	s_addc_u32 s47, s47, (.LBB2_4415-.Lpost_getpc17)>>32
	s_setpc_b64 s[46:47]
.LBB2_71:                               ;   in Loop: Header=BB2_68 Depth=3
	ds_load_b64 v[14:15], v0
	s_mov_b32 s42, exec_lo
	s_waitcnt vmcnt(0) lgkmcnt(0)
	s_waitcnt_vscnt null, 0x0
	flat_load_b32 v2, v[14:15] glc
	s_waitcnt vmcnt(0) lgkmcnt(0)
	buffer_gl1_inv
	buffer_gl0_inv
	v_cmpx_ne_u32_e32 0, v2
	s_cbranch_execz .LBB2_65
; %bb.72:                               ;   in Loop: Header=BB2_68 Depth=3
	ds_store_b32 v0, v2
	s_cbranch_execz .LBB2_73
; %bb.4922:
	s_getpc_b64 s[46:47]
.Lpost_getpc18:
	s_add_u32 s46, s46, (.LBB2_4434-.Lpost_getpc18)&4294967295
	s_addc_u32 s47, s47, (.LBB2_4434-.Lpost_getpc18)>>32
	s_setpc_b64 s[46:47]
.LBB2_73:                               ;   in Loop: Header=BB2_68 Depth=3
	v_or_b32_e32 v30, 64, v30
	s_xor_b32 s41, exec_lo, -1
	s_branch .LBB2_65
.LBB2_74:                               ;   in Loop: Header=BB2_59 Depth=2
	s_or_b32 exec_lo, exec_lo, s24
	v_and_b32_e32 v2, 8, v30
.LBB2_75:                               ;   in Loop: Header=BB2_59 Depth=2
	s_or_b32 exec_lo, exec_lo, s13
	s_delay_alu instid0(VALU_DEP_1)
	v_cmp_eq_u32_e32 vcc_lo, 0, v2
	;;#ASMSTART
	s_wakeup
	;;#ASMEND
	s_or_not1_b32 s13, vcc_lo, exec_lo
.LBB2_76:                               ;   in Loop: Header=BB2_59 Depth=2
	s_or_b32 exec_lo, exec_lo, s12
	v_sub_nc_u32_e32 v2, v54, v55
	s_xor_b32 s13, s13, -1
	s_delay_alu instid0(VALU_DEP_1)
	v_min_i32_e32 v8, v8, v2
	s_and_saveexec_b32 s12, s13
	s_cbranch_execz .LBB2_86
; %bb.77:                               ;   in Loop: Header=BB2_59 Depth=2
	v_and_b32_e32 v2, 0x100, v30
	s_mov_b32 s13, -1
                                        ; implicit-def: $vgpr12_vgpr13
	s_delay_alu instid0(VALU_DEP_1)
	v_cmp_ne_u32_e32 vcc_lo, 0, v2
	v_and_b32_e32 v2, 7, v24
	s_and_saveexec_b32 s24, vcc_lo
	s_cbranch_execz .LBB2_81
; %bb.78:                               ;   in Loop: Header=BB2_59 Depth=2
	s_delay_alu instid0(VALU_DEP_1)
	v_mad_u64_u32 v[14:15], null, v2, 24, v[6:7]
	v_ashrrev_i32_e32 v9, 31, v8
	flat_load_b32 v12, v[14:15]
	flat_store_b64 v[14:15], v[8:9] offset:8
	s_waitcnt vmcnt(0) lgkmcnt(1)
	v_cmp_ne_u32_e32 vcc_lo, 1, v12
	v_cmp_eq_u32_e64 s13, 1, v12
                                        ; implicit-def: $vgpr12_vgpr13
	s_delay_alu instid0(VALU_DEP_1)
	s_and_saveexec_b32 s38, s13
	s_cbranch_execz .LBB2_80
; %bb.79:                               ;   in Loop: Header=BB2_59 Depth=2
	flat_load_b32 v12, v[14:15] offset:4 glc
	s_waitcnt vmcnt(0) lgkmcnt(0)
	v_ashrrev_i32_e32 v13, 31, v12
.LBB2_80:                               ;   in Loop: Header=BB2_59 Depth=2
	s_or_b32 exec_lo, exec_lo, s38
	s_delay_alu instid0(SALU_CYCLE_1)
	s_or_not1_b32 s13, vcc_lo, exec_lo
.LBB2_81:                               ;   in Loop: Header=BB2_59 Depth=2
	s_or_b32 exec_lo, exec_lo, s24
	s_and_saveexec_b32 s24, s13
; %bb.82:                               ;   in Loop: Header=BB2_59 Depth=2
	v_mad_i64_i32 v[12:13], null, v2, v80, 0
; %bb.83:                               ;   in Loop: Header=BB2_59 Depth=2
	s_or_b32 exec_lo, exec_lo, s24
	s_delay_alu instid0(VALU_DEP_1) | instskip(SKIP_1) | instid1(VALU_DEP_3)
	v_add_co_u32 v12, vcc_lo, v26, v12
	v_and_b32_e32 v2, 0x2000, v30
	v_add_co_ci_u32_e32 v13, vcc_lo, v27, v13, vcc_lo
	s_mov_b32 s13, exec_lo
	ds_store_b64 v0, v[12:13] offset:784
	v_cmpx_ne_u32_e32 0, v2
	s_cbranch_execz .LBB2_85
; %bb.84:                               ;   in Loop: Header=BB2_59 Depth=2
	ds_load_b64 v[12:13], v0 offset:584
	s_waitcnt lgkmcnt(0)
	v_add_co_u32 v12, vcc_lo, v12, 1
	v_add_co_ci_u32_e32 v13, vcc_lo, 0, v13, vcc_lo
	ds_store_b64 v0, v[12:13] offset:584
.LBB2_85:                               ;   in Loop: Header=BB2_59 Depth=2
	s_or_b32 exec_lo, exec_lo, s13
	v_add_co_u32 v24, vcc_lo, v24, 2
	v_add_co_ci_u32_e32 v25, vcc_lo, 0, v25, vcc_lo
.LBB2_86:                               ;   in Loop: Header=BB2_59 Depth=2
	s_or_b32 exec_lo, exec_lo, s12
	s_and_saveexec_b32 s12, s37
	s_cbranch_execz .LBB2_108
; %bb.87:                               ;   in Loop: Header=BB2_59 Depth=2
	s_and_saveexec_b32 s13, s3
	s_delay_alu instid0(SALU_CYCLE_1)
	s_xor_b32 s13, exec_lo, s13
	s_cbranch_execz .LBB2_105
; %bb.88:                               ;   in Loop: Header=BB2_59 Depth=2
	s_and_saveexec_b32 s24, s1
	s_cbranch_execz .LBB2_104
; %bb.89:                               ;   in Loop: Header=BB2_59 Depth=2
	s_mov_b32 s39, exec_lo
	s_mov_b32 s38, exec_lo
	v_mbcnt_lo_u32_b32 v2, s39, 0
	s_waitcnt lgkmcnt(0)
	s_waitcnt_vscnt null, 0x0
	buffer_gl1_inv
	buffer_gl0_inv
	v_cmpx_eq_u32_e32 0, v2
	s_cbranch_execz .LBB2_91
; %bb.90:                               ;   in Loop: Header=BB2_59 Depth=2
	s_bcnt1_i32_b32 vcc_lo, s39
	s_delay_alu instid0(SALU_CYCLE_1)
	v_mov_b32_e32 v2, vcc_lo
	ds_add_u64 v0, v[2:3]
	s_cbranch_execz .LBB2_91
; %bb.4924:
	s_getpc_b64 s[46:47]
.Lpost_getpc19:
	s_add_u32 s46, s46, (.LBB2_4460-.Lpost_getpc19)&4294967295
	s_addc_u32 s47, s47, (.LBB2_4460-.Lpost_getpc19)>>32
	s_setpc_b64 s[46:47]
.LBB2_91:                               ;   in Loop: Header=BB2_59 Depth=2
	s_or_b32 exec_lo, exec_lo, s38
	s_cbranch_execz .LBB2_92
; %bb.4926:
	s_getpc_b64 s[46:47]
.Lpost_getpc20:
	s_add_u32 s46, s46, (.LBB2_4440-.Lpost_getpc20)&4294967295
	s_addc_u32 s47, s47, (.LBB2_4440-.Lpost_getpc20)>>32
	s_setpc_b64 s[46:47]
.LBB2_92:                               ;   in Loop: Header=BB2_59 Depth=2
	ds_load_b64 v[12:13], v0
	v_add_co_u32 v32, vcc_lo, v32, v83
	v_add_co_ci_u32_e32 v33, vcc_lo, 0, v33, vcc_lo
	s_mov_b32 s38, exec_lo
	s_waitcnt lgkmcnt(0)
	s_delay_alu instid0(VALU_DEP_1)
	v_cmpx_lt_u64_e64 v[12:13], v[32:33]
	s_cbranch_execz .LBB2_103
; %bb.93:                               ;   in Loop: Header=BB2_59 Depth=2
	s_mov_b32 s39, 0
	s_mov_b32 s42, 0
                                        ; implicit-def: $sgpr40
                                        ; implicit-def: $sgpr41
	s_branch .LBB2_95
.LBB2_94:                               ;   in Loop: Header=BB2_95 Depth=3
	s_or_b32 exec_lo, exec_lo, s44
	s_delay_alu instid0(SALU_CYCLE_1) | instskip(NEXT) | instid1(SALU_CYCLE_1)
	s_and_b32 vcc_lo, exec_lo, vcc_lo
	s_or_b32 s39, vcc_lo, s39
	s_and_not1_b32 vcc_lo, s40, exec_lo
	s_and_b32 s40, s41, exec_lo
	s_delay_alu instid0(SALU_CYCLE_1)
	s_or_b32 s40, vcc_lo, s40
	s_and_not1_b32 exec_lo, exec_lo, s39
	s_cbranch_execz .LBB2_101
.LBB2_95:                               ;   Parent Loop BB2_51 Depth=1
                                        ;     Parent Loop BB2_59 Depth=2
                                        ; =>    This Inner Loop Header: Depth=3
	s_add_i32 s42, s42, 1
                                        ; implicit-def: $sgpr44
	s_delay_alu instid0(SALU_CYCLE_1) | instskip(SKIP_1) | instid1(SALU_CYCLE_1)
	s_cmpk_lg_i32 s42, 0x2710
	s_cselect_b32 s43, -1, 0
	s_and_b32 vcc_lo, exec_lo, s43
	s_cbranch_vccz .LBB2_99
.LBB2_96:                               ;   in Loop: Header=BB2_95 Depth=3
	s_and_not1_b32 s41, s41, exec_lo
	s_and_b32 s44, s44, exec_lo
	s_mov_b32 vcc_lo, -1
	s_or_b32 s41, s41, s44
	s_and_saveexec_b32 s44, s43
	s_cbranch_execz .LBB2_94
; %bb.97:                               ;   in Loop: Header=BB2_95 Depth=3
	s_sleep 1
	s_cbranch_execz .LBB2_98
; %bb.4928:
	s_getpc_b64 s[46:47]
.Lpost_getpc21:
	s_add_u32 s46, s46, (.LBB2_4488-.Lpost_getpc21)&4294967295
	s_addc_u32 s47, s47, (.LBB2_4488-.Lpost_getpc21)>>32
	s_setpc_b64 s[46:47]
.LBB2_98:                               ;   in Loop: Header=BB2_95 Depth=3
	ds_load_b64 v[12:13], v0
	s_and_not1_b32 s41, s41, exec_lo
	s_waitcnt lgkmcnt(0)
	v_cmp_ge_u64_e32 vcc_lo, v[12:13], v[32:33]
	s_or_not1_b32 vcc_lo, vcc_lo, exec_lo
	s_branch .LBB2_94
.LBB2_99:                               ;   in Loop: Header=BB2_95 Depth=3
	s_cbranch_execz .LBB2_100
; %bb.4930:
	s_getpc_b64 s[46:47]
.Lpost_getpc22:
	s_add_u32 s46, s46, (.LBB2_4494-.Lpost_getpc22)&4294967295
	s_addc_u32 s47, s47, (.LBB2_4494-.Lpost_getpc22)>>32
	s_setpc_b64 s[46:47]
.LBB2_100:                              ;   in Loop: Header=BB2_95 Depth=3
	ds_load_b64 v[12:13], v0
	s_and_not1_b32 s43, s43, exec_lo
	s_mov_b32 s42, 0
	s_mov_b32 s44, -1
	s_waitcnt lgkmcnt(0)
	flat_load_b32 v2, v[12:13] glc
	s_waitcnt vmcnt(0) lgkmcnt(0)
	buffer_gl1_inv
	buffer_gl0_inv
	v_cmp_eq_u32_e32 vcc_lo, 0, v2
	s_and_b32 vcc_lo, vcc_lo, exec_lo
	s_delay_alu instid0(SALU_CYCLE_1)
	s_or_b32 s43, s43, vcc_lo
	s_branch .LBB2_96
.LBB2_101:                              ;   in Loop: Header=BB2_59 Depth=2
	s_or_b32 exec_lo, exec_lo, s39
	s_and_saveexec_b32 vcc_lo, s40
	s_delay_alu instid0(SALU_CYCLE_1)
	s_xor_b32 vcc_lo, exec_lo, vcc_lo
	s_cbranch_execz .LBB2_103
; %bb.102:                              ;   in Loop: Header=BB2_59 Depth=2
	ds_store_b32 v0, v119
	s_cbranch_execz .LBB2_103
; %bb.4932:
	s_getpc_b64 s[46:47]
.Lpost_getpc23:
	s_add_u32 s46, s46, (.LBB2_4706-.Lpost_getpc23)&4294967295
	s_addc_u32 s47, s47, (.LBB2_4706-.Lpost_getpc23)>>32
	s_setpc_b64 s[46:47]
.LBB2_103:                              ;   in Loop: Header=BB2_59 Depth=2
	s_or_b32 exec_lo, exec_lo, s38
	;;#ASMSTART
	s_wakeup
	;;#ASMEND
.LBB2_104:                              ;   in Loop: Header=BB2_59 Depth=2
	s_or_b32 exec_lo, exec_lo, s24
.LBB2_105:                              ;   in Loop: Header=BB2_59 Depth=2
	s_and_not1_saveexec_b32 s13, s13
	s_cbranch_execz .LBB2_107
; %bb.106:                              ;   in Loop: Header=BB2_59 Depth=2
	s_waitcnt lgkmcnt(0)
	s_waitcnt_vscnt null, 0x0
	buffer_gl1_inv
	buffer_gl0_inv
	s_barrier
.LBB2_107:                              ;   in Loop: Header=BB2_59 Depth=2
	s_or_b32 exec_lo, exec_lo, s13
.LBB2_108:                              ;   in Loop: Header=BB2_59 Depth=2
	s_delay_alu instid0(SALU_CYCLE_1)
	s_or_b32 exec_lo, exec_lo, s12
	s_cbranch_execz .LBB2_109
; %bb.4934:
	s_getpc_b64 s[46:47]
.Lpost_getpc24:
	s_add_u32 s46, s46, (.LBB2_4391-.Lpost_getpc24)&4294967295
	s_addc_u32 s47, s47, (.LBB2_4391-.Lpost_getpc24)>>32
	s_setpc_b64 s[46:47]
.LBB2_109:                              ;   in Loop: Header=BB2_59 Depth=2
	ds_load_b32 v12, v0
	v_and_b32_e32 v2, 0x4000, v30
	s_xor_b32 s12, s29, -1
	s_delay_alu instid0(VALU_DEP_1) | instskip(SKIP_1) | instid1(SALU_CYCLE_1)
	v_cmp_ne_u32_e32 vcc_lo, 0, v2
	s_and_b32 s13, s12, vcc_lo
	s_and_saveexec_b32 s12, s13
	s_cbranch_execz .LBB2_131
; %bb.110:                              ;   in Loop: Header=BB2_59 Depth=2
	s_and_saveexec_b32 s13, s3
	s_delay_alu instid0(SALU_CYCLE_1)
	s_xor_b32 s13, exec_lo, s13
	s_cbranch_execz .LBB2_128
; %bb.111:                              ;   in Loop: Header=BB2_59 Depth=2
	s_and_saveexec_b32 s24, s1
	s_cbranch_execz .LBB2_127
; %bb.112:                              ;   in Loop: Header=BB2_59 Depth=2
	s_mov_b32 s39, exec_lo
	s_mov_b32 s38, exec_lo
	v_mbcnt_lo_u32_b32 v2, s39, 0
	s_waitcnt lgkmcnt(0)
	s_waitcnt_vscnt null, 0x0
	buffer_gl1_inv
	buffer_gl0_inv
	v_cmpx_eq_u32_e32 0, v2
	s_cbranch_execz .LBB2_114
; %bb.113:                              ;   in Loop: Header=BB2_59 Depth=2
	s_bcnt1_i32_b32 vcc_lo, s39
	s_delay_alu instid0(SALU_CYCLE_1)
	v_mov_b32_e32 v2, vcc_lo
	ds_add_u64 v0, v[2:3]
	s_cbranch_execz .LBB2_114
; %bb.4936:
	s_getpc_b64 s[46:47]
.Lpost_getpc25:
	s_add_u32 s46, s46, (.LBB2_4486-.Lpost_getpc25)&4294967295
	s_addc_u32 s47, s47, (.LBB2_4486-.Lpost_getpc25)>>32
	s_setpc_b64 s[46:47]
.LBB2_114:                              ;   in Loop: Header=BB2_59 Depth=2
	s_or_b32 exec_lo, exec_lo, s38
	s_cbranch_execz .LBB2_115
; %bb.4938:
	s_getpc_b64 s[46:47]
.Lpost_getpc26:
	s_add_u32 s46, s46, (.LBB2_4474-.Lpost_getpc26)&4294967295
	s_addc_u32 s47, s47, (.LBB2_4474-.Lpost_getpc26)>>32
	s_setpc_b64 s[46:47]
.LBB2_115:                              ;   in Loop: Header=BB2_59 Depth=2
	ds_load_b64 v[13:14], v0
	v_add_co_u32 v32, vcc_lo, v32, v83
	v_add_co_ci_u32_e32 v33, vcc_lo, 0, v33, vcc_lo
	s_mov_b32 s38, exec_lo
	s_waitcnt lgkmcnt(0)
	s_delay_alu instid0(VALU_DEP_1)
	v_cmpx_lt_u64_e64 v[13:14], v[32:33]
	s_cbranch_execz .LBB2_126
; %bb.116:                              ;   in Loop: Header=BB2_59 Depth=2
	s_mov_b32 s39, 0
	s_mov_b32 s42, 0
                                        ; implicit-def: $sgpr40
                                        ; implicit-def: $sgpr41
	s_branch .LBB2_118
.LBB2_117:                              ;   in Loop: Header=BB2_118 Depth=3
	s_or_b32 exec_lo, exec_lo, s44
	s_delay_alu instid0(SALU_CYCLE_1) | instskip(NEXT) | instid1(SALU_CYCLE_1)
	s_and_b32 vcc_lo, exec_lo, vcc_lo
	s_or_b32 s39, vcc_lo, s39
	s_and_not1_b32 vcc_lo, s40, exec_lo
	s_and_b32 s40, s41, exec_lo
	s_delay_alu instid0(SALU_CYCLE_1)
	s_or_b32 s40, vcc_lo, s40
	s_and_not1_b32 exec_lo, exec_lo, s39
	s_cbranch_execz .LBB2_124
.LBB2_118:                              ;   Parent Loop BB2_51 Depth=1
                                        ;     Parent Loop BB2_59 Depth=2
                                        ; =>    This Inner Loop Header: Depth=3
	s_add_i32 s42, s42, 1
                                        ; implicit-def: $sgpr44
	s_delay_alu instid0(SALU_CYCLE_1) | instskip(SKIP_1) | instid1(SALU_CYCLE_1)
	s_cmpk_lg_i32 s42, 0x2710
	s_cselect_b32 s43, -1, 0
	s_and_b32 vcc_lo, exec_lo, s43
	s_cbranch_vccz .LBB2_122
.LBB2_119:                              ;   in Loop: Header=BB2_118 Depth=3
	s_and_not1_b32 s41, s41, exec_lo
	s_and_b32 s44, s44, exec_lo
	s_mov_b32 vcc_lo, -1
	s_or_b32 s41, s41, s44
	s_and_saveexec_b32 s44, s43
	s_cbranch_execz .LBB2_117
; %bb.120:                              ;   in Loop: Header=BB2_118 Depth=3
	s_sleep 1
	s_cbranch_execz .LBB2_121
; %bb.4940:
	s_getpc_b64 s[46:47]
.Lpost_getpc27:
	s_add_u32 s46, s46, (.LBB2_4526-.Lpost_getpc27)&4294967295
	s_addc_u32 s47, s47, (.LBB2_4526-.Lpost_getpc27)>>32
	s_setpc_b64 s[46:47]
.LBB2_121:                              ;   in Loop: Header=BB2_118 Depth=3
	ds_load_b64 v[13:14], v0
	s_and_not1_b32 s41, s41, exec_lo
	s_waitcnt lgkmcnt(0)
	v_cmp_ge_u64_e32 vcc_lo, v[13:14], v[32:33]
	s_or_not1_b32 vcc_lo, vcc_lo, exec_lo
	s_branch .LBB2_117
.LBB2_122:                              ;   in Loop: Header=BB2_118 Depth=3
	s_cbranch_execz .LBB2_123
; %bb.4942:
	s_getpc_b64 s[46:47]
.Lpost_getpc28:
	s_add_u32 s46, s46, (.LBB2_4544-.Lpost_getpc28)&4294967295
	s_addc_u32 s47, s47, (.LBB2_4544-.Lpost_getpc28)>>32
	s_setpc_b64 s[46:47]
.LBB2_123:                              ;   in Loop: Header=BB2_118 Depth=3
	ds_load_b64 v[13:14], v0
	s_and_not1_b32 s43, s43, exec_lo
	s_mov_b32 s42, 0
	s_mov_b32 s44, -1
	s_waitcnt lgkmcnt(0)
	flat_load_b32 v2, v[13:14] glc
	s_waitcnt vmcnt(0) lgkmcnt(0)
	buffer_gl1_inv
	buffer_gl0_inv
	v_cmp_eq_u32_e32 vcc_lo, 0, v2
	s_and_b32 vcc_lo, vcc_lo, exec_lo
	s_delay_alu instid0(SALU_CYCLE_1)
	s_or_b32 s43, s43, vcc_lo
	s_branch .LBB2_119
.LBB2_124:                              ;   in Loop: Header=BB2_59 Depth=2
	s_or_b32 exec_lo, exec_lo, s39
	s_and_saveexec_b32 vcc_lo, s40
	s_delay_alu instid0(SALU_CYCLE_1)
	s_xor_b32 vcc_lo, exec_lo, vcc_lo
	s_cbranch_execz .LBB2_126
; %bb.125:                              ;   in Loop: Header=BB2_59 Depth=2
	ds_store_b32 v0, v119
	s_cbranch_execz .LBB2_126
; %bb.4944:
	s_getpc_b64 s[46:47]
.Lpost_getpc29:
	s_add_u32 s46, s46, (.LBB2_4756-.Lpost_getpc29)&4294967295
	s_addc_u32 s47, s47, (.LBB2_4756-.Lpost_getpc29)>>32
	s_setpc_b64 s[46:47]
.LBB2_126:                              ;   in Loop: Header=BB2_59 Depth=2
	s_or_b32 exec_lo, exec_lo, s38
	;;#ASMSTART
	s_wakeup
	;;#ASMEND
.LBB2_127:                              ;   in Loop: Header=BB2_59 Depth=2
	s_or_b32 exec_lo, exec_lo, s24
.LBB2_128:                              ;   in Loop: Header=BB2_59 Depth=2
	s_and_not1_saveexec_b32 s13, s13
	s_cbranch_execz .LBB2_130
; %bb.129:                              ;   in Loop: Header=BB2_59 Depth=2
	s_waitcnt lgkmcnt(0)
	s_waitcnt_vscnt null, 0x0
	buffer_gl1_inv
	buffer_gl0_inv
	s_barrier
.LBB2_130:                              ;   in Loop: Header=BB2_59 Depth=2
	s_or_b32 exec_lo, exec_lo, s13
.LBB2_131:                              ;   in Loop: Header=BB2_59 Depth=2
	s_delay_alu instid0(SALU_CYCLE_1)
	s_or_b32 exec_lo, exec_lo, s12
	s_cbranch_execz .LBB2_132
; %bb.4946:
	s_getpc_b64 s[46:47]
.Lpost_getpc30:
	s_add_u32 s46, s46, (.LBB2_4417-.Lpost_getpc30)&4294967295
	s_addc_u32 s47, s47, (.LBB2_4417-.Lpost_getpc30)>>32
	s_setpc_b64 s[46:47]
.LBB2_132:                              ;   in Loop: Header=BB2_59 Depth=2
	ds_load_b64 v[13:14], v0
	v_mov_b32_e32 v9, 0
	s_waitcnt lgkmcnt(0)
	v_cmp_eq_u64_e32 vcc_lo, 0, v[13:14]
	s_or_b32 s12, vcc_lo, vcc_lo
	s_delay_alu instid0(SALU_CYCLE_1)
	s_and_b32 vcc_lo, exec_lo, s12
	s_cbranch_vccnz .LBB2_166
; %bb.133:                              ;   in Loop: Header=BB2_59 Depth=2
	s_mov_b32 s12, s14
	s_mov_b32 s13, -1
	s_and_saveexec_b32 s14, vcc_hi
	s_cbranch_execz .LBB2_135
; %bb.134:                              ;   in Loop: Header=BB2_59 Depth=2
	ds_load_b32 v2, v0 offset:720
	s_waitcnt lgkmcnt(0)
	v_and_b32_e32 v2, 15, v2
	s_delay_alu instid0(VALU_DEP_1)
	v_cmp_eq_u32_e32 vcc_lo, 0, v2
	s_or_not1_b32 s13, vcc_lo, exec_lo
.LBB2_135:                              ;   in Loop: Header=BB2_59 Depth=2
	s_or_b32 exec_lo, exec_lo, s14
	s_and_saveexec_b32 s14, s10
	s_cbranch_execz .LBB2_137
; %bb.136:                              ;   in Loop: Header=BB2_59 Depth=2
	ds_load_b32 v2, v0 offset:784
	s_waitcnt lgkmcnt(0)
	v_and_b32_e32 v2, 15, v2
	s_delay_alu instid0(VALU_DEP_1) | instskip(SKIP_3) | instid1(SALU_CYCLE_1)
	v_cmp_eq_u32_e32 vcc_lo, 0, v2
	s_and_b32 s24, s13, vcc_lo
	s_and_not1_b32 s13, s13, exec_lo
	s_and_b32 s24, s24, exec_lo
	s_or_b32 s13, s13, s24
.LBB2_137:                              ;   in Loop: Header=BB2_59 Depth=2
	s_or_b32 exec_lo, exec_lo, s14
	v_cmp_eq_u32_e32 vcc_lo, 0, v12
	s_xor_b32 s13, s13, -1
	v_mov_b32_e32 v68, v84
	v_cndmask_b32_e64 v2, 0, 1, s13
	;;#ASMSTART
	;;#ASMEND
	v_cndmask_b32_e32 v9, 0, v8, vcc_lo
	s_delay_alu instid0(VALU_DEP_2) | instskip(SKIP_2) | instid1(VALU_DEP_3)
	v_cmp_ne_u32_e32 vcc_lo, 0, v2
	v_mov_b32_e32 v2, 0
	s_mov_b32 s13, -1
	v_dual_mov_b32 v65, v0 :: v_dual_mov_b32 v64, v9
	s_cbranch_vccnz .LBB2_153
; %bb.138:                              ;   in Loop: Header=BB2_59 Depth=2
	v_ashrrev_i32_e32 v2, 31, v9
	s_mov_b32 s14, exec_lo
	s_delay_alu instid0(VALU_DEP_1) | instskip(NEXT) | instid1(VALU_DEP_1)
	v_lshrrev_b32_e32 v2, 22, v2
	v_add_nc_u32_e32 v2, v9, v2
	s_delay_alu instid0(VALU_DEP_1) | instskip(NEXT) | instid1(VALU_DEP_1)
	v_ashrrev_i32_e32 v2, 10, v2
	v_sub_nc_u32_e32 v66, v2, v84
	s_delay_alu instid0(VALU_DEP_1)
	v_cmpx_lt_i32_e32 0, v66
	s_cbranch_execz .LBB2_143
; %bb.139:                              ;   in Loop: Header=BB2_59 Depth=2
	s_cbranch_execz .LBB2_140
; %bb.4948:
	s_getpc_b64 s[46:47]
.Lpost_getpc31:
	s_add_u32 s46, s46, (.LBB2_4498-.Lpost_getpc31)&4294967295
	s_addc_u32 s47, s47, (.LBB2_4498-.Lpost_getpc31)>>32
	s_setpc_b64 s[46:47]
.LBB2_140:                              ;   in Loop: Header=BB2_59 Depth=2
	ds_load_b64 v[12:13], v0
	v_dual_mov_b32 v14, v38 :: v_dual_mov_b32 v15, v39
	s_mov_b32 s24, 0
.LBB2_141:                              ;   Parent Loop BB2_51 Depth=1
                                        ;     Parent Loop BB2_59 Depth=2
                                        ; =>    This Inner Loop Header: Depth=3
	s_waitcnt lgkmcnt(0)
	s_delay_alu instid0(VALU_DEP_1) | instskip(NEXT) | instid1(VALU_DEP_2)
	v_add_co_u32 v64, vcc_lo, v12, v14
	v_add_co_ci_u32_e32 v65, vcc_lo, v13, v15, vcc_lo
	v_sub_nc_u32_e32 v66, v66, v83
	v_add_co_u32 v14, s13, v14, v96
	s_clause 0x1
	global_load_b128 v[67:70], v[64:65], off slc dlc
	global_load_b128 v[130:133], v[64:65], off offset:512 slc dlc
	v_add_co_ci_u32_e64 v15, s13, v15, v97, s13
	v_cmp_gt_i32_e32 vcc_lo, 1, v66
	s_waitcnt vmcnt(1)
	global_store_b128 v[64:65], v[67:70], off glc slc dlc
	s_waitcnt vmcnt(0)
	global_store_b128 v[64:65], v[130:133], off offset:512 glc slc dlc
	s_or_b32 s24, vcc_lo, s24
	s_delay_alu instid0(SALU_CYCLE_1)
	s_and_not1_b32 exec_lo, exec_lo, s24
	s_cbranch_execnz .LBB2_141
; %bb.142:                              ;   in Loop: Header=BB2_59 Depth=2
	s_or_b32 exec_lo, exec_lo, s24
.LBB2_143:                              ;   in Loop: Header=BB2_59 Depth=2
	s_delay_alu instid0(SALU_CYCLE_1) | instskip(SKIP_4) | instid1(VALU_DEP_2)
	s_or_b32 exec_lo, exec_lo, s14
	v_lshlrev_b32_e32 v14, 10, v2
	v_mov_b32_e32 v2, 0
	s_mov_b32 s13, 0
	s_mov_b32 s24, exec_lo
                                        ; implicit-def: $vgpr64
                                        ; implicit-def: $vgpr65
                                        ; implicit-def: $vgpr68
	v_cmpx_ne_u32_e64 v9, v14
	s_cbranch_execz .LBB2_152
; %bb.144:                              ;   in Loop: Header=BB2_59 Depth=2
	v_lshlrev_b32_e32 v2, 5, v66
	v_sub_nc_u32_e32 v13, v9, v14
	s_mov_b32 s38, exec_lo
	s_delay_alu instid0(VALU_DEP_2) | instskip(NEXT) | instid1(VALU_DEP_2)
	v_sub_nc_u32_e32 v2, v85, v2
	v_ashrrev_i32_e32 v15, 31, v13
	s_delay_alu instid0(VALU_DEP_2) | instskip(NEXT) | instid1(VALU_DEP_2)
	v_ashrrev_i32_e32 v12, 31, v2
	v_lshrrev_b32_e32 v15, 23, v15
	s_delay_alu instid0(VALU_DEP_2) | instskip(NEXT) | instid1(VALU_DEP_2)
	v_lshrrev_b32_e32 v12, 27, v12
	v_add_nc_u32_e32 v65, v13, v15
	s_delay_alu instid0(VALU_DEP_2) | instskip(NEXT) | instid1(VALU_DEP_2)
	v_add_nc_u32_e32 v12, v2, v12
	v_and_b32_e32 v15, 0xfffffe00, v65
	v_ashrrev_i32_e32 v65, 9, v65
	s_delay_alu instid0(VALU_DEP_3) | instskip(NEXT) | instid1(VALU_DEP_3)
	v_and_b32_e32 v64, 0xffffffe0, v12
	v_sub_nc_u32_e32 v67, v13, v15
	v_ashrrev_i32_e32 v12, 5, v12
	s_delay_alu instid0(VALU_DEP_3) | instskip(NEXT) | instid1(VALU_DEP_3)
	v_sub_nc_u32_e32 v66, v2, v64
	v_cmp_lt_i32_e32 vcc_lo, 15, v67
	s_delay_alu instid0(VALU_DEP_2) | instskip(SKIP_1) | instid1(VALU_DEP_2)
	v_lshlrev_b32_e32 v2, 4, v66
	v_add_co_ci_u32_e64 v65, s13, 0, v65, vcc_lo
	v_lshl_add_u32 v64, v12, 9, v2
	s_delay_alu instid0(VALU_DEP_2) | instskip(NEXT) | instid1(VALU_DEP_2)
	v_sub_nc_u32_e32 v69, v65, v12
	v_sub_nc_u32_e32 v2, v13, v64
	s_delay_alu instid0(VALU_DEP_1)
	v_cmpx_lt_i32_e32 15, v2
	s_cbranch_execz .LBB2_149
; %bb.145:                              ;   in Loop: Header=BB2_59 Depth=2
	s_cbranch_execz .LBB2_146
; %bb.4950:
	s_getpc_b64 s[46:47]
.Lpost_getpc32:
	s_add_u32 s46, s46, (.LBB2_4562-.Lpost_getpc32)&4294967295
	s_addc_u32 s47, s47, (.LBB2_4562-.Lpost_getpc32)>>32
	s_setpc_b64 s[46:47]
.LBB2_146:                              ;   in Loop: Header=BB2_59 Depth=2
	ds_load_b64 v[12:13], v0
	v_add_nc_u32_e32 v64, v64, v14
	s_mov_b32 s39, 0
	s_delay_alu instid0(VALU_DEP_1)
	v_ashrrev_i32_e32 v65, 31, v64
.LBB2_147:                              ;   Parent Loop BB2_51 Depth=1
                                        ;     Parent Loop BB2_59 Depth=2
                                        ; =>    This Inner Loop Header: Depth=3
	s_waitcnt lgkmcnt(0)
	v_add_co_u32 v70, s13, v12, v64
	s_delay_alu instid0(VALU_DEP_1)
	v_add_co_ci_u32_e64 v71, s13, v13, v65, s13
	v_sub_nc_u32_e32 v2, v2, v86
	v_add_co_u32 v64, s14, v64, v100
	global_load_b128 v[130:133], v[70:71], off slc dlc
	v_sub_nc_u32_e32 v69, v69, v83
	v_cmp_gt_i32_e64 s13, 16, v2
	v_add_co_ci_u32_e64 v65, s14, v65, v101, s14
	s_delay_alu instid0(VALU_DEP_2)
	s_or_b32 s39, s13, s39
	s_waitcnt vmcnt(0)
	global_store_b128 v[70:71], v[130:133], off glc slc dlc
	s_and_not1_b32 exec_lo, exec_lo, s39
	s_cbranch_execnz .LBB2_147
; %bb.148:                              ;   in Loop: Header=BB2_59 Depth=2
	s_or_b32 exec_lo, exec_lo, s39
.LBB2_149:                              ;   in Loop: Header=BB2_59 Depth=2
	s_delay_alu instid0(SALU_CYCLE_1) | instskip(SKIP_4) | instid1(VALU_DEP_2)
	s_or_b32 exec_lo, exec_lo, s38
	v_and_b32_e32 v12, 15, v9
	v_mov_b32_e32 v2, 0
	s_mov_b32 s14, 0
	s_mov_b32 s38, exec_lo
                                        ; implicit-def: $vgpr65
                                        ; implicit-def: $vgpr68
	v_cndmask_b32_e32 v64, v67, v12, vcc_lo
	s_delay_alu instid0(VALU_DEP_1)
	v_cmpx_ne_u32_e32 0, v64
; %bb.150:                              ;   in Loop: Header=BB2_59 Depth=2
	v_cmp_lt_i32_e64 s13, 0, v69
	v_sub_nc_u32_e32 v12, v67, v12
	s_mov_b32 s14, exec_lo
	s_delay_alu instid0(VALU_DEP_2) | instskip(NEXT) | instid1(VALU_DEP_1)
	v_cndmask_b32_e64 v2, 0, v83, s13
	v_sub_nc_u32_e32 v2, v2, v69
	s_delay_alu instid0(VALU_DEP_1) | instskip(NEXT) | instid1(VALU_DEP_1)
	v_lshl_add_u32 v65, v2, 5, v66
	v_ashrrev_i32_e32 v2, 31, v65
	s_delay_alu instid0(VALU_DEP_1) | instskip(NEXT) | instid1(VALU_DEP_1)
	v_lshrrev_b32_e32 v2, 27, v2
	v_dual_cndmask_b32 v12, 0, v12 :: v_dual_add_nc_u32 v13, v65, v2
	s_delay_alu instid0(VALU_DEP_1) | instskip(NEXT) | instid1(VALU_DEP_2)
	v_add3_u32 v2, v15, v14, v12
	v_ashrrev_i32_e32 v68, 5, v13
; %bb.151:                              ;   in Loop: Header=BB2_59 Depth=2
	s_or_b32 exec_lo, exec_lo, s38
	s_delay_alu instid0(SALU_CYCLE_1)
	s_and_b32 s13, s14, exec_lo
.LBB2_152:                              ;   in Loop: Header=BB2_59 Depth=2
	s_or_b32 exec_lo, exec_lo, s24
.LBB2_153:                              ;   in Loop: Header=BB2_59 Depth=2
	s_and_saveexec_b32 s14, s13
	s_cbranch_execz .LBB2_165
; %bb.154:                              ;   in Loop: Header=BB2_59 Depth=2
	s_delay_alu instid0(VALU_DEP_1) | instskip(SKIP_1) | instid1(VALU_DEP_1)
	v_ashrrev_i32_e32 v12, 31, v64
	s_mov_b32 s13, exec_lo
	v_lshrrev_b32_e32 v12, 24, v12
	s_delay_alu instid0(VALU_DEP_1) | instskip(NEXT) | instid1(VALU_DEP_1)
	v_add_nc_u32_e32 v12, v64, v12
	v_ashrrev_i32_e32 v67, 8, v12
	s_delay_alu instid0(VALU_DEP_1) | instskip(NEXT) | instid1(VALU_DEP_1)
	v_sub_nc_u32_e32 v66, v67, v68
	v_cmpx_lt_i32_e32 0, v66
	s_cbranch_execz .LBB2_159
; %bb.155:                              ;   in Loop: Header=BB2_59 Depth=2
	s_cbranch_execz .LBB2_156
; %bb.4952:
	s_getpc_b64 s[46:47]
.Lpost_getpc33:
	s_add_u32 s46, s46, (.LBB2_4492-.Lpost_getpc33)&4294967295
	s_addc_u32 s47, s47, (.LBB2_4492-.Lpost_getpc33)>>32
	s_setpc_b64 s[46:47]
.LBB2_156:                              ;   in Loop: Header=BB2_59 Depth=2
	v_ashrrev_i32_e32 v12, 31, v65
	s_mov_b32 s24, 0
	s_delay_alu instid0(VALU_DEP_1) | instskip(NEXT) | instid1(VALU_DEP_1)
	v_lshrrev_b32_e32 v12, 27, v12
	v_add_nc_u32_e32 v14, v65, v12
	ds_load_b64 v[12:13], v0
	v_lshlrev_b32_e32 v15, 8, v68
	v_and_b32_e32 v14, 0xffffffe0, v14
	s_delay_alu instid0(VALU_DEP_1) | instskip(NEXT) | instid1(VALU_DEP_1)
	v_sub_nc_u32_e32 v14, v65, v14
	v_add3_u32 v68, v2, v14, v15
	s_delay_alu instid0(VALU_DEP_1)
	v_ashrrev_i32_e32 v69, 31, v68
	s_waitcnt lgkmcnt(0)
	v_dual_mov_b32 v15, v13 :: v_dual_mov_b32 v14, v12
.LBB2_157:                              ;   Parent Loop BB2_51 Depth=1
                                        ;     Parent Loop BB2_59 Depth=2
                                        ; =>    This Inner Loop Header: Depth=3
	s_delay_alu instid0(VALU_DEP_1) | instskip(NEXT) | instid1(VALU_DEP_2)
	v_add_co_u32 v70, vcc_lo, v68, v14
	v_add_co_ci_u32_e32 v71, vcc_lo, v69, v15, vcc_lo
	v_sub_nc_u32_e32 v66, v66, v83
	s_clause 0x7
	flat_load_u8 v130, v[70:71] slc dlc
	flat_load_u8 v131, v[70:71] offset:32 slc dlc
	flat_load_u8 v132, v[70:71] offset:64 slc dlc
	;; [unrolled: 1-line block ×7, first 2 shown]
	v_add_co_u32 v70, vcc_lo, v68, v12
	v_add_co_ci_u32_e32 v71, vcc_lo, v69, v13, vcc_lo
	v_add_co_u32 v14, vcc_lo, v14, v103
	v_add_co_ci_u32_e32 v15, vcc_lo, v15, v112, vcc_lo
	;; [unrolled: 2-line block ×3, first 2 shown]
	v_cmp_gt_i32_e32 vcc_lo, 1, v66
	s_waitcnt vmcnt(7) lgkmcnt(7)
	flat_store_b8 v[70:71], v130 glc slc dlc
	s_waitcnt vmcnt(6) lgkmcnt(7)
	flat_store_b8 v[70:71], v131 offset:32 glc slc dlc
	s_waitcnt vmcnt(5) lgkmcnt(7)
	flat_store_b8 v[70:71], v132 offset:64 glc slc dlc
	s_waitcnt vmcnt(4) lgkmcnt(7)
	flat_store_b8 v[70:71], v133 offset:96 glc slc dlc
	s_waitcnt vmcnt(3) lgkmcnt(7)
	flat_store_b8 v[70:71], v134 offset:128 glc slc dlc
	s_waitcnt vmcnt(2) lgkmcnt(7)
	flat_store_b8 v[70:71], v135 offset:160 glc slc dlc
	s_waitcnt vmcnt(1) lgkmcnt(7)
	flat_store_b8 v[70:71], v144 offset:192 glc slc dlc
	s_waitcnt vmcnt(0) lgkmcnt(7)
	flat_store_b8 v[70:71], v145 offset:224 glc slc dlc
	s_or_b32 s24, vcc_lo, s24
	s_delay_alu instid0(SALU_CYCLE_1)
	s_and_not1_b32 exec_lo, exec_lo, s24
	s_cbranch_execnz .LBB2_157
; %bb.158:                              ;   in Loop: Header=BB2_59 Depth=2
	s_or_b32 exec_lo, exec_lo, s24
.LBB2_159:                              ;   in Loop: Header=BB2_59 Depth=2
	s_delay_alu instid0(SALU_CYCLE_1) | instskip(SKIP_2) | instid1(VALU_DEP_1)
	s_or_b32 exec_lo, exec_lo, s13
	v_lshlrev_b32_e32 v12, 8, v67
	s_mov_b32 s24, exec_lo
	v_cmpx_ne_u32_e64 v64, v12
	s_cbranch_execz .LBB2_164
; %bb.160:                              ;   in Loop: Header=BB2_59 Depth=2
	v_ashrrev_i32_e32 v13, 31, v65
	v_lshlrev_b32_e32 v14, 5, v66
	s_delay_alu instid0(VALU_DEP_2) | instskip(NEXT) | instid1(VALU_DEP_1)
	v_lshrrev_b32_e32 v13, 27, v13
	v_add_nc_u32_e32 v13, v65, v13
	s_delay_alu instid0(VALU_DEP_1) | instskip(NEXT) | instid1(VALU_DEP_1)
	v_and_b32_e32 v13, 0xffffffe0, v13
	v_sub_nc_u32_e32 v13, v65, v13
	s_delay_alu instid0(VALU_DEP_1) | instskip(NEXT) | instid1(VALU_DEP_1)
	v_sub_nc_u32_e32 v13, v13, v14
	v_add_nc_u32_e32 v15, v12, v13
	s_delay_alu instid0(VALU_DEP_1) | instskip(NEXT) | instid1(VALU_DEP_1)
	v_sub_nc_u32_e32 v14, v64, v15
	v_cmp_lt_i32_e32 vcc_lo, 0, v14
	s_and_b32 exec_lo, exec_lo, vcc_lo
	s_cbranch_execz .LBB2_164
; %bb.161:                              ;   in Loop: Header=BB2_59 Depth=2
	s_cbranch_execz .LBB2_162
; %bb.4954:
	s_getpc_b64 s[46:47]
.Lpost_getpc34:
	s_add_u32 s46, s46, (.LBB2_4554-.Lpost_getpc34)&4294967295
	s_addc_u32 s47, s47, (.LBB2_4554-.Lpost_getpc34)>>32
	s_setpc_b64 s[46:47]
.LBB2_162:                              ;   in Loop: Header=BB2_59 Depth=2
	ds_load_b64 v[12:13], v0
	v_add_nc_u32_e32 v2, v15, v2
	s_mov_b32 s38, 0
	s_delay_alu instid0(VALU_DEP_1)
	v_ashrrev_i32_e32 v15, 31, v2
.LBB2_163:                              ;   Parent Loop BB2_51 Depth=1
                                        ;     Parent Loop BB2_59 Depth=2
                                        ; =>    This Inner Loop Header: Depth=3
	s_waitcnt lgkmcnt(0)
	v_add_co_u32 v64, vcc_lo, v12, v2
	s_delay_alu instid0(VALU_DEP_2)
	v_add_co_ci_u32_e32 v65, vcc_lo, v13, v15, vcc_lo
	v_sub_nc_u32_e32 v14, v14, v99
	v_add_co_u32 v2, s13, v2, v114
	flat_load_u8 v66, v[64:65] slc dlc
	v_add_co_ci_u32_e64 v15, s13, v15, v115, s13
	v_cmp_gt_i32_e32 vcc_lo, 1, v14
	s_or_b32 s38, vcc_lo, s38
	s_waitcnt vmcnt(0) lgkmcnt(0)
	flat_store_b8 v[64:65], v66 glc slc dlc
	s_and_not1_b32 exec_lo, exec_lo, s38
	s_cbranch_execnz .LBB2_163
.LBB2_164:                              ;   in Loop: Header=BB2_59 Depth=2
	s_or_b32 exec_lo, exec_lo, s24
.LBB2_165:                              ;   in Loop: Header=BB2_59 Depth=2
	s_delay_alu instid0(SALU_CYCLE_1)
	s_or_b32 exec_lo, exec_lo, s14
	s_mov_b32 s14, s12
.LBB2_166:                              ;   in Loop: Header=BB2_59 Depth=2
	s_and_saveexec_b32 s12, s37
	s_cbranch_execz .LBB2_188
; %bb.167:                              ;   in Loop: Header=BB2_59 Depth=2
	s_mov_b32 s13, s37
	s_and_saveexec_b32 s24, s3
	s_delay_alu instid0(SALU_CYCLE_1)
	s_xor_b32 s24, exec_lo, s24
	s_cbranch_execz .LBB2_185
; %bb.168:                              ;   in Loop: Header=BB2_59 Depth=2
	s_and_saveexec_b32 s37, s1
	s_cbranch_execz .LBB2_184
; %bb.169:                              ;   in Loop: Header=BB2_59 Depth=2
	s_mov_b32 s39, exec_lo
	s_mov_b32 s38, exec_lo
	v_mbcnt_lo_u32_b32 v2, s39, 0
	s_waitcnt lgkmcnt(0)
	s_waitcnt_vscnt null, 0x0
	buffer_gl1_inv
	buffer_gl0_inv
	v_cmpx_eq_u32_e32 0, v2
	s_cbranch_execz .LBB2_171
; %bb.170:                              ;   in Loop: Header=BB2_59 Depth=2
	s_bcnt1_i32_b32 vcc_lo, s39
	s_delay_alu instid0(SALU_CYCLE_1)
	v_mov_b32_e32 v2, vcc_lo
	ds_add_u64 v0, v[2:3]
	s_cbranch_execz .LBB2_171
; %bb.4956:
	s_getpc_b64 s[46:47]
.Lpost_getpc35:
	s_add_u32 s46, s46, (.LBB2_4528-.Lpost_getpc35)&4294967295
	s_addc_u32 s47, s47, (.LBB2_4528-.Lpost_getpc35)>>32
	s_setpc_b64 s[46:47]
.LBB2_171:                              ;   in Loop: Header=BB2_59 Depth=2
	s_or_b32 exec_lo, exec_lo, s38
	s_cbranch_execz .LBB2_172
; %bb.4958:
	s_getpc_b64 s[46:47]
.Lpost_getpc36:
	s_add_u32 s46, s46, (.LBB2_4506-.Lpost_getpc36)&4294967295
	s_addc_u32 s47, s47, (.LBB2_4506-.Lpost_getpc36)>>32
	s_setpc_b64 s[46:47]
.LBB2_172:                              ;   in Loop: Header=BB2_59 Depth=2
	ds_load_b64 v[12:13], v0
	v_add_co_u32 v32, vcc_lo, v32, v83
	v_add_co_ci_u32_e32 v33, vcc_lo, 0, v33, vcc_lo
	s_mov_b32 s38, exec_lo
	s_waitcnt lgkmcnt(0)
	s_delay_alu instid0(VALU_DEP_1)
	v_cmpx_lt_u64_e64 v[12:13], v[32:33]
	s_cbranch_execz .LBB2_183
; %bb.173:                              ;   in Loop: Header=BB2_59 Depth=2
	s_mov_b32 s39, 0
	s_mov_b32 s42, 0
                                        ; implicit-def: $sgpr40
                                        ; implicit-def: $sgpr41
	s_branch .LBB2_175
.LBB2_174:                              ;   in Loop: Header=BB2_175 Depth=3
	s_or_b32 exec_lo, exec_lo, s44
	s_delay_alu instid0(SALU_CYCLE_1) | instskip(NEXT) | instid1(SALU_CYCLE_1)
	s_and_b32 vcc_lo, exec_lo, vcc_lo
	s_or_b32 s39, vcc_lo, s39
	s_and_not1_b32 vcc_lo, s40, exec_lo
	s_and_b32 s40, s41, exec_lo
	s_delay_alu instid0(SALU_CYCLE_1)
	s_or_b32 s40, vcc_lo, s40
	s_and_not1_b32 exec_lo, exec_lo, s39
	s_cbranch_execz .LBB2_181
.LBB2_175:                              ;   Parent Loop BB2_51 Depth=1
                                        ;     Parent Loop BB2_59 Depth=2
                                        ; =>    This Inner Loop Header: Depth=3
	s_add_i32 s42, s42, 1
                                        ; implicit-def: $sgpr44
	s_delay_alu instid0(SALU_CYCLE_1) | instskip(SKIP_1) | instid1(SALU_CYCLE_1)
	s_cmpk_lg_i32 s42, 0x2710
	s_cselect_b32 s43, -1, 0
	s_and_b32 vcc_lo, exec_lo, s43
	s_cbranch_vccz .LBB2_179
.LBB2_176:                              ;   in Loop: Header=BB2_175 Depth=3
	s_and_not1_b32 s41, s41, exec_lo
	s_and_b32 s44, s44, exec_lo
	s_mov_b32 vcc_lo, -1
	s_or_b32 s41, s41, s44
	s_and_saveexec_b32 s44, s43
	s_cbranch_execz .LBB2_174
; %bb.177:                              ;   in Loop: Header=BB2_175 Depth=3
	s_sleep 1
	s_cbranch_execz .LBB2_178
; %bb.4960:
	s_getpc_b64 s[46:47]
.Lpost_getpc37:
	s_add_u32 s46, s46, (.LBB2_4580-.Lpost_getpc37)&4294967295
	s_addc_u32 s47, s47, (.LBB2_4580-.Lpost_getpc37)>>32
	s_setpc_b64 s[46:47]
.LBB2_178:                              ;   in Loop: Header=BB2_175 Depth=3
	ds_load_b64 v[12:13], v0
	s_and_not1_b32 s41, s41, exec_lo
	s_waitcnt lgkmcnt(0)
	v_cmp_ge_u64_e32 vcc_lo, v[12:13], v[32:33]
	s_or_not1_b32 vcc_lo, vcc_lo, exec_lo
	s_branch .LBB2_174
.LBB2_179:                              ;   in Loop: Header=BB2_175 Depth=3
	s_cbranch_execz .LBB2_180
; %bb.4962:
	s_getpc_b64 s[46:47]
.Lpost_getpc38:
	s_add_u32 s46, s46, (.LBB2_4590-.Lpost_getpc38)&4294967295
	s_addc_u32 s47, s47, (.LBB2_4590-.Lpost_getpc38)>>32
	s_setpc_b64 s[46:47]
.LBB2_180:                              ;   in Loop: Header=BB2_175 Depth=3
	ds_load_b64 v[12:13], v0
	s_and_not1_b32 s43, s43, exec_lo
	s_mov_b32 s42, 0
	s_mov_b32 s44, -1
	s_waitcnt lgkmcnt(0)
	flat_load_b32 v2, v[12:13] glc
	s_waitcnt vmcnt(0) lgkmcnt(0)
	buffer_gl1_inv
	buffer_gl0_inv
	v_cmp_eq_u32_e32 vcc_lo, 0, v2
	s_and_b32 vcc_lo, vcc_lo, exec_lo
	s_delay_alu instid0(SALU_CYCLE_1)
	s_or_b32 s43, s43, vcc_lo
	s_branch .LBB2_176
.LBB2_181:                              ;   in Loop: Header=BB2_59 Depth=2
	s_or_b32 exec_lo, exec_lo, s39
	s_and_saveexec_b32 vcc_lo, s40
	s_delay_alu instid0(SALU_CYCLE_1)
	s_xor_b32 vcc_lo, exec_lo, vcc_lo
	s_cbranch_execz .LBB2_183
; %bb.182:                              ;   in Loop: Header=BB2_59 Depth=2
	ds_store_b32 v0, v119
	s_cbranch_execz .LBB2_183
; %bb.4964:
	s_getpc_b64 s[46:47]
.Lpost_getpc39:
	s_add_u32 s46, s46, (.LBB2_4804-.Lpost_getpc39)&4294967295
	s_addc_u32 s47, s47, (.LBB2_4804-.Lpost_getpc39)>>32
	s_setpc_b64 s[46:47]
.LBB2_183:                              ;   in Loop: Header=BB2_59 Depth=2
	s_or_b32 exec_lo, exec_lo, s38
	;;#ASMSTART
	s_wakeup
	;;#ASMEND
.LBB2_184:                              ;   in Loop: Header=BB2_59 Depth=2
	s_or_b32 exec_lo, exec_lo, s37
.LBB2_185:                              ;   in Loop: Header=BB2_59 Depth=2
	s_and_not1_saveexec_b32 s24, s24
	s_cbranch_execz .LBB2_187
; %bb.186:                              ;   in Loop: Header=BB2_59 Depth=2
	s_waitcnt lgkmcnt(0)
	s_waitcnt_vscnt null, 0x0
	buffer_gl1_inv
	buffer_gl0_inv
	s_barrier
.LBB2_187:                              ;   in Loop: Header=BB2_59 Depth=2
	s_or_b32 exec_lo, exec_lo, s24
	s_mov_b32 s37, s13
.LBB2_188:                              ;   in Loop: Header=BB2_59 Depth=2
	s_or_b32 exec_lo, exec_lo, s12
                                        ; implicit-def: $vgpr2
	s_and_saveexec_b32 s12, s7
	s_delay_alu instid0(SALU_CYCLE_1)
	s_xor_b32 s12, exec_lo, s12
	s_cbranch_execz .LBB2_192
; %bb.189:                              ;   in Loop: Header=BB2_59 Depth=2
	v_and_b32_e32 v2, 16, v30
	v_cmp_lt_i32_e32 vcc_lo, 0, v9
	s_delay_alu instid0(VALU_DEP_2) | instskip(SKIP_1) | instid1(VALU_DEP_2)
	v_cmp_ne_u32_e64 s13, 0, v2
	v_and_b32_e32 v2, 16, v30
	s_and_b32 s24, s13, vcc_lo
	s_delay_alu instid0(SALU_CYCLE_1)
	s_and_saveexec_b32 s13, s24
	s_cbranch_execz .LBB2_191
; %bb.190:                              ;   in Loop: Header=BB2_59 Depth=2
	v_mov_b32_e32 v2, 1
	s_waitcnt lgkmcnt(0)
	s_waitcnt_vscnt null, 0x0
	buffer_gl1_inv
	buffer_gl0_inv
.LBB2_191:                              ;   in Loop: Header=BB2_59 Depth=2
	s_or_b32 exec_lo, exec_lo, s13
.LBB2_192:                              ;   in Loop: Header=BB2_59 Depth=2
	s_and_not1_saveexec_b32 s12, s12
	s_cbranch_execz .LBB2_214
; %bb.193:                              ;   in Loop: Header=BB2_59 Depth=2
	s_mov_b32 s13, s37
	s_and_saveexec_b32 s24, s3
	s_delay_alu instid0(SALU_CYCLE_1)
	s_xor_b32 s24, exec_lo, s24
	s_cbranch_execz .LBB2_211
; %bb.194:                              ;   in Loop: Header=BB2_59 Depth=2
	s_and_saveexec_b32 s37, s1
	s_cbranch_execz .LBB2_210
; %bb.195:                              ;   in Loop: Header=BB2_59 Depth=2
	s_mov_b32 s39, exec_lo
	s_mov_b32 s38, exec_lo
	v_mbcnt_lo_u32_b32 v2, s39, 0
	;;#ASMSTART
	s_waitcnt lgkmcnt(0) vmcnt(0)
	;;#ASMEND
	s_delay_alu instid0(VALU_DEP_1)
	v_cmpx_eq_u32_e32 0, v2
	s_cbranch_execz .LBB2_197
; %bb.196:                              ;   in Loop: Header=BB2_59 Depth=2
	s_bcnt1_i32_b32 vcc_lo, s39
	s_delay_alu instid0(SALU_CYCLE_1)
	v_mov_b32_e32 v2, vcc_lo
	ds_add_u64 v0, v[2:3]
	s_cbranch_execz .LBB2_197
; %bb.4966:
	s_getpc_b64 s[46:47]
.Lpost_getpc40:
	s_add_u32 s46, s46, (.LBB2_4536-.Lpost_getpc40)&4294967295
	s_addc_u32 s47, s47, (.LBB2_4536-.Lpost_getpc40)>>32
	s_setpc_b64 s[46:47]
.LBB2_197:                              ;   in Loop: Header=BB2_59 Depth=2
	s_or_b32 exec_lo, exec_lo, s38
	s_cbranch_execz .LBB2_198
; %bb.4968:
	s_getpc_b64 s[46:47]
.Lpost_getpc41:
	s_add_u32 s46, s46, (.LBB2_4512-.Lpost_getpc41)&4294967295
	s_addc_u32 s47, s47, (.LBB2_4512-.Lpost_getpc41)>>32
	s_setpc_b64 s[46:47]
.LBB2_198:                              ;   in Loop: Header=BB2_59 Depth=2
	ds_load_b64 v[12:13], v0
	v_add_co_u32 v32, vcc_lo, v32, v83
	v_add_co_ci_u32_e32 v33, vcc_lo, 0, v33, vcc_lo
	s_mov_b32 s38, exec_lo
	s_waitcnt lgkmcnt(0)
	s_delay_alu instid0(VALU_DEP_1)
	v_cmpx_lt_u64_e64 v[12:13], v[32:33]
	s_cbranch_execz .LBB2_209
; %bb.199:                              ;   in Loop: Header=BB2_59 Depth=2
	s_mov_b32 s39, 0
	s_mov_b32 s42, 0
                                        ; implicit-def: $sgpr40
                                        ; implicit-def: $sgpr41
	s_branch .LBB2_201
.LBB2_200:                              ;   in Loop: Header=BB2_201 Depth=3
	s_or_b32 exec_lo, exec_lo, s44
	s_delay_alu instid0(SALU_CYCLE_1) | instskip(NEXT) | instid1(SALU_CYCLE_1)
	s_and_b32 vcc_lo, exec_lo, vcc_lo
	s_or_b32 s39, vcc_lo, s39
	s_and_not1_b32 vcc_lo, s40, exec_lo
	s_and_b32 s40, s41, exec_lo
	s_delay_alu instid0(SALU_CYCLE_1)
	s_or_b32 s40, vcc_lo, s40
	s_and_not1_b32 exec_lo, exec_lo, s39
	s_cbranch_execz .LBB2_207
.LBB2_201:                              ;   Parent Loop BB2_51 Depth=1
                                        ;     Parent Loop BB2_59 Depth=2
                                        ; =>    This Inner Loop Header: Depth=3
	s_add_i32 s42, s42, 1
                                        ; implicit-def: $sgpr44
	s_delay_alu instid0(SALU_CYCLE_1) | instskip(SKIP_1) | instid1(SALU_CYCLE_1)
	s_cmpk_lg_i32 s42, 0x2710
	s_cselect_b32 s43, -1, 0
	s_and_b32 vcc_lo, exec_lo, s43
	s_cbranch_vccz .LBB2_205
.LBB2_202:                              ;   in Loop: Header=BB2_201 Depth=3
	s_and_not1_b32 s41, s41, exec_lo
	s_and_b32 s44, s44, exec_lo
	s_mov_b32 vcc_lo, -1
	s_or_b32 s41, s41, s44
	s_and_saveexec_b32 s44, s43
	s_cbranch_execz .LBB2_200
; %bb.203:                              ;   in Loop: Header=BB2_201 Depth=3
	s_sleep 1
	s_cbranch_execz .LBB2_204
; %bb.4970:
	s_getpc_b64 s[46:47]
.Lpost_getpc42:
	s_add_u32 s46, s46, (.LBB2_4584-.Lpost_getpc42)&4294967295
	s_addc_u32 s47, s47, (.LBB2_4584-.Lpost_getpc42)>>32
	s_setpc_b64 s[46:47]
.LBB2_204:                              ;   in Loop: Header=BB2_201 Depth=3
	ds_load_b64 v[12:13], v0
	s_and_not1_b32 s41, s41, exec_lo
	s_waitcnt lgkmcnt(0)
	v_cmp_ge_u64_e32 vcc_lo, v[12:13], v[32:33]
	s_or_not1_b32 vcc_lo, vcc_lo, exec_lo
	s_branch .LBB2_200
.LBB2_205:                              ;   in Loop: Header=BB2_201 Depth=3
	s_cbranch_execz .LBB2_206
; %bb.4972:
	s_getpc_b64 s[46:47]
.Lpost_getpc43:
	s_add_u32 s46, s46, (.LBB2_4604-.Lpost_getpc43)&4294967295
	s_addc_u32 s47, s47, (.LBB2_4604-.Lpost_getpc43)>>32
	s_setpc_b64 s[46:47]
.LBB2_206:                              ;   in Loop: Header=BB2_201 Depth=3
	ds_load_b64 v[12:13], v0
	s_and_not1_b32 s43, s43, exec_lo
	s_mov_b32 s42, 0
	s_mov_b32 s44, -1
	s_waitcnt lgkmcnt(0)
	s_waitcnt_vscnt null, 0x0
	flat_load_b32 v2, v[12:13] glc
	s_waitcnt vmcnt(0) lgkmcnt(0)
	buffer_gl1_inv
	buffer_gl0_inv
	v_cmp_eq_u32_e32 vcc_lo, 0, v2
	s_and_b32 vcc_lo, vcc_lo, exec_lo
	s_delay_alu instid0(SALU_CYCLE_1)
	s_or_b32 s43, s43, vcc_lo
	s_branch .LBB2_202
.LBB2_207:                              ;   in Loop: Header=BB2_59 Depth=2
	s_or_b32 exec_lo, exec_lo, s39
	s_and_saveexec_b32 vcc_lo, s40
	s_delay_alu instid0(SALU_CYCLE_1)
	s_xor_b32 vcc_lo, exec_lo, vcc_lo
	s_cbranch_execz .LBB2_209
; %bb.208:                              ;   in Loop: Header=BB2_59 Depth=2
	ds_store_b32 v0, v119
	s_cbranch_execz .LBB2_209
; %bb.4974:
	s_getpc_b64 s[46:47]
.Lpost_getpc44:
	s_add_u32 s46, s46, (.LBB2_4808-.Lpost_getpc44)&4294967295
	s_addc_u32 s47, s47, (.LBB2_4808-.Lpost_getpc44)>>32
	s_setpc_b64 s[46:47]
.LBB2_209:                              ;   in Loop: Header=BB2_59 Depth=2
	s_or_b32 exec_lo, exec_lo, s38
	;;#ASMSTART
	s_wakeup
	;;#ASMEND
.LBB2_210:                              ;   in Loop: Header=BB2_59 Depth=2
	s_or_b32 exec_lo, exec_lo, s37
.LBB2_211:                              ;   in Loop: Header=BB2_59 Depth=2
	s_and_not1_saveexec_b32 s24, s24
	s_cbranch_execz .LBB2_213
; %bb.212:                              ;   in Loop: Header=BB2_59 Depth=2
	;;#ASMSTART
	s_waitcnt lgkmcnt(0) vmcnt(0)
	;;#ASMEND
	s_waitcnt lgkmcnt(0)
	s_waitcnt_vscnt null, 0x0
	s_barrier
.LBB2_213:                              ;   in Loop: Header=BB2_59 Depth=2
	s_or_b32 exec_lo, exec_lo, s24
	v_and_b32_e32 v2, 16, v30
	s_mov_b32 s37, s13
.LBB2_214:                              ;   in Loop: Header=BB2_59 Depth=2
	s_or_b32 exec_lo, exec_lo, s12
	s_delay_alu instid0(SALU_CYCLE_1) | instskip(NEXT) | instid1(VALU_DEP_1)
	s_mov_b32 s12, exec_lo
	v_cmpx_ne_u32_e32 0, v2
	s_cbranch_execz .LBB2_218
; %bb.215:                              ;   in Loop: Header=BB2_59 Depth=2
	s_and_saveexec_b32 s13, s2
	s_cbranch_execz .LBB2_217
; %bb.216:                              ;   in Loop: Header=BB2_59 Depth=2
	s_waitcnt lgkmcnt(0)
	s_waitcnt_vscnt null, 0x0
	flat_store_b32 v[28:29], v119
.LBB2_217:                              ;   in Loop: Header=BB2_59 Depth=2
	s_or_b32 exec_lo, exec_lo, s13
	v_add_co_u32 v24, vcc_lo, v24, 2
	v_add_co_ci_u32_e32 v25, vcc_lo, 0, v25, vcc_lo
	s_waitcnt lgkmcnt(0)
	s_waitcnt_vscnt null, 0x0
	flat_store_b64 v[22:23], v[24:25]
.LBB2_218:                              ;   in Loop: Header=BB2_59 Depth=2
	s_or_b32 exec_lo, exec_lo, s12
	v_dual_mov_b32 v2, s36 :: v_dual_add_nc_u32 v55, v8, v55
	s_xor_b32 s12, s17, -1
	s_mov_b32 s17, 0
	s_mov_b32 s36, 2
	s_delay_alu instid0(VALU_DEP_1) | instskip(SKIP_1) | instid1(SALU_CYCLE_1)
	v_cmp_ge_i32_e32 vcc_lo, v55, v54
	s_or_b32 s12, s12, vcc_lo
	s_and_b32 s12, exec_lo, s12
	s_delay_alu instid0(SALU_CYCLE_1) | instskip(NEXT) | instid1(SALU_CYCLE_1)
	s_or_b32 s16, s12, s16
	s_and_not1_b32 exec_lo, exec_lo, s16
	s_cbranch_execnz .LBB2_59
; %bb.219:                              ;   in Loop: Header=BB2_51 Depth=1
	s_or_b32 exec_lo, exec_lo, s16
	s_mov_b32 s12, s5
	s_mov_b32 s5, vcc_hi
	s_mov_b32 vcc_hi, s6
	s_mov_b32 s6, s10
	s_mov_b32 s10, s11
	;; [unrolled: 1-line block ×5, first 2 shown]
.LBB2_220:                              ;   in Loop: Header=BB2_51 Depth=1
	s_or_b32 exec_lo, exec_lo, s15
	s_delay_alu instid0(SALU_CYCLE_1)
	s_mov_b32 s15, exec_lo
	v_cmpx_gt_i32_e32 2, v2
	s_cbranch_execz .LBB2_301
; %bb.221:                              ;   in Loop: Header=BB2_51 Depth=1
	v_cmp_eq_u32_e64 s2, 0, v2
	s_mov_b32 s16, 0
.LBB2_222:                              ;   Parent Loop BB2_51 Depth=1
                                        ; =>  This Loop Header: Depth=2
                                        ;       Child Loop BB2_228 Depth 3
                                        ;       Child Loop BB2_255 Depth 3
	;; [unrolled: 1-line block ×3, first 2 shown]
	v_and_b32_e32 v2, 8, v30
	s_mov_b32 s13, -1
	s_mov_b32 s4, exec_lo
	s_delay_alu instid0(VALU_DEP_1)
	v_cmpx_ne_u32_e32 0, v2
	s_cbranch_execz .LBB2_236
; %bb.223:                              ;   in Loop: Header=BB2_222 Depth=2
	v_add_co_u32 v11, vcc_lo, v34, 8
	v_add_co_ci_u32_e32 v12, vcc_lo, 0, v35, vcc_lo
	v_add_co_u32 v9, vcc_lo, v24, 2
	v_add_co_ci_u32_e32 v10, vcc_lo, 0, v25, vcc_lo
	v_mov_b32_e32 v2, 1
	s_mov_b32 s13, exec_lo
	s_delay_alu instid0(VALU_DEP_2)
	v_cmpx_lt_u64_e64 v[11:12], v[9:10]
	s_cbranch_execz .LBB2_235
; %bb.224:                              ;   in Loop: Header=BB2_222 Depth=2
	v_mov_b32_e32 v2, 0
	s_mov_b32 s17, 0
                                        ; implicit-def: $sgpr24
	s_branch .LBB2_228
.LBB2_225:                              ;   in Loop: Header=BB2_228 Depth=3
	s_or_b32 exec_lo, exec_lo, s41
	v_mov_b32_e32 v11, 0
	s_or_not1_b32 s40, s40, exec_lo
.LBB2_226:                              ;   in Loop: Header=BB2_228 Depth=3
	s_or_b32 exec_lo, exec_lo, s39
	s_delay_alu instid0(VALU_DEP_1) | instskip(SKIP_2) | instid1(SALU_CYCLE_1)
	v_mov_b32_e32 v2, v11
	s_and_not1_b32 s24, s24, exec_lo
	s_and_b32 vcc_lo, s40, exec_lo
	s_or_b32 s24, s24, vcc_lo
.LBB2_227:                              ;   in Loop: Header=BB2_228 Depth=3
	s_or_b32 exec_lo, exec_lo, s38
	s_waitcnt vmcnt(0) lgkmcnt(0)
	v_add_co_u32 v11, vcc_lo, v34, 8
	v_add_co_ci_u32_e32 v12, vcc_lo, 0, v35, vcc_lo
	s_xor_b32 s38, s24, -1
	s_delay_alu instid0(VALU_DEP_1) | instskip(SKIP_1) | instid1(SALU_CYCLE_1)
	v_cmp_ge_u64_e32 vcc_lo, v[11:12], v[9:10]
	s_or_b32 vcc_lo, s38, vcc_lo
	s_and_b32 vcc_lo, exec_lo, vcc_lo
	s_delay_alu instid0(SALU_CYCLE_1) | instskip(NEXT) | instid1(SALU_CYCLE_1)
	s_or_b32 s17, vcc_lo, s17
	s_and_not1_b32 exec_lo, exec_lo, s17
	s_cbranch_execz .LBB2_234
.LBB2_228:                              ;   Parent Loop BB2_51 Depth=1
                                        ;     Parent Loop BB2_222 Depth=2
                                        ; =>    This Inner Loop Header: Depth=3
	s_sleep 1
	flat_load_b64 v[34:35], v[22:23] glc
	v_and_b32_e32 v11, 64, v30
	s_and_not1_b32 s24, s24, exec_lo
	s_mov_b32 s38, exec_lo
	s_delay_alu instid0(VALU_DEP_1)
	v_cmpx_eq_u32_e32 0, v11
	s_cbranch_execz .LBB2_227
; %bb.229:                              ;   in Loop: Header=BB2_228 Depth=3
	v_add_nc_u32_e32 v11, 1, v2
	s_mov_b32 s40, -1
	s_mov_b32 s39, exec_lo
	v_cmpx_lt_i32_e32 0x270e, v2
	s_cbranch_execz .LBB2_226
; %bb.230:                              ;   in Loop: Header=BB2_228 Depth=3
	s_cbranch_execz .LBB2_231
; %bb.4976:
	s_getpc_b64 s[46:47]
.Lpost_getpc45:
	s_add_u32 s46, s46, (.LBB2_4411-.Lpost_getpc45)&4294967295
	s_addc_u32 s47, s47, (.LBB2_4411-.Lpost_getpc45)>>32
	s_setpc_b64 s[46:47]
.LBB2_231:                              ;   in Loop: Header=BB2_228 Depth=3
	ds_load_b64 v[11:12], v0
	s_mov_b32 s41, exec_lo
	s_waitcnt vmcnt(0) lgkmcnt(0)
	s_waitcnt_vscnt null, 0x0
	flat_load_b32 v2, v[11:12] glc
	s_waitcnt vmcnt(0) lgkmcnt(0)
	buffer_gl1_inv
	buffer_gl0_inv
	v_cmpx_ne_u32_e32 0, v2
	s_cbranch_execz .LBB2_225
; %bb.232:                              ;   in Loop: Header=BB2_228 Depth=3
	ds_store_b32 v0, v2
	s_cbranch_execz .LBB2_233
; %bb.4978:
	s_getpc_b64 s[46:47]
.Lpost_getpc46:
	s_add_u32 s46, s46, (.LBB2_4423-.Lpost_getpc46)&4294967295
	s_addc_u32 s47, s47, (.LBB2_4423-.Lpost_getpc46)>>32
	s_setpc_b64 s[46:47]
.LBB2_233:                              ;   in Loop: Header=BB2_228 Depth=3
	v_or_b32_e32 v30, 64, v30
	s_xor_b32 s40, exec_lo, -1
	s_branch .LBB2_225
.LBB2_234:                              ;   in Loop: Header=BB2_222 Depth=2
	s_or_b32 exec_lo, exec_lo, s17
	v_and_b32_e32 v2, 8, v30
.LBB2_235:                              ;   in Loop: Header=BB2_222 Depth=2
	s_or_b32 exec_lo, exec_lo, s13
	s_delay_alu instid0(VALU_DEP_1)
	v_cmp_eq_u32_e32 vcc_lo, 0, v2
	;;#ASMSTART
	s_wakeup
	;;#ASMEND
	s_or_not1_b32 s13, vcc_lo, exec_lo
.LBB2_236:                              ;   in Loop: Header=BB2_222 Depth=2
	s_or_b32 exec_lo, exec_lo, s4
	v_sub_nc_u32_e32 v2, v54, v55
	s_xor_b32 s2, s2, -1
	s_delay_alu instid0(SALU_CYCLE_1) | instskip(NEXT) | instid1(SALU_CYCLE_1)
	s_and_b32 s2, exec_lo, s2
	s_or_b32 s16, s2, s16
	s_delay_alu instid0(VALU_DEP_1) | instskip(SKIP_1) | instid1(SALU_CYCLE_1)
	v_min_i32_e32 v8, v8, v2
	s_xor_b32 s4, s13, -1
	s_and_saveexec_b32 s2, s4
	s_cbranch_execz .LBB2_246
; %bb.237:                              ;   in Loop: Header=BB2_222 Depth=2
	v_and_b32_e32 v2, 0x100, v30
	s_mov_b32 s13, -1
                                        ; implicit-def: $vgpr9_vgpr10
	s_delay_alu instid0(VALU_DEP_1)
	v_cmp_ne_u32_e32 vcc_lo, 0, v2
	v_and_b32_e32 v2, 7, v24
	s_and_saveexec_b32 s4, vcc_lo
	s_cbranch_execz .LBB2_241
; %bb.238:                              ;   in Loop: Header=BB2_222 Depth=2
	s_delay_alu instid0(VALU_DEP_1)
	v_mad_u64_u32 v[11:12], null, v2, 24, v[6:7]
	v_ashrrev_i32_e32 v9, 31, v8
	flat_load_b32 v10, v[11:12]
	flat_store_b64 v[11:12], v[8:9] offset:8
	s_waitcnt vmcnt(0) lgkmcnt(1)
	v_cmp_ne_u32_e32 vcc_lo, 1, v10
	v_cmp_eq_u32_e64 s13, 1, v10
                                        ; implicit-def: $vgpr9_vgpr10
	s_delay_alu instid0(VALU_DEP_1)
	s_and_saveexec_b32 s17, s13
	s_cbranch_execz .LBB2_240
; %bb.239:                              ;   in Loop: Header=BB2_222 Depth=2
	flat_load_b32 v9, v[11:12] offset:4 glc
	s_waitcnt vmcnt(0) lgkmcnt(0)
	v_ashrrev_i32_e32 v10, 31, v9
.LBB2_240:                              ;   in Loop: Header=BB2_222 Depth=2
	s_or_b32 exec_lo, exec_lo, s17
	s_delay_alu instid0(SALU_CYCLE_1)
	s_or_not1_b32 s13, vcc_lo, exec_lo
.LBB2_241:                              ;   in Loop: Header=BB2_222 Depth=2
	s_or_b32 exec_lo, exec_lo, s4
	s_and_saveexec_b32 s4, s13
; %bb.242:                              ;   in Loop: Header=BB2_222 Depth=2
	v_mad_i64_i32 v[9:10], null, v2, v80, 0
; %bb.243:                              ;   in Loop: Header=BB2_222 Depth=2
	s_or_b32 exec_lo, exec_lo, s4
	s_delay_alu instid0(VALU_DEP_1) | instskip(SKIP_1) | instid1(VALU_DEP_3)
	v_add_co_u32 v9, vcc_lo, v26, v9
	v_and_b32_e32 v2, 0x2000, v30
	v_add_co_ci_u32_e32 v10, vcc_lo, v27, v10, vcc_lo
	s_mov_b32 s4, exec_lo
	ds_store_b64 v0, v[9:10] offset:784
	v_cmpx_ne_u32_e32 0, v2
	s_cbranch_execz .LBB2_245
; %bb.244:                              ;   in Loop: Header=BB2_222 Depth=2
	ds_load_b64 v[9:10], v0 offset:584
	s_waitcnt lgkmcnt(0)
	v_add_co_u32 v9, vcc_lo, v9, 1
	v_add_co_ci_u32_e32 v10, vcc_lo, 0, v10, vcc_lo
	ds_store_b64 v0, v[9:10] offset:584
.LBB2_245:                              ;   in Loop: Header=BB2_222 Depth=2
	s_or_b32 exec_lo, exec_lo, s4
	v_add_co_u32 v24, vcc_lo, v24, 2
	v_add_co_ci_u32_e32 v25, vcc_lo, 0, v25, vcc_lo
.LBB2_246:                              ;   in Loop: Header=BB2_222 Depth=2
	s_or_b32 exec_lo, exec_lo, s2
	s_and_saveexec_b32 s2, s37
	s_cbranch_execz .LBB2_268
; %bb.247:                              ;   in Loop: Header=BB2_222 Depth=2
	s_and_saveexec_b32 s4, s3
	s_delay_alu instid0(SALU_CYCLE_1)
	s_xor_b32 s4, exec_lo, s4
	s_cbranch_execz .LBB2_265
; %bb.248:                              ;   in Loop: Header=BB2_222 Depth=2
	s_and_saveexec_b32 s13, s1
	s_cbranch_execz .LBB2_264
; %bb.249:                              ;   in Loop: Header=BB2_222 Depth=2
	s_mov_b32 s17, exec_lo
	s_mov_b32 s38, exec_lo
	v_mbcnt_lo_u32_b32 v2, s17, 0
	s_waitcnt lgkmcnt(0)
	s_waitcnt_vscnt null, 0x0
	buffer_gl1_inv
	buffer_gl0_inv
	v_cmpx_eq_u32_e32 0, v2
	s_cbranch_execz .LBB2_251
; %bb.250:                              ;   in Loop: Header=BB2_222 Depth=2
	s_bcnt1_i32_b32 s17, s17
	s_delay_alu instid0(SALU_CYCLE_1)
	v_mov_b32_e32 v2, s17
	ds_add_u64 v0, v[2:3]
	s_cbranch_execz .LBB2_251
; %bb.4980:
	s_getpc_b64 s[46:47]
.Lpost_getpc47:
	s_add_u32 s46, s46, (.LBB2_4454-.Lpost_getpc47)&4294967295
	s_addc_u32 s47, s47, (.LBB2_4454-.Lpost_getpc47)>>32
	s_setpc_b64 s[46:47]
.LBB2_251:                              ;   in Loop: Header=BB2_222 Depth=2
	s_or_b32 exec_lo, exec_lo, s38
	s_cbranch_execz .LBB2_252
; %bb.4982:
	s_getpc_b64 s[46:47]
.Lpost_getpc48:
	s_add_u32 s46, s46, (.LBB2_4436-.Lpost_getpc48)&4294967295
	s_addc_u32 s47, s47, (.LBB2_4436-.Lpost_getpc48)>>32
	s_setpc_b64 s[46:47]
.LBB2_252:                              ;   in Loop: Header=BB2_222 Depth=2
	ds_load_b64 v[9:10], v0
	v_add_co_u32 v32, vcc_lo, v32, v83
	v_add_co_ci_u32_e32 v33, vcc_lo, 0, v33, vcc_lo
	s_mov_b32 s17, s37
	s_mov_b32 s24, s29
	s_mov_b32 s29, exec_lo
	s_waitcnt lgkmcnt(0)
	v_cmpx_lt_u64_e64 v[9:10], v[32:33]
	s_cbranch_execz .LBB2_263
; %bb.253:                              ;   in Loop: Header=BB2_222 Depth=2
	s_mov_b32 s37, 0
	s_mov_b32 s40, 0
                                        ; implicit-def: $sgpr38
                                        ; implicit-def: $sgpr39
	s_branch .LBB2_255
.LBB2_254:                              ;   in Loop: Header=BB2_255 Depth=3
	s_or_b32 exec_lo, exec_lo, s42
	s_delay_alu instid0(SALU_CYCLE_1) | instskip(NEXT) | instid1(SALU_CYCLE_1)
	s_and_b32 vcc_lo, exec_lo, vcc_lo
	s_or_b32 s37, vcc_lo, s37
	s_and_not1_b32 vcc_lo, s38, exec_lo
	s_and_b32 s38, s39, exec_lo
	s_delay_alu instid0(SALU_CYCLE_1)
	s_or_b32 s38, vcc_lo, s38
	s_and_not1_b32 exec_lo, exec_lo, s37
	s_cbranch_execz .LBB2_261
.LBB2_255:                              ;   Parent Loop BB2_51 Depth=1
                                        ;     Parent Loop BB2_222 Depth=2
                                        ; =>    This Inner Loop Header: Depth=3
	s_add_i32 s40, s40, 1
                                        ; implicit-def: $sgpr42
	s_delay_alu instid0(SALU_CYCLE_1) | instskip(SKIP_1) | instid1(SALU_CYCLE_1)
	s_cmpk_lg_i32 s40, 0x2710
	s_cselect_b32 s41, -1, 0
	s_and_b32 vcc_lo, exec_lo, s41
	s_cbranch_vccz .LBB2_259
.LBB2_256:                              ;   in Loop: Header=BB2_255 Depth=3
	s_and_not1_b32 s39, s39, exec_lo
	s_and_b32 s42, s42, exec_lo
	s_mov_b32 vcc_lo, -1
	s_or_b32 s39, s39, s42
	s_and_saveexec_b32 s42, s41
	s_cbranch_execz .LBB2_254
; %bb.257:                              ;   in Loop: Header=BB2_255 Depth=3
	s_sleep 1
	s_cbranch_execz .LBB2_258
; %bb.4984:
	s_getpc_b64 s[46:47]
.Lpost_getpc49:
	s_add_u32 s46, s46, (.LBB2_4484-.Lpost_getpc49)&4294967295
	s_addc_u32 s47, s47, (.LBB2_4484-.Lpost_getpc49)>>32
	s_setpc_b64 s[46:47]
.LBB2_258:                              ;   in Loop: Header=BB2_255 Depth=3
	ds_load_b64 v[9:10], v0
	s_and_not1_b32 s39, s39, exec_lo
	s_waitcnt lgkmcnt(0)
	v_cmp_ge_u64_e32 vcc_lo, v[9:10], v[32:33]
	s_or_not1_b32 vcc_lo, vcc_lo, exec_lo
	s_branch .LBB2_254
.LBB2_259:                              ;   in Loop: Header=BB2_255 Depth=3
	s_cbranch_execz .LBB2_260
; %bb.4986:
	s_getpc_b64 s[46:47]
.Lpost_getpc50:
	s_add_u32 s46, s46, (.LBB2_4490-.Lpost_getpc50)&4294967295
	s_addc_u32 s47, s47, (.LBB2_4490-.Lpost_getpc50)>>32
	s_setpc_b64 s[46:47]
.LBB2_260:                              ;   in Loop: Header=BB2_255 Depth=3
	ds_load_b64 v[9:10], v0
	s_and_not1_b32 s41, s41, exec_lo
	s_mov_b32 s40, 0
	s_mov_b32 s42, -1
	s_waitcnt lgkmcnt(0)
	flat_load_b32 v2, v[9:10] glc
	s_waitcnt vmcnt(0) lgkmcnt(0)
	buffer_gl1_inv
	buffer_gl0_inv
	v_cmp_eq_u32_e32 vcc_lo, 0, v2
	s_and_b32 vcc_lo, vcc_lo, exec_lo
	s_delay_alu instid0(SALU_CYCLE_1)
	s_or_b32 s41, s41, vcc_lo
	s_branch .LBB2_256
.LBB2_261:                              ;   in Loop: Header=BB2_222 Depth=2
	s_or_b32 exec_lo, exec_lo, s37
	s_and_saveexec_b32 vcc_lo, s38
	s_delay_alu instid0(SALU_CYCLE_1)
	s_xor_b32 vcc_lo, exec_lo, vcc_lo
	s_cbranch_execz .LBB2_263
; %bb.262:                              ;   in Loop: Header=BB2_222 Depth=2
	ds_store_b32 v0, v119
	s_cbranch_execz .LBB2_263
; %bb.4988:
	s_getpc_b64 s[46:47]
.Lpost_getpc51:
	s_add_u32 s46, s46, (.LBB2_4700-.Lpost_getpc51)&4294967295
	s_addc_u32 s47, s47, (.LBB2_4700-.Lpost_getpc51)>>32
	s_setpc_b64 s[46:47]
.LBB2_263:                              ;   in Loop: Header=BB2_222 Depth=2
	s_or_b32 exec_lo, exec_lo, s29
	s_mov_b32 s29, s24
	s_mov_b32 s37, s17
	;;#ASMSTART
	s_wakeup
	;;#ASMEND
.LBB2_264:                              ;   in Loop: Header=BB2_222 Depth=2
	s_or_b32 exec_lo, exec_lo, s13
.LBB2_265:                              ;   in Loop: Header=BB2_222 Depth=2
	s_and_not1_saveexec_b32 s4, s4
	s_cbranch_execz .LBB2_267
; %bb.266:                              ;   in Loop: Header=BB2_222 Depth=2
	s_waitcnt lgkmcnt(0)
	s_waitcnt_vscnt null, 0x0
	buffer_gl1_inv
	buffer_gl0_inv
	s_barrier
.LBB2_267:                              ;   in Loop: Header=BB2_222 Depth=2
	s_or_b32 exec_lo, exec_lo, s4
.LBB2_268:                              ;   in Loop: Header=BB2_222 Depth=2
	s_delay_alu instid0(SALU_CYCLE_1) | instskip(SKIP_1) | instid1(SALU_CYCLE_1)
	s_or_b32 exec_lo, exec_lo, s2
                                        ; implicit-def: $vgpr2
	s_and_saveexec_b32 s2, s7
	s_xor_b32 s2, exec_lo, s2
	s_cbranch_execz .LBB2_273
; %bb.269:                              ;   in Loop: Header=BB2_222 Depth=2
	s_cbranch_execz .LBB2_270
; %bb.4990:
	s_getpc_b64 s[46:47]
.Lpost_getpc52:
	s_add_u32 s46, s46, (.LBB2_4409-.Lpost_getpc52)&4294967295
	s_addc_u32 s47, s47, (.LBB2_4409-.Lpost_getpc52)>>32
	s_setpc_b64 s[46:47]
.LBB2_270:                              ;   in Loop: Header=BB2_222 Depth=2
	ds_load_b32 v2, v0
	v_cmp_lt_i32_e32 vcc_lo, 0, v8
	s_waitcnt lgkmcnt(0)
	v_readfirstlane_b32 s4, v2
	v_and_b32_e32 v2, 16, v30
	s_delay_alu instid0(VALU_DEP_2) | instskip(NEXT) | instid1(VALU_DEP_1)
	s_cmp_eq_u32 s4, 0
	v_cmp_ne_u32_e64 s13, 0, v2
	s_cselect_b32 s4, -1, 0
	v_and_b32_e32 v2, 16, v30
	s_and_b32 s4, vcc_lo, s4
	s_delay_alu instid0(VALU_DEP_2) | instid1(SALU_CYCLE_1)
	s_and_b32 s13, s13, s4
	s_delay_alu instid0(SALU_CYCLE_1)
	s_and_saveexec_b32 s4, s13
	s_cbranch_execz .LBB2_272
; %bb.271:                              ;   in Loop: Header=BB2_222 Depth=2
	v_mov_b32_e32 v2, 1
	s_waitcnt_vscnt null, 0x0
	buffer_gl1_inv
	buffer_gl0_inv
.LBB2_272:                              ;   in Loop: Header=BB2_222 Depth=2
	s_or_b32 exec_lo, exec_lo, s4
.LBB2_273:                              ;   in Loop: Header=BB2_222 Depth=2
	s_and_not1_saveexec_b32 s2, s2
	s_cbranch_execz .LBB2_295
; %bb.274:                              ;   in Loop: Header=BB2_222 Depth=2
	s_and_saveexec_b32 s4, s3
	s_delay_alu instid0(SALU_CYCLE_1)
	s_xor_b32 s4, exec_lo, s4
	s_cbranch_execz .LBB2_292
; %bb.275:                              ;   in Loop: Header=BB2_222 Depth=2
	s_and_saveexec_b32 s13, s1
	s_cbranch_execz .LBB2_291
; %bb.276:                              ;   in Loop: Header=BB2_222 Depth=2
	s_mov_b32 s17, s37
	s_mov_b32 s37, exec_lo
	s_mov_b32 s24, s29
	v_mbcnt_lo_u32_b32 v2, s37, 0
	s_mov_b32 s29, exec_lo
	;;#ASMSTART
	s_waitcnt lgkmcnt(0) vmcnt(0)
	;;#ASMEND
	s_delay_alu instid0(VALU_DEP_1)
	v_cmpx_eq_u32_e32 0, v2
	s_cbranch_execz .LBB2_278
; %bb.277:                              ;   in Loop: Header=BB2_222 Depth=2
	s_bcnt1_i32_b32 vcc_lo, s37
	s_delay_alu instid0(SALU_CYCLE_1)
	v_mov_b32_e32 v2, vcc_lo
	ds_add_u64 v0, v[2:3]
	s_cbranch_execz .LBB2_278
; %bb.4992:
	s_getpc_b64 s[46:47]
.Lpost_getpc53:
	s_add_u32 s46, s46, (.LBB2_4472-.Lpost_getpc53)&4294967295
	s_addc_u32 s47, s47, (.LBB2_4472-.Lpost_getpc53)>>32
	s_setpc_b64 s[46:47]
.LBB2_278:                              ;   in Loop: Header=BB2_222 Depth=2
	s_or_b32 exec_lo, exec_lo, s29
	s_cbranch_execz .LBB2_279
; %bb.4994:
	s_getpc_b64 s[46:47]
.Lpost_getpc54:
	s_add_u32 s46, s46, (.LBB2_4452-.Lpost_getpc54)&4294967295
	s_addc_u32 s47, s47, (.LBB2_4452-.Lpost_getpc54)>>32
	s_setpc_b64 s[46:47]
.LBB2_279:                              ;   in Loop: Header=BB2_222 Depth=2
	ds_load_b64 v[9:10], v0
	v_add_co_u32 v32, vcc_lo, v32, v83
	v_add_co_ci_u32_e32 v33, vcc_lo, 0, v33, vcc_lo
	s_mov_b32 s29, exec_lo
	s_waitcnt lgkmcnt(0)
	s_delay_alu instid0(VALU_DEP_1)
	v_cmpx_lt_u64_e64 v[9:10], v[32:33]
	s_cbranch_execz .LBB2_290
; %bb.280:                              ;   in Loop: Header=BB2_222 Depth=2
	s_mov_b32 s37, 0
	s_mov_b32 s40, 0
                                        ; implicit-def: $sgpr38
                                        ; implicit-def: $sgpr39
	s_branch .LBB2_282
.LBB2_281:                              ;   in Loop: Header=BB2_282 Depth=3
	s_or_b32 exec_lo, exec_lo, s42
	s_delay_alu instid0(SALU_CYCLE_1) | instskip(NEXT) | instid1(SALU_CYCLE_1)
	s_and_b32 vcc_lo, exec_lo, vcc_lo
	s_or_b32 s37, vcc_lo, s37
	s_and_not1_b32 vcc_lo, s38, exec_lo
	s_and_b32 s38, s39, exec_lo
	s_delay_alu instid0(SALU_CYCLE_1)
	s_or_b32 s38, vcc_lo, s38
	s_and_not1_b32 exec_lo, exec_lo, s37
	s_cbranch_execz .LBB2_288
.LBB2_282:                              ;   Parent Loop BB2_51 Depth=1
                                        ;     Parent Loop BB2_222 Depth=2
                                        ; =>    This Inner Loop Header: Depth=3
	s_add_i32 s40, s40, 1
                                        ; implicit-def: $sgpr42
	s_delay_alu instid0(SALU_CYCLE_1) | instskip(SKIP_1) | instid1(SALU_CYCLE_1)
	s_cmpk_lg_i32 s40, 0x2710
	s_cselect_b32 s41, -1, 0
	s_and_b32 vcc_lo, exec_lo, s41
	s_cbranch_vccz .LBB2_286
.LBB2_283:                              ;   in Loop: Header=BB2_282 Depth=3
	s_and_not1_b32 s39, s39, exec_lo
	s_and_b32 s42, s42, exec_lo
	s_mov_b32 vcc_lo, -1
	s_or_b32 s39, s39, s42
	s_and_saveexec_b32 s42, s41
	s_cbranch_execz .LBB2_281
; %bb.284:                              ;   in Loop: Header=BB2_282 Depth=3
	s_sleep 1
	s_cbranch_execz .LBB2_285
; %bb.4996:
	s_getpc_b64 s[46:47]
.Lpost_getpc55:
	s_add_u32 s46, s46, (.LBB2_4496-.Lpost_getpc55)&4294967295
	s_addc_u32 s47, s47, (.LBB2_4496-.Lpost_getpc55)>>32
	s_setpc_b64 s[46:47]
.LBB2_285:                              ;   in Loop: Header=BB2_282 Depth=3
	ds_load_b64 v[9:10], v0
	s_and_not1_b32 s39, s39, exec_lo
	s_waitcnt lgkmcnt(0)
	v_cmp_ge_u64_e32 vcc_lo, v[9:10], v[32:33]
	s_or_not1_b32 vcc_lo, vcc_lo, exec_lo
	s_branch .LBB2_281
.LBB2_286:                              ;   in Loop: Header=BB2_282 Depth=3
	s_cbranch_execz .LBB2_287
; %bb.4998:
	s_getpc_b64 s[46:47]
.Lpost_getpc56:
	s_add_u32 s46, s46, (.LBB2_4508-.Lpost_getpc56)&4294967295
	s_addc_u32 s47, s47, (.LBB2_4508-.Lpost_getpc56)>>32
	s_setpc_b64 s[46:47]
.LBB2_287:                              ;   in Loop: Header=BB2_282 Depth=3
	ds_load_b64 v[9:10], v0
	s_and_not1_b32 s41, s41, exec_lo
	s_mov_b32 s40, 0
	s_mov_b32 s42, -1
	s_waitcnt lgkmcnt(0)
	s_waitcnt_vscnt null, 0x0
	flat_load_b32 v2, v[9:10] glc
	s_waitcnt vmcnt(0) lgkmcnt(0)
	buffer_gl1_inv
	buffer_gl0_inv
	v_cmp_eq_u32_e32 vcc_lo, 0, v2
	s_and_b32 vcc_lo, vcc_lo, exec_lo
	s_delay_alu instid0(SALU_CYCLE_1)
	s_or_b32 s41, s41, vcc_lo
	s_branch .LBB2_283
.LBB2_288:                              ;   in Loop: Header=BB2_222 Depth=2
	s_or_b32 exec_lo, exec_lo, s37
	s_and_saveexec_b32 vcc_lo, s38
	s_delay_alu instid0(SALU_CYCLE_1)
	s_xor_b32 vcc_lo, exec_lo, vcc_lo
	s_cbranch_execz .LBB2_290
; %bb.289:                              ;   in Loop: Header=BB2_222 Depth=2
	ds_store_b32 v0, v119
	s_cbranch_execz .LBB2_290
; %bb.5000:
	s_getpc_b64 s[46:47]
.Lpost_getpc57:
	s_add_u32 s46, s46, (.LBB2_4720-.Lpost_getpc57)&4294967295
	s_addc_u32 s47, s47, (.LBB2_4720-.Lpost_getpc57)>>32
	s_setpc_b64 s[46:47]
.LBB2_290:                              ;   in Loop: Header=BB2_222 Depth=2
	s_or_b32 exec_lo, exec_lo, s29
	s_mov_b32 s29, s24
	s_mov_b32 s37, s17
	;;#ASMSTART
	s_wakeup
	;;#ASMEND
.LBB2_291:                              ;   in Loop: Header=BB2_222 Depth=2
	s_or_b32 exec_lo, exec_lo, s13
.LBB2_292:                              ;   in Loop: Header=BB2_222 Depth=2
	s_and_not1_saveexec_b32 s4, s4
	s_cbranch_execz .LBB2_294
; %bb.293:                              ;   in Loop: Header=BB2_222 Depth=2
	;;#ASMSTART
	s_waitcnt lgkmcnt(0) vmcnt(0)
	;;#ASMEND
	s_waitcnt lgkmcnt(0)
	s_waitcnt_vscnt null, 0x0
	s_barrier
.LBB2_294:                              ;   in Loop: Header=BB2_222 Depth=2
	s_or_b32 exec_lo, exec_lo, s4
	v_and_b32_e32 v2, 16, v30
.LBB2_295:                              ;   in Loop: Header=BB2_222 Depth=2
	s_or_b32 exec_lo, exec_lo, s2
	s_delay_alu instid0(SALU_CYCLE_1) | instskip(NEXT) | instid1(VALU_DEP_1)
	s_mov_b32 s2, exec_lo
	v_cmpx_ne_u32_e32 0, v2
	s_cbranch_execz .LBB2_299
; %bb.296:                              ;   in Loop: Header=BB2_222 Depth=2
	s_and_saveexec_b32 s4, s11
	s_cbranch_execz .LBB2_298
; %bb.297:                              ;   in Loop: Header=BB2_222 Depth=2
	s_waitcnt lgkmcnt(0)
	s_waitcnt_vscnt null, 0x0
	flat_store_b32 v[28:29], v119
.LBB2_298:                              ;   in Loop: Header=BB2_222 Depth=2
	s_or_b32 exec_lo, exec_lo, s4
	v_add_co_u32 v24, vcc_lo, v24, 2
	v_add_co_ci_u32_e32 v25, vcc_lo, 0, v25, vcc_lo
	s_waitcnt lgkmcnt(0)
	s_waitcnt_vscnt null, 0x0
	flat_store_b64 v[22:23], v[24:25]
.LBB2_299:                              ;   in Loop: Header=BB2_222 Depth=2
	s_or_b32 exec_lo, exec_lo, s2
	v_add_nc_u32_e32 v55, v8, v55
	s_mov_b32 s2, 0
	s_and_not1_b32 exec_lo, exec_lo, s16
	s_cbranch_execnz .LBB2_222
; %bb.300:                              ;   in Loop: Header=BB2_51 Depth=1
	s_or_b32 exec_lo, exec_lo, s16
.LBB2_301:                              ;   in Loop: Header=BB2_51 Depth=1
	s_delay_alu instid0(SALU_CYCLE_1) | instskip(NEXT) | instid1(SALU_CYCLE_1)
	s_or_b32 exec_lo, exec_lo, s15
	s_and_not1_b32 vcc_lo, exec_lo, s29
	s_cbranch_vccnz .LBB2_1540
; %bb.302:                              ;   in Loop: Header=BB2_51 Depth=1
	s_mov_b32 s15, 2
.LBB2_303:                              ;   Parent Loop BB2_51 Depth=1
                                        ; =>  This Loop Header: Depth=2
                                        ;       Child Loop BB2_305 Depth 3
                                        ;         Child Loop BB2_314 Depth 4
                                        ;         Child Loop BB2_344 Depth 4
	;; [unrolled: 1-line block ×9, first 2 shown]
                                        ;       Child Loop BB2_1455 Depth 3
                                        ;         Child Loop BB2_1461 Depth 4
                                        ;         Child Loop BB2_1493 Depth 4
	;; [unrolled: 1-line block ×3, first 2 shown]
	s_delay_alu instid0(SALU_CYCLE_1) | instskip(SKIP_4) | instid1(SALU_CYCLE_1)
	s_sub_i32 s2, s25, s15
	s_mov_b32 s17, 0
	s_cmp_le_i32 s19, s2
	v_mov_b32_e32 v131, 0
	s_cselect_b32 s4, s19, 0
	s_sub_i32 s2, s2, s4
	s_delay_alu instid0(SALU_CYCLE_1) | instskip(SKIP_3) | instid1(VALU_DEP_1)
	s_ashr_i32 s4, s2, 31
	v_mul_lo_u32 v2, v51, s2
	v_mad_u64_u32 v[64:65], null, v50, s2, 0
	v_mul_lo_u32 v8, v50, s4
	v_add3_u32 v65, v65, v8, v2
	s_delay_alu instid0(VALU_DEP_3) | instskip(NEXT) | instid1(VALU_DEP_2)
	v_sub_co_u32 v8, vcc_lo, v52, v64
	v_sub_co_ci_u32_e32 v9, vcc_lo, v53, v65, vcc_lo
	s_delay_alu instid0(VALU_DEP_1) | instskip(SKIP_1) | instid1(VALU_DEP_1)
	v_cmp_lt_i64_e32 vcc_lo, v[50:51], v[8:9]
	v_cndmask_b32_e32 v8, v8, v50, vcc_lo
	v_max_i32_e32 v130, 0, v8
	v_cmp_lt_i32_e32 vcc_lo, 0, v8
	s_delay_alu instid0(VALU_DEP_2) | instskip(SKIP_1) | instid1(VALU_DEP_1)
	v_add_nc_u32_e32 v2, 31, v130
	s_and_b32 s2, s34, vcc_lo
	v_lshrrev_b32_e32 v2, 1, v2
	s_delay_alu instid0(VALU_DEP_1) | instskip(NEXT) | instid1(VALU_DEP_1)
	v_dual_mov_b32 v2, 0 :: v_dual_and_b32 v9, 0x3ffffff0, v2
	v_max_i32_e32 v54, s28, v9
	s_and_saveexec_b32 s16, s2
	s_cbranch_execz .LBB2_1453
; %bb.304:                              ;   in Loop: Header=BB2_303 Depth=2
	v_mov_b32_e32 v131, 0
	s_mov_b32 s24, 1
	s_mov_b32 s13, -1
.LBB2_305:                              ;   Parent Loop BB2_51 Depth=1
                                        ;     Parent Loop BB2_303 Depth=2
                                        ; =>    This Loop Header: Depth=3
                                        ;         Child Loop BB2_314 Depth 4
                                        ;         Child Loop BB2_344 Depth 4
	;; [unrolled: 1-line block ×9, first 2 shown]
	s_and_saveexec_b32 s2, s0
	s_cbranch_execz .LBB2_308
; %bb.306:                              ;   in Loop: Header=BB2_305 Depth=3
	s_cbranch_execz .LBB2_307
; %bb.5002:
	s_getpc_b64 s[46:47]
.Lpost_getpc58:
	s_add_u32 s46, s46, (.LBB2_4419-.Lpost_getpc58)&4294967295
	s_addc_u32 s47, s47, (.LBB2_4419-.Lpost_getpc58)>>32
	s_setpc_b64 s[46:47]
.LBB2_307:                              ;   in Loop: Header=BB2_305 Depth=3
	ds_load_b64 v[8:9], v0
	s_waitcnt lgkmcnt(0)
	v_add_co_u32 v2, vcc_lo, v8, v128
	v_add_co_ci_u32_e32 v8, vcc_lo, v9, v129, vcc_lo
	v_ashrrev_i32_e32 v9, 31, v131
	s_delay_alu instid0(VALU_DEP_3) | instskip(NEXT) | instid1(VALU_DEP_3)
	v_add_co_u32 v2, vcc_lo, v2, v64
	v_add_co_ci_u32_e32 v10, vcc_lo, v8, v65, vcc_lo
	s_delay_alu instid0(VALU_DEP_2) | instskip(NEXT) | instid1(VALU_DEP_2)
	v_add_co_u32 v8, vcc_lo, v2, v131
	v_add_co_ci_u32_e32 v9, vcc_lo, v10, v9, vcc_lo
	v_mov_b32_e32 v2, v3
	ds_store_b64 v0, v[8:9]
	ds_store_b64 v0, v[2:3]
.LBB2_308:                              ;   in Loop: Header=BB2_305 Depth=3
	s_or_b32 exec_lo, exec_lo, s2
	v_and_b32_e32 v2, 12, v30
	s_mov_b32 s38, -1
	s_mov_b32 s2, exec_lo
	s_delay_alu instid0(VALU_DEP_1)
	v_cmpx_ne_u32_e32 0, v2
	v_writelane_b32 v42, s13, 10
	v_writelane_b32 v42, s24, 11
	s_cbranch_execz .LBB2_322
; %bb.309:                              ;   in Loop: Header=BB2_305 Depth=3
	v_and_b32_e32 v2, 8, v30
	s_mov_b32 s4, s37
	s_mov_b32 s13, s29
	s_delay_alu instid0(VALU_DEP_1) | instskip(SKIP_3) | instid1(VALU_DEP_1)
	v_add_co_u32 v10, vcc_lo, v34, v2
	v_add_co_ci_u32_e32 v11, vcc_lo, 0, v35, vcc_lo
	v_add_co_u32 v8, vcc_lo, v24, 2
	v_add_co_ci_u32_e32 v9, vcc_lo, 0, v25, vcc_lo
	v_cmp_lt_u64_e32 vcc_lo, v[10:11], v[8:9]
	v_mov_b32_e32 v10, 1
	s_and_saveexec_b32 s24, vcc_lo
	s_cbranch_execz .LBB2_321
; %bb.310:                              ;   in Loop: Header=BB2_305 Depth=3
	v_mov_b32_e32 v10, 0
	s_mov_b32 s29, 0
                                        ; implicit-def: $sgpr37
	s_branch .LBB2_314
.LBB2_311:                              ;   in Loop: Header=BB2_314 Depth=4
	s_or_b32 exec_lo, exec_lo, s41
	v_mov_b32_e32 v11, 0
	s_or_not1_b32 s40, s40, exec_lo
.LBB2_312:                              ;   in Loop: Header=BB2_314 Depth=4
	s_or_b32 exec_lo, exec_lo, s39
	s_delay_alu instid0(VALU_DEP_1) | instskip(SKIP_2) | instid1(SALU_CYCLE_1)
	v_mov_b32_e32 v10, v11
	s_and_not1_b32 vcc_lo, s37, exec_lo
	s_and_b32 s37, s40, exec_lo
	s_or_b32 s37, vcc_lo, s37
.LBB2_313:                              ;   in Loop: Header=BB2_314 Depth=4
	s_or_b32 exec_lo, exec_lo, s38
	s_waitcnt vmcnt(0) lgkmcnt(0)
	v_add_co_u32 v11, vcc_lo, v34, v2
	v_add_co_ci_u32_e32 v12, vcc_lo, 0, v35, vcc_lo
	s_xor_b32 s38, s37, -1
	s_delay_alu instid0(VALU_DEP_1) | instskip(SKIP_1) | instid1(SALU_CYCLE_1)
	v_cmp_ge_u64_e32 vcc_lo, v[11:12], v[8:9]
	s_or_b32 vcc_lo, s38, vcc_lo
	s_and_b32 vcc_lo, exec_lo, vcc_lo
	s_delay_alu instid0(SALU_CYCLE_1) | instskip(NEXT) | instid1(SALU_CYCLE_1)
	s_or_b32 s29, vcc_lo, s29
	s_and_not1_b32 exec_lo, exec_lo, s29
	s_cbranch_execz .LBB2_320
.LBB2_314:                              ;   Parent Loop BB2_51 Depth=1
                                        ;     Parent Loop BB2_303 Depth=2
                                        ;       Parent Loop BB2_305 Depth=3
                                        ; =>      This Inner Loop Header: Depth=4
	s_sleep 1
	flat_load_b64 v[34:35], v[22:23] glc
	v_and_b32_e32 v11, 64, v30
	s_and_not1_b32 s37, s37, exec_lo
	s_mov_b32 s38, exec_lo
	s_delay_alu instid0(VALU_DEP_1)
	v_cmpx_eq_u32_e32 0, v11
	s_cbranch_execz .LBB2_313
; %bb.315:                              ;   in Loop: Header=BB2_314 Depth=4
	v_add_nc_u32_e32 v11, 1, v10
	s_mov_b32 s40, -1
	s_mov_b32 s39, exec_lo
	v_cmpx_lt_i32_e32 0x270e, v10
	s_cbranch_execz .LBB2_312
; %bb.316:                              ;   in Loop: Header=BB2_314 Depth=4
	s_cbranch_execz .LBB2_317
; %bb.5004:
	s_getpc_b64 s[46:47]
.Lpost_getpc59:
	s_add_u32 s46, s46, (.LBB2_4450-.Lpost_getpc59)&4294967295
	s_addc_u32 s47, s47, (.LBB2_4450-.Lpost_getpc59)>>32
	s_setpc_b64 s[46:47]
.LBB2_317:                              ;   in Loop: Header=BB2_314 Depth=4
	ds_load_b64 v[10:11], v0
	s_mov_b32 s41, exec_lo
	s_waitcnt vmcnt(0) lgkmcnt(0)
	s_waitcnt_vscnt null, 0x0
	flat_load_b32 v10, v[10:11] glc
	s_waitcnt vmcnt(0) lgkmcnt(0)
	buffer_gl1_inv
	buffer_gl0_inv
	v_cmpx_ne_u32_e32 0, v10
	s_cbranch_execz .LBB2_311
; %bb.318:                              ;   in Loop: Header=BB2_314 Depth=4
	ds_store_b32 v0, v10
	s_cbranch_execz .LBB2_319
; %bb.5006:
	s_getpc_b64 s[46:47]
.Lpost_getpc60:
	s_add_u32 s46, s46, (.LBB2_4500-.Lpost_getpc60)&4294967295
	s_addc_u32 s47, s47, (.LBB2_4500-.Lpost_getpc60)>>32
	s_setpc_b64 s[46:47]
.LBB2_319:                              ;   in Loop: Header=BB2_314 Depth=4
	v_or_b32_e32 v30, 64, v30
	s_xor_b32 s40, exec_lo, -1
	s_branch .LBB2_311
.LBB2_320:                              ;   in Loop: Header=BB2_305 Depth=3
	s_or_b32 exec_lo, exec_lo, s29
	v_and_b32_e32 v10, 12, v30
.LBB2_321:                              ;   in Loop: Header=BB2_305 Depth=3
	s_or_b32 exec_lo, exec_lo, s24
	s_delay_alu instid0(VALU_DEP_1)
	v_cmp_eq_u32_e32 vcc_lo, 0, v10
	s_mov_b32 s29, s13
	s_mov_b32 s37, s4
	;;#ASMSTART
	s_wakeup
	;;#ASMEND
	s_or_not1_b32 s38, vcc_lo, exec_lo
.LBB2_322:                              ;   in Loop: Header=BB2_305 Depth=3
	s_or_b32 exec_lo, exec_lo, s2
	v_sub_nc_u32_e32 v2, v130, v131
	s_xor_b32 s4, s38, -1
	s_delay_alu instid0(VALU_DEP_1)
	v_min_i32_e32 v54, v54, v2
	s_and_saveexec_b32 s2, s4
	s_cbranch_execz .LBB2_335
; %bb.323:                              ;   in Loop: Header=BB2_305 Depth=3
	v_and_b32_e32 v2, 0x108, v30
	s_mov_b32 s4, s37
	s_mov_b32 s24, s29
	s_delay_alu instid0(VALU_DEP_1) | instskip(SKIP_2) | instid1(SALU_CYCLE_1)
	v_cmp_ne_u32_e32 vcc_lo, 0x108, v2
	v_and_b32_e32 v2, 7, v24
	s_and_saveexec_b32 s13, vcc_lo
	s_xor_b32 s13, exec_lo, s13
	s_delay_alu instid0(SALU_CYCLE_1)
	s_and_not1_saveexec_b32 s13, s13
	s_cbranch_execz .LBB2_325
; %bb.324:                              ;   in Loop: Header=BB2_305 Depth=3
	v_mad_u64_u32 v[8:9], null, v2, 24, v[6:7]
	v_ashrrev_i32_e32 v55, 31, v54
	flat_store_b64 v[8:9], v[54:55] offset:8
.LBB2_325:                              ;   in Loop: Header=BB2_305 Depth=3
	s_or_b32 exec_lo, exec_lo, s13
	v_and_b32_e32 v8, 0x100, v30
	s_mov_b32 s13, -1
	s_delay_alu instid0(VALU_DEP_1)
	v_cmp_ne_u32_e32 vcc_lo, 0, v8
                                        ; implicit-def: $vgpr8_vgpr9
	s_and_saveexec_b32 s29, vcc_lo
	s_cbranch_execnz .LBB2_328
; %bb.326:                              ;   in Loop: Header=BB2_305 Depth=3
	s_or_b32 exec_lo, exec_lo, s29
	s_and_saveexec_b32 s29, s13
	s_cbranch_execnz .LBB2_331
.LBB2_327:                              ;   in Loop: Header=BB2_305 Depth=3
	s_or_b32 exec_lo, exec_lo, s29
	s_cbranch_execz .LBB2_332
; %bb.5008:
	s_getpc_b64 s[46:47]
.Lpost_getpc61:
	s_add_u32 s46, s46, (.LBB2_4446-.Lpost_getpc61)&4294967295
	s_addc_u32 s47, s47, (.LBB2_4446-.Lpost_getpc61)>>32
	s_setpc_b64 s[46:47]
.LBB2_328:                              ;   in Loop: Header=BB2_305 Depth=3
	v_mad_u64_u32 v[10:11], null, v2, 24, v[6:7]
	s_delay_alu instid0(VALU_DEP_1) | instskip(NEXT) | instid1(VALU_DEP_1)
	v_mov_b32_e32 v8, v11
	v_mad_u64_u32 v[11:12], null, v3, 24, v[8:9]
	flat_load_b32 v8, v[10:11]
	s_waitcnt vmcnt(0) lgkmcnt(0)
	v_cmp_ne_u32_e32 vcc_lo, 1, v8
	v_cmp_eq_u32_e64 s13, 1, v8
                                        ; implicit-def: $vgpr8_vgpr9
	s_delay_alu instid0(VALU_DEP_1)
	s_and_saveexec_b32 s37, s13
	s_cbranch_execz .LBB2_330
; %bb.329:                              ;   in Loop: Header=BB2_305 Depth=3
	flat_load_b32 v8, v[10:11] offset:4 glc
	s_waitcnt vmcnt(0) lgkmcnt(0)
	v_ashrrev_i32_e32 v9, 31, v8
.LBB2_330:                              ;   in Loop: Header=BB2_305 Depth=3
	s_or_b32 exec_lo, exec_lo, s37
	s_delay_alu instid0(SALU_CYCLE_1)
	s_or_not1_b32 s13, vcc_lo, exec_lo
	s_or_b32 exec_lo, exec_lo, s29
	s_and_saveexec_b32 s29, s13
	s_cbranch_execz .LBB2_327
.LBB2_331:                              ;   in Loop: Header=BB2_305 Depth=3
	v_mul_lo_u32 v10, v3, v80
	v_mul_lo_u32 v11, v2, v82
	v_mad_u64_u32 v[8:9], null, v2, v80, 0
	s_delay_alu instid0(VALU_DEP_1)
	v_add3_u32 v9, v9, v11, v10
	s_or_b32 exec_lo, exec_lo, s29
	s_cbranch_execz .LBB2_332
; %bb.5010:
	s_getpc_b64 s[46:47]
.Lpost_getpc62:
	s_add_u32 s46, s46, (.LBB2_4446-.Lpost_getpc62)&4294967295
	s_addc_u32 s47, s47, (.LBB2_4446-.Lpost_getpc62)>>32
	s_setpc_b64 s[46:47]
.LBB2_332:                              ;   in Loop: Header=BB2_305 Depth=3
	s_delay_alu instid0(VALU_DEP_2)
	v_add_co_u32 v8, vcc_lo, v26, v8
	v_and_b32_e32 v2, 0x2000, v30
	v_add_co_ci_u32_e32 v9, vcc_lo, v27, v9, vcc_lo
	s_mov_b32 s13, exec_lo
	ds_store_b64 v0, v[8:9]
	v_cmpx_ne_u32_e32 0, v2
	s_cbranch_execz .LBB2_334
; %bb.333:                              ;   in Loop: Header=BB2_305 Depth=3
	ds_load_b64 v[8:9], v0 offset:584
	s_waitcnt lgkmcnt(0)
	v_add_co_u32 v8, vcc_lo, v8, 1
	v_add_co_ci_u32_e32 v9, vcc_lo, 0, v9, vcc_lo
	ds_store_b64 v0, v[8:9] offset:584
.LBB2_334:                              ;   in Loop: Header=BB2_305 Depth=3
	s_or_b32 exec_lo, exec_lo, s13
	v_add_co_u32 v24, vcc_lo, v24, 2
	v_add_co_ci_u32_e32 v25, vcc_lo, 0, v25, vcc_lo
	s_mov_b32 s29, s24
	s_mov_b32 s37, s4
.LBB2_335:                              ;   in Loop: Header=BB2_305 Depth=3
	s_or_b32 exec_lo, exec_lo, s2
	s_and_saveexec_b32 s2, s37
	s_cbranch_execz .LBB2_357
; %bb.336:                              ;   in Loop: Header=BB2_305 Depth=3
	s_mov_b32 s4, s29
	s_mov_b32 s13, s3
	s_and_saveexec_b32 s24, s3
	s_delay_alu instid0(SALU_CYCLE_1)
	s_xor_b32 s3, exec_lo, s24
	s_cbranch_execz .LBB2_354
; %bb.337:                              ;   in Loop: Header=BB2_305 Depth=3
	s_and_saveexec_b32 s24, s1
	s_cbranch_execz .LBB2_353
; %bb.338:                              ;   in Loop: Header=BB2_305 Depth=3
	s_mov_b32 s38, exec_lo
	s_mov_b32 s29, exec_lo
	v_mbcnt_lo_u32_b32 v2, s38, 0
	s_waitcnt lgkmcnt(0)
	s_waitcnt_vscnt null, 0x0
	buffer_gl1_inv
	buffer_gl0_inv
	v_cmpx_eq_u32_e32 0, v2
	s_cbranch_execz .LBB2_340
; %bb.339:                              ;   in Loop: Header=BB2_305 Depth=3
	s_bcnt1_i32_b32 vcc_lo, s38
	s_delay_alu instid0(SALU_CYCLE_1)
	v_mov_b32_e32 v2, vcc_lo
	ds_add_u64 v0, v[2:3]
	s_cbranch_execz .LBB2_340
; %bb.5012:
	s_getpc_b64 s[46:47]
.Lpost_getpc63:
	s_add_u32 s46, s46, (.LBB2_4556-.Lpost_getpc63)&4294967295
	s_addc_u32 s47, s47, (.LBB2_4556-.Lpost_getpc63)>>32
	s_setpc_b64 s[46:47]
.LBB2_340:                              ;   in Loop: Header=BB2_305 Depth=3
	s_or_b32 exec_lo, exec_lo, s29
	s_cbranch_execz .LBB2_341
; %bb.5014:
	s_getpc_b64 s[46:47]
.Lpost_getpc64:
	s_add_u32 s46, s46, (.LBB2_4522-.Lpost_getpc64)&4294967295
	s_addc_u32 s47, s47, (.LBB2_4522-.Lpost_getpc64)>>32
	s_setpc_b64 s[46:47]
.LBB2_341:                              ;   in Loop: Header=BB2_305 Depth=3
	ds_load_b64 v[8:9], v0
	v_add_co_u32 v32, vcc_lo, v32, v83
	v_add_co_ci_u32_e32 v33, vcc_lo, 0, v33, vcc_lo
	s_mov_b32 s29, exec_lo
	s_waitcnt lgkmcnt(0)
	s_delay_alu instid0(VALU_DEP_1)
	v_cmpx_lt_u64_e64 v[8:9], v[32:33]
	s_cbranch_execz .LBB2_352
; %bb.342:                              ;   in Loop: Header=BB2_305 Depth=3
	s_mov_b32 s38, 0
	s_mov_b32 s41, 0
                                        ; implicit-def: $sgpr39
                                        ; implicit-def: $sgpr40
	s_branch .LBB2_344
.LBB2_343:                              ;   in Loop: Header=BB2_344 Depth=4
	s_or_b32 exec_lo, exec_lo, s43
	s_delay_alu instid0(SALU_CYCLE_1) | instskip(NEXT) | instid1(SALU_CYCLE_1)
	s_and_b32 vcc_lo, exec_lo, vcc_lo
	s_or_b32 s38, vcc_lo, s38
	s_and_not1_b32 vcc_lo, s39, exec_lo
	s_and_b32 s39, s40, exec_lo
	s_delay_alu instid0(SALU_CYCLE_1)
	s_or_b32 s39, vcc_lo, s39
	s_and_not1_b32 exec_lo, exec_lo, s38
	s_cbranch_execz .LBB2_350
.LBB2_344:                              ;   Parent Loop BB2_51 Depth=1
                                        ;     Parent Loop BB2_303 Depth=2
                                        ;       Parent Loop BB2_305 Depth=3
                                        ; =>      This Inner Loop Header: Depth=4
	s_add_i32 s41, s41, 1
                                        ; implicit-def: $sgpr43
	s_delay_alu instid0(SALU_CYCLE_1) | instskip(SKIP_1) | instid1(SALU_CYCLE_1)
	s_cmpk_lg_i32 s41, 0x2710
	s_cselect_b32 s42, -1, 0
	s_and_b32 vcc_lo, exec_lo, s42
	s_cbranch_vccz .LBB2_348
.LBB2_345:                              ;   in Loop: Header=BB2_344 Depth=4
	s_and_not1_b32 s40, s40, exec_lo
	s_and_b32 s43, s43, exec_lo
	s_mov_b32 vcc_lo, -1
	s_or_b32 s40, s40, s43
	s_and_saveexec_b32 s43, s42
	s_cbranch_execz .LBB2_343
; %bb.346:                              ;   in Loop: Header=BB2_344 Depth=4
	s_sleep 1
	s_cbranch_execz .LBB2_347
; %bb.5016:
	s_getpc_b64 s[46:47]
.Lpost_getpc65:
	s_add_u32 s46, s46, (.LBB2_4602-.Lpost_getpc65)&4294967295
	s_addc_u32 s47, s47, (.LBB2_4602-.Lpost_getpc65)>>32
	s_setpc_b64 s[46:47]
.LBB2_347:                              ;   in Loop: Header=BB2_344 Depth=4
	ds_load_b64 v[8:9], v0
	s_and_not1_b32 s40, s40, exec_lo
	s_waitcnt lgkmcnt(0)
	v_cmp_ge_u64_e32 vcc_lo, v[8:9], v[32:33]
	s_or_not1_b32 vcc_lo, vcc_lo, exec_lo
	s_branch .LBB2_343
.LBB2_348:                              ;   in Loop: Header=BB2_344 Depth=4
	s_cbranch_execz .LBB2_349
; %bb.5018:
	s_getpc_b64 s[46:47]
.Lpost_getpc66:
	s_add_u32 s46, s46, (.LBB2_4614-.Lpost_getpc66)&4294967295
	s_addc_u32 s47, s47, (.LBB2_4614-.Lpost_getpc66)>>32
	s_setpc_b64 s[46:47]
.LBB2_349:                              ;   in Loop: Header=BB2_344 Depth=4
	ds_load_b64 v[8:9], v0
	s_and_not1_b32 s42, s42, exec_lo
	s_mov_b32 s41, 0
	s_mov_b32 s43, -1
	s_waitcnt lgkmcnt(0)
	flat_load_b32 v2, v[8:9] glc
	s_waitcnt vmcnt(0) lgkmcnt(0)
	buffer_gl1_inv
	buffer_gl0_inv
	v_cmp_eq_u32_e32 vcc_lo, 0, v2
	s_and_b32 vcc_lo, vcc_lo, exec_lo
	s_delay_alu instid0(SALU_CYCLE_1)
	s_or_b32 s42, s42, vcc_lo
	s_branch .LBB2_345
.LBB2_350:                              ;   in Loop: Header=BB2_305 Depth=3
	s_or_b32 exec_lo, exec_lo, s38
	s_and_saveexec_b32 vcc_lo, s39
	s_delay_alu instid0(SALU_CYCLE_1)
	s_xor_b32 vcc_lo, exec_lo, vcc_lo
	s_cbranch_execz .LBB2_352
; %bb.351:                              ;   in Loop: Header=BB2_305 Depth=3
	ds_store_b32 v0, v119
	s_cbranch_execz .LBB2_352
; %bb.5020:
	s_getpc_b64 s[46:47]
.Lpost_getpc67:
	s_add_u32 s46, s46, (.LBB2_4810-.Lpost_getpc67)&4294967295
	s_addc_u32 s47, s47, (.LBB2_4810-.Lpost_getpc67)>>32
	s_setpc_b64 s[46:47]
.LBB2_352:                              ;   in Loop: Header=BB2_305 Depth=3
	s_or_b32 exec_lo, exec_lo, s29
	;;#ASMSTART
	s_wakeup
	;;#ASMEND
.LBB2_353:                              ;   in Loop: Header=BB2_305 Depth=3
	s_or_b32 exec_lo, exec_lo, s24
.LBB2_354:                              ;   in Loop: Header=BB2_305 Depth=3
	s_and_not1_saveexec_b32 s3, s3
	s_cbranch_execz .LBB2_356
; %bb.355:                              ;   in Loop: Header=BB2_305 Depth=3
	s_waitcnt lgkmcnt(0)
	s_waitcnt_vscnt null, 0x0
	buffer_gl1_inv
	buffer_gl0_inv
	s_barrier
.LBB2_356:                              ;   in Loop: Header=BB2_305 Depth=3
	s_or_b32 exec_lo, exec_lo, s3
	s_mov_b32 s29, s4
	s_mov_b32 s3, s13
.LBB2_357:                              ;   in Loop: Header=BB2_305 Depth=3
	v_writelane_b32 v42, s14, 5
	v_writelane_b32 v42, s35, 8
	v_writelane_b32 v42, s34, 9
	v_writelane_b32 v42, s31, 7
	v_writelane_b32 v42, s30, 6
	s_or_b32 exec_lo, exec_lo, s2
	s_cbranch_execz .LBB2_358
; %bb.5022:
	s_getpc_b64 s[46:47]
.Lpost_getpc68:
	s_add_u32 s46, s46, (.LBB2_4425-.Lpost_getpc68)&4294967295
	s_addc_u32 s47, s47, (.LBB2_4425-.Lpost_getpc68)>>32
	s_setpc_b64 s[46:47]
.LBB2_358:                              ;   in Loop: Header=BB2_305 Depth=3
	ds_load_b32 v8, v0
	v_and_b32_e32 v2, 0x4000, v30
	s_mov_b32 s4, s3
	s_xor_b32 s3, s36, -1
	s_mov_b32 s2, s36
	s_delay_alu instid0(VALU_DEP_1) | instskip(SKIP_1) | instid1(SALU_CYCLE_1)
	v_cmp_ne_u32_e32 vcc_lo, 0, v2
	s_and_b32 s13, s3, vcc_lo
	s_and_saveexec_b32 s3, s13
	s_cbranch_execz .LBB2_380
; %bb.359:                              ;   in Loop: Header=BB2_305 Depth=3
	s_and_saveexec_b32 s13, s4
	s_delay_alu instid0(SALU_CYCLE_1)
	s_xor_b32 s13, exec_lo, s13
	s_cbranch_execz .LBB2_377
; %bb.360:                              ;   in Loop: Header=BB2_305 Depth=3
	s_and_saveexec_b32 s14, s1
	s_cbranch_execz .LBB2_376
; %bb.361:                              ;   in Loop: Header=BB2_305 Depth=3
	s_mov_b32 s30, exec_lo
	s_mov_b32 s24, exec_lo
	v_mbcnt_lo_u32_b32 v2, s30, 0
	s_waitcnt lgkmcnt(0)
	s_waitcnt_vscnt null, 0x0
	buffer_gl1_inv
	buffer_gl0_inv
	v_cmpx_eq_u32_e32 0, v2
	s_cbranch_execz .LBB2_363
; %bb.362:                              ;   in Loop: Header=BB2_305 Depth=3
	s_bcnt1_i32_b32 vcc_lo, s30
	s_delay_alu instid0(SALU_CYCLE_1)
	v_mov_b32_e32 v2, vcc_lo
	ds_add_u64 v0, v[2:3]
	s_cbranch_execz .LBB2_363
; %bb.5024:
	s_getpc_b64 s[46:47]
.Lpost_getpc69:
	s_add_u32 s46, s46, (.LBB2_4588-.Lpost_getpc69)&4294967295
	s_addc_u32 s47, s47, (.LBB2_4588-.Lpost_getpc69)>>32
	s_setpc_b64 s[46:47]
.LBB2_363:                              ;   in Loop: Header=BB2_305 Depth=3
	s_or_b32 exec_lo, exec_lo, s24
	s_cbranch_execz .LBB2_364
; %bb.5026:
	s_getpc_b64 s[46:47]
.Lpost_getpc70:
	s_add_u32 s46, s46, (.LBB2_4578-.Lpost_getpc70)&4294967295
	s_addc_u32 s47, s47, (.LBB2_4578-.Lpost_getpc70)>>32
	s_setpc_b64 s[46:47]
.LBB2_364:                              ;   in Loop: Header=BB2_305 Depth=3
	ds_load_b64 v[9:10], v0
	v_add_co_u32 v32, vcc_lo, v32, v83
	v_add_co_ci_u32_e32 v33, vcc_lo, 0, v33, vcc_lo
	s_mov_b32 s24, exec_lo
	s_waitcnt lgkmcnt(0)
	s_delay_alu instid0(VALU_DEP_1)
	v_cmpx_lt_u64_e64 v[9:10], v[32:33]
	s_cbranch_execz .LBB2_375
; %bb.365:                              ;   in Loop: Header=BB2_305 Depth=3
	s_mov_b32 s30, 0
	s_mov_b32 s35, 0
                                        ; implicit-def: $sgpr31
                                        ; implicit-def: $sgpr34
	s_branch .LBB2_367
.LBB2_366:                              ;   in Loop: Header=BB2_367 Depth=4
	s_or_b32 exec_lo, exec_lo, s38
	s_delay_alu instid0(SALU_CYCLE_1) | instskip(NEXT) | instid1(SALU_CYCLE_1)
	s_and_b32 vcc_lo, exec_lo, vcc_lo
	s_or_b32 s30, vcc_lo, s30
	s_and_not1_b32 vcc_lo, s31, exec_lo
	s_and_b32 s31, s34, exec_lo
	s_delay_alu instid0(SALU_CYCLE_1)
	s_or_b32 s31, vcc_lo, s31
	s_and_not1_b32 exec_lo, exec_lo, s30
	s_cbranch_execz .LBB2_373
.LBB2_367:                              ;   Parent Loop BB2_51 Depth=1
                                        ;     Parent Loop BB2_303 Depth=2
                                        ;       Parent Loop BB2_305 Depth=3
                                        ; =>      This Inner Loop Header: Depth=4
	s_add_i32 s35, s35, 1
                                        ; implicit-def: $sgpr38
	s_delay_alu instid0(SALU_CYCLE_1) | instskip(SKIP_1) | instid1(SALU_CYCLE_1)
	s_cmpk_lg_i32 s35, 0x2710
	s_cselect_b32 s36, -1, 0
	s_and_b32 vcc_lo, exec_lo, s36
	s_cbranch_vccz .LBB2_371
.LBB2_368:                              ;   in Loop: Header=BB2_367 Depth=4
	s_and_not1_b32 s34, s34, exec_lo
	s_and_b32 s38, s38, exec_lo
	s_mov_b32 vcc_lo, -1
	s_or_b32 s34, s34, s38
	s_and_saveexec_b32 s38, s36
	s_cbranch_execz .LBB2_366
; %bb.369:                              ;   in Loop: Header=BB2_367 Depth=4
	s_sleep 1
	s_cbranch_execz .LBB2_370
; %bb.5028:
	s_getpc_b64 s[46:47]
.Lpost_getpc71:
	s_add_u32 s46, s46, (.LBB2_4654-.Lpost_getpc71)&4294967295
	s_addc_u32 s47, s47, (.LBB2_4654-.Lpost_getpc71)>>32
	s_setpc_b64 s[46:47]
.LBB2_370:                              ;   in Loop: Header=BB2_367 Depth=4
	ds_load_b64 v[9:10], v0
	s_and_not1_b32 s34, s34, exec_lo
	s_waitcnt lgkmcnt(0)
	v_cmp_ge_u64_e32 vcc_lo, v[9:10], v[32:33]
	s_or_not1_b32 vcc_lo, vcc_lo, exec_lo
	s_branch .LBB2_366
.LBB2_371:                              ;   in Loop: Header=BB2_367 Depth=4
	s_cbranch_execz .LBB2_372
; %bb.5030:
	s_getpc_b64 s[46:47]
.Lpost_getpc72:
	s_add_u32 s46, s46, (.LBB2_4668-.Lpost_getpc72)&4294967295
	s_addc_u32 s47, s47, (.LBB2_4668-.Lpost_getpc72)>>32
	s_setpc_b64 s[46:47]
.LBB2_372:                              ;   in Loop: Header=BB2_367 Depth=4
	ds_load_b64 v[9:10], v0
	s_and_not1_b32 s36, s36, exec_lo
	s_mov_b32 s35, 0
	s_mov_b32 s38, -1
	s_waitcnt lgkmcnt(0)
	flat_load_b32 v2, v[9:10] glc
	s_waitcnt vmcnt(0) lgkmcnt(0)
	buffer_gl1_inv
	buffer_gl0_inv
	v_cmp_eq_u32_e32 vcc_lo, 0, v2
	s_and_b32 vcc_lo, vcc_lo, exec_lo
	s_delay_alu instid0(SALU_CYCLE_1)
	s_or_b32 s36, s36, vcc_lo
	s_branch .LBB2_368
.LBB2_373:                              ;   in Loop: Header=BB2_305 Depth=3
	s_or_b32 exec_lo, exec_lo, s30
	s_and_saveexec_b32 vcc_lo, s31
	s_delay_alu instid0(SALU_CYCLE_1)
	s_xor_b32 vcc_lo, exec_lo, vcc_lo
	s_cbranch_execz .LBB2_375
; %bb.374:                              ;   in Loop: Header=BB2_305 Depth=3
	ds_store_b32 v0, v119
	s_cbranch_execz .LBB2_375
; %bb.5032:
	s_getpc_b64 s[46:47]
.Lpost_getpc73:
	s_add_u32 s46, s46, (.LBB2_4846-.Lpost_getpc73)&4294967295
	s_addc_u32 s47, s47, (.LBB2_4846-.Lpost_getpc73)>>32
	s_setpc_b64 s[46:47]
.LBB2_375:                              ;   in Loop: Header=BB2_305 Depth=3
	s_or_b32 exec_lo, exec_lo, s24
	;;#ASMSTART
	s_wakeup
	;;#ASMEND
.LBB2_376:                              ;   in Loop: Header=BB2_305 Depth=3
	s_or_b32 exec_lo, exec_lo, s14
.LBB2_377:                              ;   in Loop: Header=BB2_305 Depth=3
	s_and_not1_saveexec_b32 s13, s13
	s_cbranch_execz .LBB2_379
; %bb.378:                              ;   in Loop: Header=BB2_305 Depth=3
	s_waitcnt lgkmcnt(0)
	s_waitcnt_vscnt null, 0x0
	buffer_gl1_inv
	buffer_gl0_inv
	s_barrier
.LBB2_379:                              ;   in Loop: Header=BB2_305 Depth=3
	s_or_b32 exec_lo, exec_lo, s13
.LBB2_380:                              ;   in Loop: Header=BB2_305 Depth=3
	s_delay_alu instid0(SALU_CYCLE_1)
	s_or_b32 exec_lo, exec_lo, s3
	s_cbranch_execz .LBB2_381
; %bb.5034:
	s_getpc_b64 s[46:47]
.Lpost_getpc74:
	s_add_u32 s46, s46, (.LBB2_4468-.Lpost_getpc74)&4294967295
	s_addc_u32 s47, s47, (.LBB2_4468-.Lpost_getpc74)>>32
	s_setpc_b64 s[46:47]
.LBB2_381:                              ;   in Loop: Header=BB2_305 Depth=3
	ds_load_b64 v[9:10], v0
	v_mov_b32_e32 v55, 0
	s_waitcnt lgkmcnt(0)
	v_cmp_eq_u64_e32 vcc_lo, 0, v[9:10]
	s_or_b32 s3, vcc_lo, vcc_lo
	s_delay_alu instid0(SALU_CYCLE_1)
	s_and_b32 vcc_lo, exec_lo, s3
	s_cbranch_vccnz .LBB2_1399
; %bb.382:                              ;   in Loop: Header=BB2_305 Depth=3
	s_mov_b32 s3, -1
	s_and_saveexec_b32 s13, s12
	s_cbranch_execz .LBB2_384
; %bb.383:                              ;   in Loop: Header=BB2_305 Depth=3
	ds_load_b32 v2, v0 offset:720
	s_waitcnt lgkmcnt(0)
	v_and_b32_e32 v2, 15, v2
	s_delay_alu instid0(VALU_DEP_1)
	v_cmp_eq_u32_e32 vcc_lo, 0, v2
	s_or_not1_b32 s3, vcc_lo, exec_lo
.LBB2_384:                              ;   in Loop: Header=BB2_305 Depth=3
	s_or_b32 exec_lo, exec_lo, s13
	s_and_saveexec_b32 s13, s6
	s_cbranch_execz .LBB2_386
; %bb.385:                              ;   in Loop: Header=BB2_305 Depth=3
	ds_load_b32 v2, v0 offset:784
	s_waitcnt lgkmcnt(0)
	v_and_b32_e32 v2, 15, v2
	s_delay_alu instid0(VALU_DEP_1) | instskip(SKIP_3) | instid1(SALU_CYCLE_1)
	v_cmp_eq_u32_e32 vcc_lo, 0, v2
	s_and_b32 s14, s3, vcc_lo
	s_and_not1_b32 s3, s3, exec_lo
	s_and_b32 s14, s14, exec_lo
	s_or_b32 s3, s3, s14
.LBB2_386:                              ;   in Loop: Header=BB2_305 Depth=3
	s_or_b32 exec_lo, exec_lo, s13
	v_cmp_eq_u32_e32 vcc_lo, 0, v8
	s_xor_b32 s3, s3, -1
	v_mov_b32_e32 v8, v84
	v_cndmask_b32_e64 v2, 0, 1, s3
	;;#ASMSTART
	;;#ASMEND
	v_dual_cndmask_b32 v55, 0, v54 :: v_dual_mov_b32 v14, 0
	s_delay_alu instid0(VALU_DEP_2) | instskip(SKIP_1) | instid1(VALU_DEP_2)
	v_cmp_ne_u32_e32 vcc_lo, 0, v2
	s_mov_b32 s3, -1
	v_dual_mov_b32 v66, v0 :: v_dual_mov_b32 v15, v55
	s_cbranch_vccnz .LBB2_1170
; %bb.387:                              ;   in Loop: Header=BB2_305 Depth=3
	v_ashrrev_i32_e32 v2, 31, v55
	v_sub_nc_u32_e32 v132, v55, v116
	s_mov_b32 s30, exec_lo
	s_delay_alu instid0(VALU_DEP_2) | instskip(NEXT) | instid1(VALU_DEP_1)
	v_lshrrev_b32_e32 v2, 23, v2
	v_add_nc_u32_e32 v8, v55, v2
	s_delay_alu instid0(VALU_DEP_1) | instskip(SKIP_1) | instid1(VALU_DEP_2)
	v_and_b32_e32 v2, 0xfffffe00, v8
	v_ashrrev_i32_e32 v8, 9, v8
	v_sub_nc_u32_e32 v133, v55, v2
	s_delay_alu instid0(VALU_DEP_1) | instskip(NEXT) | instid1(VALU_DEP_3)
	v_cmp_lt_i32_e32 vcc_lo, 15, v133
	v_add_co_ci_u32_e64 v134, s13, v8, v117, vcc_lo
	v_cmpx_lt_i32_e32 15, v132
	s_cbranch_execz .LBB2_776
; %bb.388:                              ;   in Loop: Header=BB2_305 Depth=3
	s_cbranch_execz .LBB2_389
; %bb.5036:
	s_getpc_b64 s[46:47]
.Lpost_getpc75:
	s_add_u32 s46, s46, (.LBB2_4618-.Lpost_getpc75)&4294967295
	s_addc_u32 s47, s47, (.LBB2_4618-.Lpost_getpc75)>>32
	s_setpc_b64 s[46:47]
.LBB2_389:                              ;   in Loop: Header=BB2_305 Depth=3
	ds_load_b128 v[8:11], v0
	ds_load_b64 v[12:13], v0
	s_mov_b32 s31, 0
	s_waitcnt lgkmcnt(1)
	v_add_co_u32 v66, s13, v8, v116
	s_delay_alu instid0(VALU_DEP_1) | instskip(SKIP_1) | instid1(VALU_DEP_1)
	v_add_co_ci_u32_e64 v67, s13, v9, v118, s13
	v_add_co_u32 v68, s13, v10, v116
	v_add_co_ci_u32_e64 v69, s13, v11, v118, s13
	s_waitcnt lgkmcnt(0)
	v_add_co_u32 v70, s13, v12, v116
	s_delay_alu instid0(VALU_DEP_1)
	v_add_co_ci_u32_e64 v71, s13, v13, v118, s13
	s_branch .LBB2_393
.LBB2_390:                              ;   in Loop: Header=BB2_393 Depth=4
	s_or_b32 exec_lo, exec_lo, s13
	s_delay_alu instid0(VALU_DEP_1) | instskip(NEXT) | instid1(VALU_DEP_2)
	v_lshrrev_b32_e32 v160, 20, v160
	v_min_i32_e32 v161, 15, v15
	v_cmp_gt_i32_e64 s13, 16, v15
	v_lshrrev_b32_e32 v11, 24, v11
	s_delay_alu instid0(VALU_DEP_3) | instskip(NEXT) | instid1(VALU_DEP_3)
	v_lshlrev_b32_e32 v161, 3, v161
	v_cndmask_b32_e64 v160, 7, v160, s13
	s_delay_alu instid0(VALU_DEP_3) | instskip(NEXT) | instid1(VALU_DEP_3)
	v_and_b32_e32 v11, 0x80, v11
	v_and_b32_e32 v161, 0xf8, v161
	s_delay_alu instid0(VALU_DEP_3) | instskip(SKIP_1) | instid1(VALU_DEP_2)
	v_and_b32_e32 v162, 7, v160
	v_or_b32_e32 v15, v15, v160
	v_or3_b32 v11, v11, v161, v162
	s_delay_alu instid0(VALU_DEP_2) | instskip(NEXT) | instid1(VALU_DEP_2)
	v_cmp_ne_u32_e64 s13, 0, v15
	v_lshlrev_b32_e32 v11, 8, v11
	s_delay_alu instid0(VALU_DEP_1)
	v_cndmask_b32_e64 v15, 0, v11, s13
.LBB2_391:                              ;   in Loop: Header=BB2_393 Depth=4
	s_or_b32 exec_lo, exec_lo, s24
.LBB2_392:                              ;   in Loop: Header=BB2_393 Depth=4
	s_delay_alu instid0(SALU_CYCLE_1)
	s_or_b32 exec_lo, exec_lo, s3
	v_or_b32_e32 v9, v9, v147
	v_and_b32_e32 v11, 0xff, v145
	v_lshlrev_b32_e32 v144, 8, v144
	v_and_b32_e32 v145, 0xff, v149
	v_lshlrev_b32_e32 v147, 8, v148
	v_or_b32_e32 v15, v15, v151
	v_and_b32_e32 v12, 0xff, v12
	v_lshlrev_b32_e32 v8, 24, v8
	v_lshlrev_b32_e32 v9, 16, v9
	;; [unrolled: 1-line block ×3, first 2 shown]
	v_perm_b32 v135, v144, v135, 0xc0c0500
	v_lshlrev_b32_e32 v10, 24, v10
	v_lshlrev_b32_e32 v144, 16, v145
	v_perm_b32 v13, v147, v13, 0xc0c0500
	v_and_b32_e32 v14, 0xff, v14
	v_lshlrev_b32_e32 v15, 16, v15
	v_add_co_u32 v66, s13, v66, v100
	v_or3_b32 v9, v146, v12, v9
	v_or3_b32 v8, v8, v11, v135
	;; [unrolled: 1-line block ×4, first 2 shown]
	v_sub_nc_u32_e32 v132, v132, v86
	v_add_co_ci_u32_e64 v67, s13, v67, v101, s13
	v_add_co_u32 v68, s13, v68, v100
	s_delay_alu instid0(VALU_DEP_1) | instskip(SKIP_3) | instid1(VALU_DEP_1)
	v_add_co_ci_u32_e64 v69, s13, v69, v101, s13
	global_store_b128 v[70:71], v[8:11], off glc slc dlc
	v_cmp_gt_i32_e64 s13, 16, v132
	v_add_co_u32 v70, s14, v70, v100
	v_add_co_ci_u32_e64 v71, s14, v71, v101, s14
	v_sub_nc_u32_e32 v134, v134, v83
	s_delay_alu instid0(VALU_DEP_4) | instskip(NEXT) | instid1(SALU_CYCLE_1)
	s_or_b32 s31, s13, s31
	s_and_not1_b32 exec_lo, exec_lo, s31
	s_cbranch_execz .LBB2_775
.LBB2_393:                              ;   Parent Loop BB2_51 Depth=1
                                        ;     Parent Loop BB2_303 Depth=2
                                        ;       Parent Loop BB2_305 Depth=3
                                        ; =>      This Inner Loop Header: Depth=4
	global_load_b128 v[12:15], v[66:67], off slc dlc
	global_load_b128 v[8:11], v[68:69], off slc dlc
	s_mov_b32 s3, 0
	s_mov_b32 s24, exec_lo
                                        ; implicit-def: $sgpr14
	s_waitcnt vmcnt(1)
	v_and_b32_e32 v144, 0xff, v12
	s_delay_alu instid0(VALU_DEP_1)
	v_cmpx_lt_i16_e64 0x7f, v144
	s_xor_b32 s24, exec_lo, s24
	s_cbranch_execnz .LBB2_647
; %bb.394:                              ;   in Loop: Header=BB2_393 Depth=4
	s_or_saveexec_b32 s24, s24
	v_mov_b32_e32 v135, s14
	s_xor_b32 exec_lo, exec_lo, s24
	s_cbranch_execnz .LBB2_650
.LBB2_395:                              ;   in Loop: Header=BB2_393 Depth=4
	s_or_b32 exec_lo, exec_lo, s24
	s_and_saveexec_b32 s14, s3
	s_cbranch_execz .LBB2_397
.LBB2_396:                              ;   in Loop: Header=BB2_393 Depth=4
	v_and_b32_e32 v135, 7, v12
	v_bfe_u32 v146, v12, 3, 4
	v_lshlrev_b32_e32 v147, 24, v12
	s_delay_alu instid0(VALU_DEP_3) | instskip(NEXT) | instid1(VALU_DEP_3)
	v_clz_i32_u32_e32 v144, v135
	v_cmp_eq_u32_e64 s13, 0, v146
	s_delay_alu instid0(VALU_DEP_2) | instskip(NEXT) | instid1(VALU_DEP_1)
	v_min_u32_e32 v144, 32, v144
	v_subrev_nc_u32_e32 v145, 28, v144
	v_sub_nc_u32_e32 v144, 29, v144
	s_delay_alu instid0(VALU_DEP_2) | instskip(NEXT) | instid1(VALU_DEP_2)
	v_lshlrev_b32_e32 v145, v145, v12
	v_cndmask_b32_e64 v144, v146, v144, s13
	s_delay_alu instid0(VALU_DEP_2) | instskip(NEXT) | instid1(VALU_DEP_2)
	v_and_b32_e32 v145, 7, v145
	v_lshl_add_u32 v144, v144, 23, 0x3b800000
	s_delay_alu instid0(VALU_DEP_2) | instskip(SKIP_1) | instid1(VALU_DEP_2)
	v_cndmask_b32_e64 v135, v135, v145, s13
	v_and_b32_e32 v145, 0x80000000, v147
	v_lshlrev_b32_e32 v135, 20, v135
	s_delay_alu instid0(VALU_DEP_1)
	v_or3_b32 v135, v145, v144, v135
.LBB2_397:                              ;   in Loop: Header=BB2_393 Depth=4
	s_or_b32 exec_lo, exec_lo, s14
	s_waitcnt vmcnt(0)
	v_and_b32_e32 v145, 0xff, v8
	s_mov_b32 s3, 0
	s_mov_b32 s24, exec_lo
                                        ; implicit-def: $sgpr14
	s_delay_alu instid0(VALU_DEP_1)
	v_cmpx_lt_i16_e64 0x7f, v145
	s_xor_b32 s24, exec_lo, s24
	s_cbranch_execnz .LBB2_651
; %bb.398:                              ;   in Loop: Header=BB2_393 Depth=4
	s_or_saveexec_b32 s24, s24
	v_mov_b32_e32 v144, s14
	s_xor_b32 exec_lo, exec_lo, s24
	s_cbranch_execnz .LBB2_654
.LBB2_399:                              ;   in Loop: Header=BB2_393 Depth=4
	s_or_b32 exec_lo, exec_lo, s24
	s_and_saveexec_b32 s14, s3
	s_cbranch_execz .LBB2_401
.LBB2_400:                              ;   in Loop: Header=BB2_393 Depth=4
	v_and_b32_e32 v144, 7, v8
	v_bfe_u32 v147, v8, 3, 4
	v_lshlrev_b32_e32 v148, 24, v8
	s_delay_alu instid0(VALU_DEP_3) | instskip(NEXT) | instid1(VALU_DEP_3)
	v_clz_i32_u32_e32 v145, v144
	v_cmp_eq_u32_e64 s13, 0, v147
	s_delay_alu instid0(VALU_DEP_2) | instskip(NEXT) | instid1(VALU_DEP_1)
	v_min_u32_e32 v145, 32, v145
	v_subrev_nc_u32_e32 v146, 28, v145
	v_sub_nc_u32_e32 v145, 29, v145
	s_delay_alu instid0(VALU_DEP_2) | instskip(NEXT) | instid1(VALU_DEP_2)
	v_lshlrev_b32_e32 v146, v146, v8
	v_cndmask_b32_e64 v145, v147, v145, s13
	s_delay_alu instid0(VALU_DEP_2) | instskip(NEXT) | instid1(VALU_DEP_2)
	v_and_b32_e32 v146, 7, v146
	v_lshl_add_u32 v145, v145, 23, 0x3b800000
	s_delay_alu instid0(VALU_DEP_2) | instskip(SKIP_1) | instid1(VALU_DEP_2)
	v_cndmask_b32_e64 v144, v144, v146, s13
	v_and_b32_e32 v146, 0x80000000, v148
	v_lshlrev_b32_e32 v144, 20, v144
	s_delay_alu instid0(VALU_DEP_1)
	v_or3_b32 v144, v146, v145, v144
.LBB2_401:                              ;   in Loop: Header=BB2_393 Depth=4
	s_or_b32 exec_lo, exec_lo, s14
	s_delay_alu instid0(VALU_DEP_1) | instskip(NEXT) | instid1(VALU_DEP_1)
	v_add_f32_e32 v144, v135, v144
	v_and_b32_e32 v135, 0x7f800000, v144
	s_delay_alu instid0(VALU_DEP_1) | instskip(SKIP_1) | instid1(VALU_DEP_2)
	v_cmp_ne_u32_e64 s13, 0x7f800000, v135
	v_mov_b32_e32 v135, 0x80
	s_and_saveexec_b32 s3, s13
	s_cbranch_execz .LBB2_409
; %bb.402:                              ;   in Loop: Header=BB2_393 Depth=4
	v_mov_b32_e32 v135, 0
	s_mov_b32 s24, exec_lo
	v_cmpx_ne_u32_e32 0, v144
	s_cbranch_execz .LBB2_408
; %bb.403:                              ;   in Loop: Header=BB2_393 Depth=4
	v_bfe_u32 v135, v144, 23, 8
	v_and_b32_e32 v145, 0x7fffff, v144
	s_delay_alu instid0(VALU_DEP_2) | instskip(SKIP_1) | instid1(VALU_DEP_3)
	v_sub_nc_u32_e32 v146, 0x78, v135
	v_cmp_gt_u32_e64 s13, 0x79, v135
	v_or_b32_e32 v147, 0x800000, v145
	s_delay_alu instid0(VALU_DEP_2) | instskip(SKIP_2) | instid1(VALU_DEP_2)
	v_cndmask_b32_e64 v146, 0, v146, s13
	v_cmp_eq_u32_e64 s13, 0, v135
	v_add_nc_u32_e32 v135, 0xffffff89, v135
	v_cndmask_b32_e64 v146, v146, 0x77, s13
	v_cndmask_b32_e64 v145, v147, v145, s13
	s_delay_alu instid0(VALU_DEP_3) | instskip(NEXT) | instid1(VALU_DEP_3)
	v_cndmask_b32_e64 v135, v135, 0xffffff8a, s13
	v_lshl_add_u32 v147, 0x100000, v146, -1
	s_delay_alu instid0(VALU_DEP_3) | instskip(SKIP_1) | instid1(VALU_DEP_4)
	v_lshrrev_b32_e32 v148, v146, v145
	v_lshlrev_b32_e64 v150, v146, 0x80000
	v_add_nc_u32_e32 v146, v146, v135
	s_delay_alu instid0(VALU_DEP_4) | instskip(NEXT) | instid1(VALU_DEP_4)
	v_and_b32_e32 v145, v147, v145
	v_bfe_u32 v149, v148, 20, 1
	s_delay_alu instid0(VALU_DEP_2) | instskip(NEXT) | instid1(VALU_DEP_2)
	v_cmp_eq_u32_e64 s14, v145, v150
	v_add_nc_u32_e32 v147, -1, v149
	s_delay_alu instid0(VALU_DEP_1) | instskip(SKIP_2) | instid1(VALU_DEP_2)
	v_cndmask_b32_e64 v145, 0, v147, s14
	v_lshrrev_b32_e32 v147, 23, v148
	s_mov_b32 s14, exec_lo
	v_add_nc_u32_e32 v145, v145, v148
	s_delay_alu instid0(VALU_DEP_2) | instskip(NEXT) | instid1(VALU_DEP_2)
	v_xor_b32_e32 v147, 1, v147
	v_and_b32_e32 v135, 0xfffff, v145
	s_delay_alu instid0(VALU_DEP_1) | instskip(NEXT) | instid1(VALU_DEP_3)
	v_add_nc_u32_e32 v145, v135, v148
                                        ; implicit-def: $vgpr135
	v_cmpx_ne_u32_e64 v146, v147
	s_xor_b32 s14, exec_lo, s14
; %bb.404:                              ;   in Loop: Header=BB2_393 Depth=4
	s_delay_alu instid0(VALU_DEP_2) | instskip(SKIP_1) | instid1(VALU_DEP_2)
	v_cmp_lt_u32_e64 s13, 0xffffff, v145
	v_sub_nc_u32_e32 v135, v146, v147
	v_cndmask_b32_e64 v146, 0, 1, s13
	s_delay_alu instid0(VALU_DEP_2) | instskip(NEXT) | instid1(VALU_DEP_2)
	v_add_co_ci_u32_e64 v135, s13, 0, v135, s13
	v_lshrrev_b32_e32 v145, v146, v145
; %bb.405:                              ;   in Loop: Header=BB2_393 Depth=4
	s_and_not1_saveexec_b32 s13, s14
; %bb.406:                              ;   in Loop: Header=BB2_393 Depth=4
	s_delay_alu instid0(VALU_DEP_1)
	v_bfe_u32 v135, v145, 23, 1
; %bb.407:                              ;   in Loop: Header=BB2_393 Depth=4
	s_or_b32 exec_lo, exec_lo, s13
	v_lshrrev_b32_e32 v145, 20, v145
	s_delay_alu instid0(VALU_DEP_2) | instskip(SKIP_2) | instid1(VALU_DEP_3)
	v_cmp_gt_i32_e64 s13, 16, v135
	v_lshrrev_b32_e32 v144, 24, v144
	v_min_i32_e32 v146, 15, v135
	v_cndmask_b32_e64 v145, 7, v145, s13
	s_delay_alu instid0(VALU_DEP_3) | instskip(NEXT) | instid1(VALU_DEP_3)
	v_and_b32_e32 v144, 0x80, v144
	v_lshlrev_b32_e32 v146, 3, v146
	s_delay_alu instid0(VALU_DEP_3) | instskip(SKIP_1) | instid1(VALU_DEP_2)
	v_and_b32_e32 v147, 7, v145
	v_or_b32_e32 v135, v135, v145
	v_or3_b32 v144, v146, v144, v147
	s_delay_alu instid0(VALU_DEP_2) | instskip(NEXT) | instid1(VALU_DEP_1)
	v_cmp_ne_u32_e64 s13, 0, v135
	v_cndmask_b32_e64 v135, 0, v144, s13
.LBB2_408:                              ;   in Loop: Header=BB2_393 Depth=4
	s_or_b32 exec_lo, exec_lo, s24
.LBB2_409:                              ;   in Loop: Header=BB2_393 Depth=4
	s_delay_alu instid0(SALU_CYCLE_1) | instskip(SKIP_3) | instid1(VALU_DEP_1)
	s_or_b32 exec_lo, exec_lo, s3
	v_lshrrev_b16 v145, 8, v12
	s_mov_b32 s3, 0
	s_mov_b32 s24, exec_lo
                                        ; implicit-def: $sgpr14
	v_cmpx_lt_i16_e64 0x7f, v145
	s_xor_b32 s24, exec_lo, s24
	s_cbranch_execnz .LBB2_655
; %bb.410:                              ;   in Loop: Header=BB2_393 Depth=4
	s_or_saveexec_b32 s24, s24
	v_mov_b32_e32 v144, s14
	s_xor_b32 exec_lo, exec_lo, s24
	s_cbranch_execnz .LBB2_658
.LBB2_411:                              ;   in Loop: Header=BB2_393 Depth=4
	s_or_b32 exec_lo, exec_lo, s24
	s_and_saveexec_b32 s14, s3
	s_cbranch_execz .LBB2_413
.LBB2_412:                              ;   in Loop: Header=BB2_393 Depth=4
	v_and_b32_e32 v144, 0xffff, v145
	v_lshlrev_b32_e32 v145, 24, v145
	s_delay_alu instid0(VALU_DEP_2) | instskip(NEXT) | instid1(VALU_DEP_2)
	v_and_b32_e32 v146, 7, v144
	v_and_b32_e32 v145, 0x80000000, v145
	s_delay_alu instid0(VALU_DEP_2) | instskip(NEXT) | instid1(VALU_DEP_1)
	v_clz_i32_u32_e32 v147, v146
	v_min_u32_e32 v147, 32, v147
	s_delay_alu instid0(VALU_DEP_1) | instskip(SKIP_1) | instid1(VALU_DEP_2)
	v_subrev_nc_u32_e32 v148, 28, v147
	v_sub_nc_u32_e32 v147, 29, v147
	v_lshlrev_b32_e32 v148, v148, v144
	v_bfe_u32 v144, v144, 3, 4
	s_delay_alu instid0(VALU_DEP_2) | instskip(NEXT) | instid1(VALU_DEP_2)
	v_and_b32_e32 v148, 7, v148
	v_cmp_eq_u32_e64 s13, 0, v144
	s_delay_alu instid0(VALU_DEP_1) | instskip(NEXT) | instid1(VALU_DEP_3)
	v_cndmask_b32_e64 v144, v144, v147, s13
	v_cndmask_b32_e64 v146, v146, v148, s13
	s_delay_alu instid0(VALU_DEP_2) | instskip(NEXT) | instid1(VALU_DEP_2)
	v_lshl_add_u32 v144, v144, 23, 0x3b800000
	v_lshlrev_b32_e32 v146, 20, v146
	s_delay_alu instid0(VALU_DEP_1)
	v_or3_b32 v144, v145, v144, v146
.LBB2_413:                              ;   in Loop: Header=BB2_393 Depth=4
	s_or_b32 exec_lo, exec_lo, s14
	v_lshrrev_b16 v145, 8, v8
	s_mov_b32 s3, 0
	s_mov_b32 s24, exec_lo
                                        ; implicit-def: $sgpr14
	s_delay_alu instid0(VALU_DEP_1)
	v_cmpx_lt_i16_e64 0x7f, v145
	s_xor_b32 s24, exec_lo, s24
	s_cbranch_execnz .LBB2_659
; %bb.414:                              ;   in Loop: Header=BB2_393 Depth=4
	s_or_saveexec_b32 s24, s24
	v_mov_b32_e32 v146, s14
	s_xor_b32 exec_lo, exec_lo, s24
	s_cbranch_execnz .LBB2_662
.LBB2_415:                              ;   in Loop: Header=BB2_393 Depth=4
	s_or_b32 exec_lo, exec_lo, s24
	s_and_saveexec_b32 s14, s3
	s_cbranch_execz .LBB2_417
.LBB2_416:                              ;   in Loop: Header=BB2_393 Depth=4
	v_and_b32_e32 v146, 0xffff, v145
	v_lshlrev_b32_e32 v145, 24, v145
	s_delay_alu instid0(VALU_DEP_2) | instskip(NEXT) | instid1(VALU_DEP_2)
	v_and_b32_e32 v147, 7, v146
	v_and_b32_e32 v145, 0x80000000, v145
	s_delay_alu instid0(VALU_DEP_2) | instskip(NEXT) | instid1(VALU_DEP_1)
	v_clz_i32_u32_e32 v148, v147
	v_min_u32_e32 v148, 32, v148
	s_delay_alu instid0(VALU_DEP_1) | instskip(SKIP_1) | instid1(VALU_DEP_2)
	v_subrev_nc_u32_e32 v149, 28, v148
	v_sub_nc_u32_e32 v148, 29, v148
	v_lshlrev_b32_e32 v149, v149, v146
	v_bfe_u32 v146, v146, 3, 4
	s_delay_alu instid0(VALU_DEP_2) | instskip(NEXT) | instid1(VALU_DEP_2)
	v_and_b32_e32 v149, 7, v149
	v_cmp_eq_u32_e64 s13, 0, v146
	s_delay_alu instid0(VALU_DEP_1) | instskip(NEXT) | instid1(VALU_DEP_3)
	v_cndmask_b32_e64 v146, v146, v148, s13
	v_cndmask_b32_e64 v147, v147, v149, s13
	s_delay_alu instid0(VALU_DEP_2) | instskip(NEXT) | instid1(VALU_DEP_2)
	v_lshl_add_u32 v146, v146, 23, 0x3b800000
	v_lshlrev_b32_e32 v147, 20, v147
	s_delay_alu instid0(VALU_DEP_1)
	v_or3_b32 v146, v145, v146, v147
.LBB2_417:                              ;   in Loop: Header=BB2_393 Depth=4
	s_or_b32 exec_lo, exec_lo, s14
	s_delay_alu instid0(VALU_DEP_1) | instskip(NEXT) | instid1(VALU_DEP_1)
	v_add_f32_e32 v145, v144, v146
	v_and_b32_e32 v144, 0x7f800000, v145
	s_delay_alu instid0(VALU_DEP_1) | instskip(SKIP_1) | instid1(VALU_DEP_2)
	v_cmp_ne_u32_e64 s13, 0x7f800000, v144
	v_mov_b32_e32 v144, 0x80
	s_and_saveexec_b32 s3, s13
	s_cbranch_execz .LBB2_425
; %bb.418:                              ;   in Loop: Header=BB2_393 Depth=4
	v_mov_b32_e32 v144, 0
	s_mov_b32 s24, exec_lo
	v_cmpx_ne_u32_e32 0, v145
	s_cbranch_execz .LBB2_424
; %bb.419:                              ;   in Loop: Header=BB2_393 Depth=4
	v_bfe_u32 v144, v145, 23, 8
	v_and_b32_e32 v146, 0x7fffff, v145
	s_delay_alu instid0(VALU_DEP_2) | instskip(SKIP_1) | instid1(VALU_DEP_3)
	v_sub_nc_u32_e32 v147, 0x78, v144
	v_cmp_gt_u32_e64 s13, 0x79, v144
	v_or_b32_e32 v148, 0x800000, v146
	s_delay_alu instid0(VALU_DEP_2) | instskip(SKIP_2) | instid1(VALU_DEP_2)
	v_cndmask_b32_e64 v147, 0, v147, s13
	v_cmp_eq_u32_e64 s13, 0, v144
	v_add_nc_u32_e32 v144, 0xffffff89, v144
	v_cndmask_b32_e64 v147, v147, 0x77, s13
	v_cndmask_b32_e64 v146, v148, v146, s13
	s_delay_alu instid0(VALU_DEP_3) | instskip(NEXT) | instid1(VALU_DEP_3)
	v_cndmask_b32_e64 v144, v144, 0xffffff8a, s13
	v_lshl_add_u32 v148, 0x100000, v147, -1
	s_delay_alu instid0(VALU_DEP_3) | instskip(SKIP_1) | instid1(VALU_DEP_4)
	v_lshrrev_b32_e32 v149, v147, v146
	v_lshlrev_b32_e64 v151, v147, 0x80000
	v_add_nc_u32_e32 v147, v147, v144
	s_delay_alu instid0(VALU_DEP_4) | instskip(NEXT) | instid1(VALU_DEP_4)
	v_and_b32_e32 v146, v148, v146
	v_bfe_u32 v150, v149, 20, 1
	s_delay_alu instid0(VALU_DEP_2) | instskip(NEXT) | instid1(VALU_DEP_2)
	v_cmp_eq_u32_e64 s14, v146, v151
	v_add_nc_u32_e32 v148, -1, v150
	s_delay_alu instid0(VALU_DEP_1) | instskip(SKIP_2) | instid1(VALU_DEP_2)
	v_cndmask_b32_e64 v146, 0, v148, s14
	v_lshrrev_b32_e32 v148, 23, v149
	s_mov_b32 s14, exec_lo
	v_add_nc_u32_e32 v146, v146, v149
	s_delay_alu instid0(VALU_DEP_2) | instskip(NEXT) | instid1(VALU_DEP_2)
	v_xor_b32_e32 v148, 1, v148
	v_and_b32_e32 v144, 0xfffff, v146
	s_delay_alu instid0(VALU_DEP_1) | instskip(NEXT) | instid1(VALU_DEP_3)
	v_add_nc_u32_e32 v146, v144, v149
                                        ; implicit-def: $vgpr144
	v_cmpx_ne_u32_e64 v147, v148
	s_xor_b32 s14, exec_lo, s14
; %bb.420:                              ;   in Loop: Header=BB2_393 Depth=4
	s_delay_alu instid0(VALU_DEP_2) | instskip(SKIP_1) | instid1(VALU_DEP_2)
	v_cmp_lt_u32_e64 s13, 0xffffff, v146
	v_sub_nc_u32_e32 v144, v147, v148
	v_cndmask_b32_e64 v147, 0, 1, s13
	s_delay_alu instid0(VALU_DEP_2) | instskip(NEXT) | instid1(VALU_DEP_2)
	v_add_co_ci_u32_e64 v144, s13, 0, v144, s13
	v_lshrrev_b32_e32 v146, v147, v146
; %bb.421:                              ;   in Loop: Header=BB2_393 Depth=4
	s_and_not1_saveexec_b32 s13, s14
; %bb.422:                              ;   in Loop: Header=BB2_393 Depth=4
	s_delay_alu instid0(VALU_DEP_1)
	v_bfe_u32 v144, v146, 23, 1
; %bb.423:                              ;   in Loop: Header=BB2_393 Depth=4
	s_or_b32 exec_lo, exec_lo, s13
	v_lshrrev_b32_e32 v146, 20, v146
	s_delay_alu instid0(VALU_DEP_2) | instskip(SKIP_2) | instid1(VALU_DEP_3)
	v_cmp_gt_i32_e64 s13, 16, v144
	v_lshrrev_b32_e32 v145, 24, v145
	v_min_i32_e32 v147, 15, v144
	v_cndmask_b32_e64 v146, 7, v146, s13
	s_delay_alu instid0(VALU_DEP_3) | instskip(NEXT) | instid1(VALU_DEP_3)
	v_and_b32_e32 v145, 0x80, v145
	v_lshlrev_b32_e32 v147, 3, v147
	s_delay_alu instid0(VALU_DEP_3) | instskip(SKIP_1) | instid1(VALU_DEP_2)
	v_and_b32_e32 v148, 7, v146
	v_or_b32_e32 v144, v144, v146
	v_or3_b32 v145, v147, v145, v148
	s_delay_alu instid0(VALU_DEP_2) | instskip(NEXT) | instid1(VALU_DEP_1)
	v_cmp_ne_u32_e64 s13, 0, v144
	v_cndmask_b32_e64 v144, 0, v145, s13
.LBB2_424:                              ;   in Loop: Header=BB2_393 Depth=4
	s_or_b32 exec_lo, exec_lo, s24
.LBB2_425:                              ;   in Loop: Header=BB2_393 Depth=4
	s_delay_alu instid0(SALU_CYCLE_1) | instskip(SKIP_3) | instid1(VALU_DEP_1)
	s_or_b32 exec_lo, exec_lo, s3
	v_lshrrev_b32_e32 v146, 16, v12
	s_mov_b32 s3, 0
	s_mov_b32 s24, exec_lo
                                        ; implicit-def: $sgpr14
	v_and_b32_e32 v147, 0xff, v146
	s_delay_alu instid0(VALU_DEP_1)
	v_cmpx_lt_i16_e64 0x7f, v147
	s_xor_b32 s24, exec_lo, s24
	s_cbranch_execnz .LBB2_663
; %bb.426:                              ;   in Loop: Header=BB2_393 Depth=4
	s_or_saveexec_b32 s24, s24
	v_mov_b32_e32 v145, s14
	s_xor_b32 exec_lo, exec_lo, s24
	s_cbranch_execnz .LBB2_666
.LBB2_427:                              ;   in Loop: Header=BB2_393 Depth=4
	s_or_b32 exec_lo, exec_lo, s24
	s_and_saveexec_b32 s14, s3
	s_cbranch_execz .LBB2_429
.LBB2_428:                              ;   in Loop: Header=BB2_393 Depth=4
	v_bfe_u32 v145, v12, 16, 3
	v_lshlrev_b32_e32 v149, 8, v12
	s_delay_alu instid0(VALU_DEP_2) | instskip(NEXT) | instid1(VALU_DEP_1)
	v_clz_i32_u32_e32 v147, v145
	v_min_u32_e32 v147, 32, v147
	s_delay_alu instid0(VALU_DEP_1) | instskip(SKIP_1) | instid1(VALU_DEP_2)
	v_subrev_nc_u32_e32 v148, 28, v147
	v_sub_nc_u32_e32 v147, 29, v147
	v_lshlrev_b32_e32 v146, v148, v146
	v_bfe_u32 v148, v12, 19, 4
	s_delay_alu instid0(VALU_DEP_2) | instskip(NEXT) | instid1(VALU_DEP_2)
	v_and_b32_e32 v146, 7, v146
	v_cmp_eq_u32_e64 s13, 0, v148
	s_delay_alu instid0(VALU_DEP_1) | instskip(NEXT) | instid1(VALU_DEP_3)
	v_cndmask_b32_e64 v147, v148, v147, s13
	v_cndmask_b32_e64 v145, v145, v146, s13
	v_and_b32_e32 v146, 0x80000000, v149
	s_delay_alu instid0(VALU_DEP_3) | instskip(NEXT) | instid1(VALU_DEP_3)
	v_lshl_add_u32 v147, v147, 23, 0x3b800000
	v_lshlrev_b32_e32 v145, 20, v145
	s_delay_alu instid0(VALU_DEP_1)
	v_or3_b32 v145, v146, v147, v145
.LBB2_429:                              ;   in Loop: Header=BB2_393 Depth=4
	s_or_b32 exec_lo, exec_lo, s14
	v_lshrrev_b32_e32 v146, 16, v8
	s_mov_b32 s3, 0
	s_mov_b32 s24, exec_lo
                                        ; implicit-def: $sgpr14
	s_delay_alu instid0(VALU_DEP_1) | instskip(NEXT) | instid1(VALU_DEP_1)
	v_and_b32_e32 v148, 0xff, v146
	v_cmpx_lt_i16_e64 0x7f, v148
	s_xor_b32 s24, exec_lo, s24
	s_cbranch_execnz .LBB2_667
; %bb.430:                              ;   in Loop: Header=BB2_393 Depth=4
	s_or_saveexec_b32 s24, s24
	v_mov_b32_e32 v147, s14
	s_xor_b32 exec_lo, exec_lo, s24
	s_cbranch_execnz .LBB2_670
.LBB2_431:                              ;   in Loop: Header=BB2_393 Depth=4
	s_or_b32 exec_lo, exec_lo, s24
	s_and_saveexec_b32 s14, s3
	s_cbranch_execz .LBB2_433
.LBB2_432:                              ;   in Loop: Header=BB2_393 Depth=4
	v_bfe_u32 v147, v8, 16, 3
	v_lshlrev_b32_e32 v150, 8, v8
	s_delay_alu instid0(VALU_DEP_2) | instskip(NEXT) | instid1(VALU_DEP_1)
	v_clz_i32_u32_e32 v148, v147
	v_min_u32_e32 v148, 32, v148
	s_delay_alu instid0(VALU_DEP_1) | instskip(SKIP_1) | instid1(VALU_DEP_2)
	v_subrev_nc_u32_e32 v149, 28, v148
	v_sub_nc_u32_e32 v148, 29, v148
	v_lshlrev_b32_e32 v146, v149, v146
	v_bfe_u32 v149, v8, 19, 4
	s_delay_alu instid0(VALU_DEP_2) | instskip(NEXT) | instid1(VALU_DEP_2)
	v_and_b32_e32 v146, 7, v146
	v_cmp_eq_u32_e64 s13, 0, v149
	s_delay_alu instid0(VALU_DEP_1) | instskip(NEXT) | instid1(VALU_DEP_3)
	v_cndmask_b32_e64 v148, v149, v148, s13
	v_cndmask_b32_e64 v146, v147, v146, s13
	v_and_b32_e32 v147, 0x80000000, v150
	s_delay_alu instid0(VALU_DEP_3) | instskip(NEXT) | instid1(VALU_DEP_3)
	v_lshl_add_u32 v148, v148, 23, 0x3b800000
	v_lshlrev_b32_e32 v146, 20, v146
	s_delay_alu instid0(VALU_DEP_1)
	v_or3_b32 v147, v147, v148, v146
.LBB2_433:                              ;   in Loop: Header=BB2_393 Depth=4
	s_or_b32 exec_lo, exec_lo, s14
	s_delay_alu instid0(VALU_DEP_1) | instskip(NEXT) | instid1(VALU_DEP_1)
	v_add_f32_e32 v146, v145, v147
	v_and_b32_e32 v145, 0x7f800000, v146
	s_delay_alu instid0(VALU_DEP_1) | instskip(SKIP_1) | instid1(VALU_DEP_2)
	v_cmp_ne_u32_e64 s13, 0x7f800000, v145
	v_mov_b32_e32 v145, 0x80
	s_and_saveexec_b32 s3, s13
	s_cbranch_execz .LBB2_441
; %bb.434:                              ;   in Loop: Header=BB2_393 Depth=4
	v_mov_b32_e32 v145, 0
	s_mov_b32 s24, exec_lo
	v_cmpx_ne_u32_e32 0, v146
	s_cbranch_execz .LBB2_440
; %bb.435:                              ;   in Loop: Header=BB2_393 Depth=4
	v_bfe_u32 v145, v146, 23, 8
	v_and_b32_e32 v147, 0x7fffff, v146
	s_delay_alu instid0(VALU_DEP_2) | instskip(SKIP_1) | instid1(VALU_DEP_3)
	v_sub_nc_u32_e32 v148, 0x78, v145
	v_cmp_gt_u32_e64 s13, 0x79, v145
	v_or_b32_e32 v149, 0x800000, v147
	s_delay_alu instid0(VALU_DEP_2) | instskip(SKIP_2) | instid1(VALU_DEP_2)
	v_cndmask_b32_e64 v148, 0, v148, s13
	v_cmp_eq_u32_e64 s13, 0, v145
	v_add_nc_u32_e32 v145, 0xffffff89, v145
	v_cndmask_b32_e64 v148, v148, 0x77, s13
	v_cndmask_b32_e64 v147, v149, v147, s13
	s_delay_alu instid0(VALU_DEP_3) | instskip(NEXT) | instid1(VALU_DEP_3)
	v_cndmask_b32_e64 v145, v145, 0xffffff8a, s13
	v_lshl_add_u32 v149, 0x100000, v148, -1
	s_delay_alu instid0(VALU_DEP_3) | instskip(SKIP_1) | instid1(VALU_DEP_4)
	v_lshrrev_b32_e32 v150, v148, v147
	v_lshlrev_b32_e64 v160, v148, 0x80000
	v_add_nc_u32_e32 v148, v148, v145
	s_delay_alu instid0(VALU_DEP_4) | instskip(NEXT) | instid1(VALU_DEP_4)
	v_and_b32_e32 v147, v149, v147
	v_bfe_u32 v151, v150, 20, 1
	s_delay_alu instid0(VALU_DEP_2) | instskip(NEXT) | instid1(VALU_DEP_2)
	v_cmp_eq_u32_e64 s14, v147, v160
	v_add_nc_u32_e32 v149, -1, v151
	s_delay_alu instid0(VALU_DEP_1) | instskip(SKIP_2) | instid1(VALU_DEP_2)
	v_cndmask_b32_e64 v147, 0, v149, s14
	v_lshrrev_b32_e32 v149, 23, v150
	s_mov_b32 s14, exec_lo
	v_add_nc_u32_e32 v147, v147, v150
	s_delay_alu instid0(VALU_DEP_2) | instskip(NEXT) | instid1(VALU_DEP_2)
	v_xor_b32_e32 v149, 1, v149
	v_and_b32_e32 v145, 0xfffff, v147
	s_delay_alu instid0(VALU_DEP_1) | instskip(NEXT) | instid1(VALU_DEP_3)
	v_add_nc_u32_e32 v147, v145, v150
                                        ; implicit-def: $vgpr145
	v_cmpx_ne_u32_e64 v148, v149
	s_xor_b32 s14, exec_lo, s14
; %bb.436:                              ;   in Loop: Header=BB2_393 Depth=4
	s_delay_alu instid0(VALU_DEP_2) | instskip(SKIP_1) | instid1(VALU_DEP_2)
	v_cmp_lt_u32_e64 s13, 0xffffff, v147
	v_sub_nc_u32_e32 v145, v148, v149
	v_cndmask_b32_e64 v148, 0, 1, s13
	s_delay_alu instid0(VALU_DEP_2) | instskip(NEXT) | instid1(VALU_DEP_2)
	v_add_co_ci_u32_e64 v145, s13, 0, v145, s13
	v_lshrrev_b32_e32 v147, v148, v147
; %bb.437:                              ;   in Loop: Header=BB2_393 Depth=4
	s_and_not1_saveexec_b32 s13, s14
; %bb.438:                              ;   in Loop: Header=BB2_393 Depth=4
	s_delay_alu instid0(VALU_DEP_1)
	v_bfe_u32 v145, v147, 23, 1
; %bb.439:                              ;   in Loop: Header=BB2_393 Depth=4
	s_or_b32 exec_lo, exec_lo, s13
	v_lshrrev_b32_e32 v147, 20, v147
	s_delay_alu instid0(VALU_DEP_2) | instskip(SKIP_2) | instid1(VALU_DEP_3)
	v_cmp_gt_i32_e64 s13, 16, v145
	v_lshrrev_b32_e32 v146, 24, v146
	v_min_i32_e32 v148, 15, v145
	v_cndmask_b32_e64 v147, 7, v147, s13
	s_delay_alu instid0(VALU_DEP_3) | instskip(NEXT) | instid1(VALU_DEP_3)
	v_and_b32_e32 v146, 0x80, v146
	v_lshlrev_b32_e32 v148, 3, v148
	s_delay_alu instid0(VALU_DEP_3) | instskip(SKIP_1) | instid1(VALU_DEP_2)
	v_and_b32_e32 v149, 7, v147
	v_or_b32_e32 v145, v145, v147
	v_or3_b32 v146, v148, v146, v149
	s_delay_alu instid0(VALU_DEP_2) | instskip(NEXT) | instid1(VALU_DEP_1)
	v_cmp_ne_u32_e64 s13, 0, v145
	v_cndmask_b32_e64 v145, 0, v146, s13
.LBB2_440:                              ;   in Loop: Header=BB2_393 Depth=4
	s_or_b32 exec_lo, exec_lo, s24
.LBB2_441:                              ;   in Loop: Header=BB2_393 Depth=4
	s_delay_alu instid0(SALU_CYCLE_1) | instskip(SKIP_3) | instid1(VALU_DEP_1)
	s_or_b32 exec_lo, exec_lo, s3
	v_lshrrev_b32_e32 v147, 24, v12
	s_mov_b32 s3, 0
	s_mov_b32 s24, exec_lo
                                        ; implicit-def: $sgpr14
	v_cmpx_lt_i16_e64 0x7f, v147
	s_xor_b32 s24, exec_lo, s24
	s_cbranch_execnz .LBB2_671
; %bb.442:                              ;   in Loop: Header=BB2_393 Depth=4
	s_or_saveexec_b32 s24, s24
	v_mov_b32_e32 v146, s14
	s_xor_b32 exec_lo, exec_lo, s24
	s_cbranch_execnz .LBB2_674
.LBB2_443:                              ;   in Loop: Header=BB2_393 Depth=4
	s_or_b32 exec_lo, exec_lo, s24
	s_and_saveexec_b32 s14, s3
	s_cbranch_execz .LBB2_445
.LBB2_444:                              ;   in Loop: Header=BB2_393 Depth=4
	v_bfe_u32 v146, v12, 24, 3
	s_delay_alu instid0(VALU_DEP_1) | instskip(NEXT) | instid1(VALU_DEP_1)
	v_clz_i32_u32_e32 v148, v146
	v_min_u32_e32 v148, 32, v148
	s_delay_alu instid0(VALU_DEP_1) | instskip(SKIP_1) | instid1(VALU_DEP_2)
	v_subrev_nc_u32_e32 v149, 28, v148
	v_sub_nc_u32_e32 v148, 29, v148
	v_lshlrev_b32_e32 v147, v149, v147
	v_bfe_u32 v149, v12, 27, 4
	v_and_b32_e32 v12, 0x80000000, v12
	s_delay_alu instid0(VALU_DEP_3) | instskip(NEXT) | instid1(VALU_DEP_3)
	v_and_b32_e32 v147, 7, v147
	v_cmp_eq_u32_e64 s13, 0, v149
	s_delay_alu instid0(VALU_DEP_1) | instskip(NEXT) | instid1(VALU_DEP_3)
	v_cndmask_b32_e64 v148, v149, v148, s13
	v_cndmask_b32_e64 v146, v146, v147, s13
	s_delay_alu instid0(VALU_DEP_2) | instskip(NEXT) | instid1(VALU_DEP_2)
	v_lshl_add_u32 v147, v148, 23, 0x3b800000
	v_lshlrev_b32_e32 v146, 20, v146
	s_delay_alu instid0(VALU_DEP_1)
	v_or3_b32 v146, v12, v147, v146
.LBB2_445:                              ;   in Loop: Header=BB2_393 Depth=4
	s_or_b32 exec_lo, exec_lo, s14
	v_lshrrev_b32_e32 v12, 24, v8
	s_mov_b32 s3, 0
	s_mov_b32 s24, exec_lo
                                        ; implicit-def: $sgpr14
	s_delay_alu instid0(VALU_DEP_1)
	v_cmpx_lt_i16_e32 0x7f, v12
	s_xor_b32 s24, exec_lo, s24
	s_cbranch_execnz .LBB2_675
; %bb.446:                              ;   in Loop: Header=BB2_393 Depth=4
	s_or_saveexec_b32 s24, s24
	v_mov_b32_e32 v147, s14
	s_xor_b32 exec_lo, exec_lo, s24
	s_cbranch_execnz .LBB2_678
.LBB2_447:                              ;   in Loop: Header=BB2_393 Depth=4
	s_or_b32 exec_lo, exec_lo, s24
	s_and_saveexec_b32 s14, s3
	s_cbranch_execz .LBB2_449
.LBB2_448:                              ;   in Loop: Header=BB2_393 Depth=4
	v_bfe_u32 v147, v8, 24, 3
	s_delay_alu instid0(VALU_DEP_1) | instskip(NEXT) | instid1(VALU_DEP_1)
	v_clz_i32_u32_e32 v148, v147
	v_min_u32_e32 v148, 32, v148
	s_delay_alu instid0(VALU_DEP_1) | instskip(SKIP_1) | instid1(VALU_DEP_2)
	v_subrev_nc_u32_e32 v149, 28, v148
	v_sub_nc_u32_e32 v148, 29, v148
	v_lshlrev_b32_e32 v12, v149, v12
	v_bfe_u32 v149, v8, 27, 4
	v_and_b32_e32 v8, 0x80000000, v8
	s_delay_alu instid0(VALU_DEP_3) | instskip(NEXT) | instid1(VALU_DEP_3)
	v_and_b32_e32 v12, 7, v12
	v_cmp_eq_u32_e64 s13, 0, v149
	s_delay_alu instid0(VALU_DEP_1) | instskip(NEXT) | instid1(VALU_DEP_3)
	v_cndmask_b32_e64 v148, v149, v148, s13
	v_cndmask_b32_e64 v12, v147, v12, s13
	s_delay_alu instid0(VALU_DEP_2) | instskip(NEXT) | instid1(VALU_DEP_2)
	v_lshl_add_u32 v147, v148, 23, 0x3b800000
	v_lshlrev_b32_e32 v12, 20, v12
	s_delay_alu instid0(VALU_DEP_1)
	v_or3_b32 v147, v8, v147, v12
.LBB2_449:                              ;   in Loop: Header=BB2_393 Depth=4
	s_or_b32 exec_lo, exec_lo, s14
	s_delay_alu instid0(VALU_DEP_1) | instskip(NEXT) | instid1(VALU_DEP_1)
	v_add_f32_e32 v12, v146, v147
	v_and_b32_e32 v8, 0x7f800000, v12
	s_delay_alu instid0(VALU_DEP_1) | instskip(SKIP_1) | instid1(VALU_DEP_2)
	v_cmp_ne_u32_e64 s13, 0x7f800000, v8
	v_mov_b32_e32 v8, 0x80
	s_and_saveexec_b32 s3, s13
	s_cbranch_execz .LBB2_457
; %bb.450:                              ;   in Loop: Header=BB2_393 Depth=4
	v_mov_b32_e32 v8, 0
	s_mov_b32 s24, exec_lo
	v_cmpx_ne_u32_e32 0, v12
	s_cbranch_execz .LBB2_456
; %bb.451:                              ;   in Loop: Header=BB2_393 Depth=4
	v_bfe_u32 v8, v12, 23, 8
	v_and_b32_e32 v146, 0x7fffff, v12
	s_delay_alu instid0(VALU_DEP_2) | instskip(SKIP_1) | instid1(VALU_DEP_3)
	v_sub_nc_u32_e32 v147, 0x78, v8
	v_cmp_gt_u32_e64 s13, 0x79, v8
	v_or_b32_e32 v148, 0x800000, v146
	s_delay_alu instid0(VALU_DEP_2) | instskip(SKIP_2) | instid1(VALU_DEP_2)
	v_cndmask_b32_e64 v147, 0, v147, s13
	v_cmp_eq_u32_e64 s13, 0, v8
	v_add_nc_u32_e32 v8, 0xffffff89, v8
	v_cndmask_b32_e64 v147, v147, 0x77, s13
	v_cndmask_b32_e64 v146, v148, v146, s13
	s_delay_alu instid0(VALU_DEP_3) | instskip(NEXT) | instid1(VALU_DEP_3)
	v_cndmask_b32_e64 v8, v8, 0xffffff8a, s13
	v_lshl_add_u32 v148, 0x100000, v147, -1
	s_delay_alu instid0(VALU_DEP_3) | instskip(SKIP_1) | instid1(VALU_DEP_4)
	v_lshrrev_b32_e32 v149, v147, v146
	v_lshlrev_b32_e64 v151, v147, 0x80000
	v_add_nc_u32_e32 v147, v147, v8
	s_delay_alu instid0(VALU_DEP_4) | instskip(NEXT) | instid1(VALU_DEP_4)
	v_and_b32_e32 v146, v148, v146
	v_bfe_u32 v150, v149, 20, 1
	s_delay_alu instid0(VALU_DEP_2) | instskip(NEXT) | instid1(VALU_DEP_2)
	v_cmp_eq_u32_e64 s14, v146, v151
	v_add_nc_u32_e32 v148, -1, v150
	s_delay_alu instid0(VALU_DEP_1) | instskip(SKIP_2) | instid1(VALU_DEP_2)
	v_cndmask_b32_e64 v146, 0, v148, s14
	v_lshrrev_b32_e32 v148, 23, v149
	s_mov_b32 s14, exec_lo
	v_add_nc_u32_e32 v146, v146, v149
	s_delay_alu instid0(VALU_DEP_2) | instskip(NEXT) | instid1(VALU_DEP_2)
	v_xor_b32_e32 v148, 1, v148
	v_and_b32_e32 v8, 0xfffff, v146
	s_delay_alu instid0(VALU_DEP_1) | instskip(NEXT) | instid1(VALU_DEP_3)
	v_add_nc_u32_e32 v146, v8, v149
                                        ; implicit-def: $vgpr8
	v_cmpx_ne_u32_e64 v147, v148
	s_xor_b32 s14, exec_lo, s14
; %bb.452:                              ;   in Loop: Header=BB2_393 Depth=4
	s_delay_alu instid0(VALU_DEP_2) | instskip(SKIP_1) | instid1(VALU_DEP_2)
	v_cmp_lt_u32_e64 s13, 0xffffff, v146
	v_sub_nc_u32_e32 v8, v147, v148
	v_cndmask_b32_e64 v147, 0, 1, s13
	s_delay_alu instid0(VALU_DEP_2) | instskip(NEXT) | instid1(VALU_DEP_2)
	v_add_co_ci_u32_e64 v8, s13, 0, v8, s13
	v_lshrrev_b32_e32 v146, v147, v146
; %bb.453:                              ;   in Loop: Header=BB2_393 Depth=4
	s_and_not1_saveexec_b32 s13, s14
; %bb.454:                              ;   in Loop: Header=BB2_393 Depth=4
	s_delay_alu instid0(VALU_DEP_1)
	v_bfe_u32 v8, v146, 23, 1
; %bb.455:                              ;   in Loop: Header=BB2_393 Depth=4
	s_or_b32 exec_lo, exec_lo, s13
	v_lshrrev_b32_e32 v146, 20, v146
	s_delay_alu instid0(VALU_DEP_2) | instskip(SKIP_2) | instid1(VALU_DEP_3)
	v_cmp_gt_i32_e64 s13, 16, v8
	v_lshrrev_b32_e32 v12, 24, v12
	v_min_i32_e32 v147, 15, v8
	v_cndmask_b32_e64 v146, 7, v146, s13
	s_delay_alu instid0(VALU_DEP_3) | instskip(NEXT) | instid1(VALU_DEP_3)
	v_and_b32_e32 v12, 0x80, v12
	v_lshlrev_b32_e32 v147, 3, v147
	s_delay_alu instid0(VALU_DEP_3) | instskip(SKIP_1) | instid1(VALU_DEP_2)
	v_and_b32_e32 v148, 7, v146
	v_or_b32_e32 v8, v8, v146
	v_or3_b32 v12, v147, v12, v148
	s_delay_alu instid0(VALU_DEP_2) | instskip(NEXT) | instid1(VALU_DEP_1)
	v_cmp_ne_u32_e64 s13, 0, v8
	v_cndmask_b32_e64 v8, 0, v12, s13
.LBB2_456:                              ;   in Loop: Header=BB2_393 Depth=4
	s_or_b32 exec_lo, exec_lo, s24
.LBB2_457:                              ;   in Loop: Header=BB2_393 Depth=4
	s_delay_alu instid0(SALU_CYCLE_1) | instskip(SKIP_3) | instid1(VALU_DEP_1)
	s_or_b32 exec_lo, exec_lo, s3
	v_and_b32_e32 v146, 0xff, v13
	s_mov_b32 s3, 0
	s_mov_b32 s24, exec_lo
                                        ; implicit-def: $sgpr14
	v_cmpx_lt_i16_e64 0x7f, v146
	s_xor_b32 s24, exec_lo, s24
	s_cbranch_execnz .LBB2_679
; %bb.458:                              ;   in Loop: Header=BB2_393 Depth=4
	s_or_saveexec_b32 s24, s24
	v_mov_b32_e32 v12, s14
	s_xor_b32 exec_lo, exec_lo, s24
	s_cbranch_execnz .LBB2_682
.LBB2_459:                              ;   in Loop: Header=BB2_393 Depth=4
	s_or_b32 exec_lo, exec_lo, s24
	s_and_saveexec_b32 s14, s3
	s_cbranch_execz .LBB2_461
.LBB2_460:                              ;   in Loop: Header=BB2_393 Depth=4
	v_and_b32_e32 v12, 7, v13
	v_bfe_u32 v148, v13, 3, 4
	v_lshlrev_b32_e32 v149, 24, v13
	s_delay_alu instid0(VALU_DEP_3) | instskip(NEXT) | instid1(VALU_DEP_3)
	v_clz_i32_u32_e32 v146, v12
	v_cmp_eq_u32_e64 s13, 0, v148
	s_delay_alu instid0(VALU_DEP_2) | instskip(NEXT) | instid1(VALU_DEP_1)
	v_min_u32_e32 v146, 32, v146
	v_subrev_nc_u32_e32 v147, 28, v146
	v_sub_nc_u32_e32 v146, 29, v146
	s_delay_alu instid0(VALU_DEP_2) | instskip(NEXT) | instid1(VALU_DEP_2)
	v_lshlrev_b32_e32 v147, v147, v13
	v_cndmask_b32_e64 v146, v148, v146, s13
	s_delay_alu instid0(VALU_DEP_2) | instskip(NEXT) | instid1(VALU_DEP_2)
	v_and_b32_e32 v147, 7, v147
	v_lshl_add_u32 v146, v146, 23, 0x3b800000
	s_delay_alu instid0(VALU_DEP_2) | instskip(SKIP_1) | instid1(VALU_DEP_2)
	v_cndmask_b32_e64 v12, v12, v147, s13
	v_and_b32_e32 v147, 0x80000000, v149
	v_lshlrev_b32_e32 v12, 20, v12
	s_delay_alu instid0(VALU_DEP_1)
	v_or3_b32 v12, v147, v146, v12
.LBB2_461:                              ;   in Loop: Header=BB2_393 Depth=4
	s_or_b32 exec_lo, exec_lo, s14
	v_and_b32_e32 v147, 0xff, v9
	s_mov_b32 s3, 0
	s_mov_b32 s24, exec_lo
                                        ; implicit-def: $sgpr14
	s_delay_alu instid0(VALU_DEP_1)
	v_cmpx_lt_i16_e64 0x7f, v147
	s_xor_b32 s24, exec_lo, s24
	s_cbranch_execnz .LBB2_683
; %bb.462:                              ;   in Loop: Header=BB2_393 Depth=4
	s_or_saveexec_b32 s24, s24
	v_mov_b32_e32 v146, s14
	s_xor_b32 exec_lo, exec_lo, s24
	s_cbranch_execnz .LBB2_686
.LBB2_463:                              ;   in Loop: Header=BB2_393 Depth=4
	s_or_b32 exec_lo, exec_lo, s24
	s_and_saveexec_b32 s14, s3
	s_cbranch_execz .LBB2_465
.LBB2_464:                              ;   in Loop: Header=BB2_393 Depth=4
	v_and_b32_e32 v146, 7, v9
	v_bfe_u32 v149, v9, 3, 4
	v_lshlrev_b32_e32 v150, 24, v9
	s_delay_alu instid0(VALU_DEP_3) | instskip(NEXT) | instid1(VALU_DEP_3)
	v_clz_i32_u32_e32 v147, v146
	v_cmp_eq_u32_e64 s13, 0, v149
	s_delay_alu instid0(VALU_DEP_2) | instskip(NEXT) | instid1(VALU_DEP_1)
	v_min_u32_e32 v147, 32, v147
	v_subrev_nc_u32_e32 v148, 28, v147
	v_sub_nc_u32_e32 v147, 29, v147
	s_delay_alu instid0(VALU_DEP_2) | instskip(NEXT) | instid1(VALU_DEP_2)
	v_lshlrev_b32_e32 v148, v148, v9
	v_cndmask_b32_e64 v147, v149, v147, s13
	s_delay_alu instid0(VALU_DEP_2) | instskip(NEXT) | instid1(VALU_DEP_2)
	v_and_b32_e32 v148, 7, v148
	v_lshl_add_u32 v147, v147, 23, 0x3b800000
	s_delay_alu instid0(VALU_DEP_2) | instskip(SKIP_1) | instid1(VALU_DEP_2)
	v_cndmask_b32_e64 v146, v146, v148, s13
	v_and_b32_e32 v148, 0x80000000, v150
	v_lshlrev_b32_e32 v146, 20, v146
	s_delay_alu instid0(VALU_DEP_1)
	v_or3_b32 v146, v148, v147, v146
.LBB2_465:                              ;   in Loop: Header=BB2_393 Depth=4
	s_or_b32 exec_lo, exec_lo, s14
	s_delay_alu instid0(VALU_DEP_1) | instskip(NEXT) | instid1(VALU_DEP_1)
	v_add_f32_e32 v146, v12, v146
	v_and_b32_e32 v12, 0x7f800000, v146
	s_delay_alu instid0(VALU_DEP_1) | instskip(SKIP_1) | instid1(VALU_DEP_2)
	v_cmp_ne_u32_e64 s13, 0x7f800000, v12
	v_mov_b32_e32 v12, 0x80
	s_and_saveexec_b32 s3, s13
	s_cbranch_execz .LBB2_473
; %bb.466:                              ;   in Loop: Header=BB2_393 Depth=4
	v_mov_b32_e32 v12, 0
	s_mov_b32 s24, exec_lo
	v_cmpx_ne_u32_e32 0, v146
	s_cbranch_execz .LBB2_472
; %bb.467:                              ;   in Loop: Header=BB2_393 Depth=4
	v_bfe_u32 v12, v146, 23, 8
	v_and_b32_e32 v147, 0x7fffff, v146
	s_delay_alu instid0(VALU_DEP_2) | instskip(SKIP_1) | instid1(VALU_DEP_3)
	v_sub_nc_u32_e32 v148, 0x78, v12
	v_cmp_gt_u32_e64 s13, 0x79, v12
	v_or_b32_e32 v149, 0x800000, v147
	s_delay_alu instid0(VALU_DEP_2) | instskip(SKIP_2) | instid1(VALU_DEP_2)
	v_cndmask_b32_e64 v148, 0, v148, s13
	v_cmp_eq_u32_e64 s13, 0, v12
	v_add_nc_u32_e32 v12, 0xffffff89, v12
	v_cndmask_b32_e64 v148, v148, 0x77, s13
	v_cndmask_b32_e64 v147, v149, v147, s13
	s_delay_alu instid0(VALU_DEP_3) | instskip(NEXT) | instid1(VALU_DEP_3)
	v_cndmask_b32_e64 v12, v12, 0xffffff8a, s13
	v_lshl_add_u32 v149, 0x100000, v148, -1
	s_delay_alu instid0(VALU_DEP_3) | instskip(SKIP_1) | instid1(VALU_DEP_4)
	v_lshrrev_b32_e32 v150, v148, v147
	v_lshlrev_b32_e64 v160, v148, 0x80000
	v_add_nc_u32_e32 v148, v148, v12
	s_delay_alu instid0(VALU_DEP_4) | instskip(NEXT) | instid1(VALU_DEP_4)
	v_and_b32_e32 v147, v149, v147
	v_bfe_u32 v151, v150, 20, 1
	s_delay_alu instid0(VALU_DEP_2) | instskip(NEXT) | instid1(VALU_DEP_2)
	v_cmp_eq_u32_e64 s14, v147, v160
	v_add_nc_u32_e32 v149, -1, v151
	s_delay_alu instid0(VALU_DEP_1) | instskip(SKIP_2) | instid1(VALU_DEP_2)
	v_cndmask_b32_e64 v147, 0, v149, s14
	v_lshrrev_b32_e32 v149, 23, v150
	s_mov_b32 s14, exec_lo
	v_add_nc_u32_e32 v147, v147, v150
	s_delay_alu instid0(VALU_DEP_2) | instskip(NEXT) | instid1(VALU_DEP_2)
	v_xor_b32_e32 v149, 1, v149
	v_and_b32_e32 v12, 0xfffff, v147
	s_delay_alu instid0(VALU_DEP_1) | instskip(NEXT) | instid1(VALU_DEP_3)
	v_add_nc_u32_e32 v147, v12, v150
                                        ; implicit-def: $vgpr12
	v_cmpx_ne_u32_e64 v148, v149
	s_xor_b32 s14, exec_lo, s14
; %bb.468:                              ;   in Loop: Header=BB2_393 Depth=4
	s_delay_alu instid0(VALU_DEP_2) | instskip(SKIP_1) | instid1(VALU_DEP_2)
	v_cmp_lt_u32_e64 s13, 0xffffff, v147
	v_sub_nc_u32_e32 v12, v148, v149
	v_cndmask_b32_e64 v148, 0, 1, s13
	s_delay_alu instid0(VALU_DEP_2) | instskip(NEXT) | instid1(VALU_DEP_2)
	v_add_co_ci_u32_e64 v12, s13, 0, v12, s13
	v_lshrrev_b32_e32 v147, v148, v147
; %bb.469:                              ;   in Loop: Header=BB2_393 Depth=4
	s_and_not1_saveexec_b32 s13, s14
; %bb.470:                              ;   in Loop: Header=BB2_393 Depth=4
	s_delay_alu instid0(VALU_DEP_1)
	v_bfe_u32 v12, v147, 23, 1
; %bb.471:                              ;   in Loop: Header=BB2_393 Depth=4
	s_or_b32 exec_lo, exec_lo, s13
	v_lshrrev_b32_e32 v147, 20, v147
	s_delay_alu instid0(VALU_DEP_2) | instskip(SKIP_2) | instid1(VALU_DEP_3)
	v_cmp_gt_i32_e64 s13, 16, v12
	v_lshrrev_b32_e32 v146, 24, v146
	v_min_i32_e32 v148, 15, v12
	v_cndmask_b32_e64 v147, 7, v147, s13
	s_delay_alu instid0(VALU_DEP_3) | instskip(NEXT) | instid1(VALU_DEP_3)
	v_and_b32_e32 v146, 0x80, v146
	v_lshlrev_b32_e32 v148, 3, v148
	s_delay_alu instid0(VALU_DEP_3) | instskip(SKIP_1) | instid1(VALU_DEP_2)
	v_and_b32_e32 v149, 7, v147
	v_or_b32_e32 v12, v12, v147
	v_or3_b32 v146, v148, v146, v149
	s_delay_alu instid0(VALU_DEP_2) | instskip(NEXT) | instid1(VALU_DEP_1)
	v_cmp_ne_u32_e64 s13, 0, v12
	v_cndmask_b32_e64 v12, 0, v146, s13
.LBB2_472:                              ;   in Loop: Header=BB2_393 Depth=4
	s_or_b32 exec_lo, exec_lo, s24
.LBB2_473:                              ;   in Loop: Header=BB2_393 Depth=4
	s_delay_alu instid0(SALU_CYCLE_1) | instskip(SKIP_3) | instid1(VALU_DEP_1)
	s_or_b32 exec_lo, exec_lo, s3
	v_lshrrev_b16 v147, 8, v13
	s_mov_b32 s3, 0
	s_mov_b32 s24, exec_lo
                                        ; implicit-def: $sgpr14
	v_cmpx_lt_i16_e64 0x7f, v147
	s_xor_b32 s24, exec_lo, s24
	s_cbranch_execnz .LBB2_687
; %bb.474:                              ;   in Loop: Header=BB2_393 Depth=4
	s_or_saveexec_b32 s24, s24
	v_mov_b32_e32 v146, s14
	s_xor_b32 exec_lo, exec_lo, s24
	s_cbranch_execnz .LBB2_690
.LBB2_475:                              ;   in Loop: Header=BB2_393 Depth=4
	s_or_b32 exec_lo, exec_lo, s24
	s_and_saveexec_b32 s14, s3
	s_cbranch_execz .LBB2_477
.LBB2_476:                              ;   in Loop: Header=BB2_393 Depth=4
	v_and_b32_e32 v146, 0xffff, v147
	v_lshlrev_b32_e32 v147, 24, v147
	s_delay_alu instid0(VALU_DEP_2) | instskip(NEXT) | instid1(VALU_DEP_2)
	v_and_b32_e32 v148, 7, v146
	v_and_b32_e32 v147, 0x80000000, v147
	s_delay_alu instid0(VALU_DEP_2) | instskip(NEXT) | instid1(VALU_DEP_1)
	v_clz_i32_u32_e32 v149, v148
	v_min_u32_e32 v149, 32, v149
	s_delay_alu instid0(VALU_DEP_1) | instskip(SKIP_1) | instid1(VALU_DEP_2)
	v_subrev_nc_u32_e32 v150, 28, v149
	v_sub_nc_u32_e32 v149, 29, v149
	v_lshlrev_b32_e32 v150, v150, v146
	v_bfe_u32 v146, v146, 3, 4
	s_delay_alu instid0(VALU_DEP_2) | instskip(NEXT) | instid1(VALU_DEP_2)
	v_and_b32_e32 v150, 7, v150
	v_cmp_eq_u32_e64 s13, 0, v146
	s_delay_alu instid0(VALU_DEP_1) | instskip(NEXT) | instid1(VALU_DEP_3)
	v_cndmask_b32_e64 v146, v146, v149, s13
	v_cndmask_b32_e64 v148, v148, v150, s13
	s_delay_alu instid0(VALU_DEP_2) | instskip(NEXT) | instid1(VALU_DEP_2)
	v_lshl_add_u32 v146, v146, 23, 0x3b800000
	v_lshlrev_b32_e32 v148, 20, v148
	s_delay_alu instid0(VALU_DEP_1)
	v_or3_b32 v146, v147, v146, v148
.LBB2_477:                              ;   in Loop: Header=BB2_393 Depth=4
	s_or_b32 exec_lo, exec_lo, s14
	v_lshrrev_b16 v147, 8, v9
	s_mov_b32 s3, 0
	s_mov_b32 s24, exec_lo
                                        ; implicit-def: $sgpr14
	s_delay_alu instid0(VALU_DEP_1)
	v_cmpx_lt_i16_e64 0x7f, v147
	s_xor_b32 s24, exec_lo, s24
	s_cbranch_execnz .LBB2_691
; %bb.478:                              ;   in Loop: Header=BB2_393 Depth=4
	s_or_saveexec_b32 s24, s24
	v_mov_b32_e32 v148, s14
	s_xor_b32 exec_lo, exec_lo, s24
	s_cbranch_execnz .LBB2_694
.LBB2_479:                              ;   in Loop: Header=BB2_393 Depth=4
	s_or_b32 exec_lo, exec_lo, s24
	s_and_saveexec_b32 s14, s3
	s_cbranch_execz .LBB2_481
.LBB2_480:                              ;   in Loop: Header=BB2_393 Depth=4
	v_and_b32_e32 v148, 0xffff, v147
	v_lshlrev_b32_e32 v147, 24, v147
	s_delay_alu instid0(VALU_DEP_2) | instskip(NEXT) | instid1(VALU_DEP_2)
	v_and_b32_e32 v149, 7, v148
	v_and_b32_e32 v147, 0x80000000, v147
	s_delay_alu instid0(VALU_DEP_2) | instskip(NEXT) | instid1(VALU_DEP_1)
	v_clz_i32_u32_e32 v150, v149
	v_min_u32_e32 v150, 32, v150
	s_delay_alu instid0(VALU_DEP_1) | instskip(SKIP_1) | instid1(VALU_DEP_2)
	v_subrev_nc_u32_e32 v151, 28, v150
	v_sub_nc_u32_e32 v150, 29, v150
	v_lshlrev_b32_e32 v151, v151, v148
	v_bfe_u32 v148, v148, 3, 4
	s_delay_alu instid0(VALU_DEP_2) | instskip(NEXT) | instid1(VALU_DEP_2)
	v_and_b32_e32 v151, 7, v151
	v_cmp_eq_u32_e64 s13, 0, v148
	s_delay_alu instid0(VALU_DEP_1) | instskip(NEXT) | instid1(VALU_DEP_3)
	v_cndmask_b32_e64 v148, v148, v150, s13
	v_cndmask_b32_e64 v149, v149, v151, s13
	s_delay_alu instid0(VALU_DEP_2) | instskip(NEXT) | instid1(VALU_DEP_2)
	v_lshl_add_u32 v148, v148, 23, 0x3b800000
	v_lshlrev_b32_e32 v149, 20, v149
	s_delay_alu instid0(VALU_DEP_1)
	v_or3_b32 v148, v147, v148, v149
.LBB2_481:                              ;   in Loop: Header=BB2_393 Depth=4
	s_or_b32 exec_lo, exec_lo, s14
	s_delay_alu instid0(VALU_DEP_1) | instskip(NEXT) | instid1(VALU_DEP_1)
	v_add_f32_e32 v147, v146, v148
	v_and_b32_e32 v146, 0x7f800000, v147
	s_delay_alu instid0(VALU_DEP_1) | instskip(SKIP_1) | instid1(VALU_DEP_2)
	v_cmp_ne_u32_e64 s13, 0x7f800000, v146
	v_mov_b32_e32 v146, 0x8000
	s_and_saveexec_b32 s3, s13
	s_cbranch_execz .LBB2_489
; %bb.482:                              ;   in Loop: Header=BB2_393 Depth=4
	v_mov_b32_e32 v146, 0
	s_mov_b32 s24, exec_lo
	v_cmpx_ne_u32_e32 0, v147
	s_cbranch_execz .LBB2_488
; %bb.483:                              ;   in Loop: Header=BB2_393 Depth=4
	v_bfe_u32 v146, v147, 23, 8
	v_and_b32_e32 v148, 0x7fffff, v147
	s_delay_alu instid0(VALU_DEP_2) | instskip(SKIP_1) | instid1(VALU_DEP_3)
	v_sub_nc_u32_e32 v149, 0x78, v146
	v_cmp_gt_u32_e64 s13, 0x79, v146
	v_or_b32_e32 v150, 0x800000, v148
	s_delay_alu instid0(VALU_DEP_2) | instskip(SKIP_2) | instid1(VALU_DEP_2)
	v_cndmask_b32_e64 v149, 0, v149, s13
	v_cmp_eq_u32_e64 s13, 0, v146
	v_add_nc_u32_e32 v146, 0xffffff89, v146
	v_cndmask_b32_e64 v149, v149, 0x77, s13
	v_cndmask_b32_e64 v148, v150, v148, s13
	s_delay_alu instid0(VALU_DEP_3) | instskip(NEXT) | instid1(VALU_DEP_3)
	v_cndmask_b32_e64 v146, v146, 0xffffff8a, s13
	v_lshl_add_u32 v150, 0x100000, v149, -1
	s_delay_alu instid0(VALU_DEP_3) | instskip(SKIP_1) | instid1(VALU_DEP_4)
	v_lshrrev_b32_e32 v151, v149, v148
	v_lshlrev_b32_e64 v161, v149, 0x80000
	v_add_nc_u32_e32 v149, v149, v146
	s_delay_alu instid0(VALU_DEP_4) | instskip(NEXT) | instid1(VALU_DEP_4)
	v_and_b32_e32 v148, v150, v148
	v_bfe_u32 v160, v151, 20, 1
	s_delay_alu instid0(VALU_DEP_2) | instskip(NEXT) | instid1(VALU_DEP_2)
	v_cmp_eq_u32_e64 s14, v148, v161
	v_add_nc_u32_e32 v150, -1, v160
	s_delay_alu instid0(VALU_DEP_1) | instskip(SKIP_2) | instid1(VALU_DEP_2)
	v_cndmask_b32_e64 v148, 0, v150, s14
	v_lshrrev_b32_e32 v150, 23, v151
	s_mov_b32 s14, exec_lo
	v_add_nc_u32_e32 v148, v148, v151
	s_delay_alu instid0(VALU_DEP_2) | instskip(NEXT) | instid1(VALU_DEP_2)
	v_xor_b32_e32 v150, 1, v150
	v_and_b32_e32 v146, 0xfffff, v148
	s_delay_alu instid0(VALU_DEP_1) | instskip(NEXT) | instid1(VALU_DEP_3)
	v_add_nc_u32_e32 v148, v146, v151
                                        ; implicit-def: $vgpr146
	v_cmpx_ne_u32_e64 v149, v150
	s_xor_b32 s14, exec_lo, s14
; %bb.484:                              ;   in Loop: Header=BB2_393 Depth=4
	s_delay_alu instid0(VALU_DEP_2) | instskip(SKIP_1) | instid1(VALU_DEP_2)
	v_cmp_lt_u32_e64 s13, 0xffffff, v148
	v_sub_nc_u32_e32 v146, v149, v150
	v_cndmask_b32_e64 v149, 0, 1, s13
	s_delay_alu instid0(VALU_DEP_2) | instskip(NEXT) | instid1(VALU_DEP_2)
	v_add_co_ci_u32_e64 v146, s13, 0, v146, s13
	v_lshrrev_b32_e32 v148, v149, v148
; %bb.485:                              ;   in Loop: Header=BB2_393 Depth=4
	s_and_not1_saveexec_b32 s13, s14
; %bb.486:                              ;   in Loop: Header=BB2_393 Depth=4
	s_delay_alu instid0(VALU_DEP_1)
	v_bfe_u32 v146, v148, 23, 1
; %bb.487:                              ;   in Loop: Header=BB2_393 Depth=4
	s_or_b32 exec_lo, exec_lo, s13
	v_lshrrev_b32_e32 v148, 20, v148
	s_delay_alu instid0(VALU_DEP_2) | instskip(SKIP_2) | instid1(VALU_DEP_3)
	v_min_i32_e32 v149, 15, v146
	v_cmp_gt_i32_e64 s13, 16, v146
	v_lshrrev_b32_e32 v147, 24, v147
	v_lshlrev_b32_e32 v149, 3, v149
	s_delay_alu instid0(VALU_DEP_3) | instskip(NEXT) | instid1(VALU_DEP_3)
	v_cndmask_b32_e64 v148, 7, v148, s13
	v_and_b32_e32 v147, 0x80, v147
	s_delay_alu instid0(VALU_DEP_3) | instskip(NEXT) | instid1(VALU_DEP_3)
	v_and_b32_e32 v149, 0xf8, v149
	v_and_b32_e32 v150, 7, v148
	v_or_b32_e32 v146, v146, v148
	s_delay_alu instid0(VALU_DEP_2) | instskip(NEXT) | instid1(VALU_DEP_2)
	v_or3_b32 v147, v147, v149, v150
	v_cmp_ne_u32_e64 s13, 0, v146
	s_delay_alu instid0(VALU_DEP_2) | instskip(NEXT) | instid1(VALU_DEP_1)
	v_lshlrev_b32_e32 v147, 8, v147
	v_cndmask_b32_e64 v146, 0, v147, s13
.LBB2_488:                              ;   in Loop: Header=BB2_393 Depth=4
	s_or_b32 exec_lo, exec_lo, s24
.LBB2_489:                              ;   in Loop: Header=BB2_393 Depth=4
	s_delay_alu instid0(SALU_CYCLE_1) | instskip(SKIP_3) | instid1(VALU_DEP_1)
	s_or_b32 exec_lo, exec_lo, s3
	v_lshrrev_b32_e32 v148, 16, v13
	s_mov_b32 s3, 0
	s_mov_b32 s24, exec_lo
                                        ; implicit-def: $sgpr14
	v_and_b32_e32 v149, 0xff, v148
	s_delay_alu instid0(VALU_DEP_1)
	v_cmpx_lt_i16_e64 0x7f, v149
	s_xor_b32 s24, exec_lo, s24
	s_cbranch_execnz .LBB2_695
; %bb.490:                              ;   in Loop: Header=BB2_393 Depth=4
	s_or_saveexec_b32 s24, s24
	v_mov_b32_e32 v147, s14
	s_xor_b32 exec_lo, exec_lo, s24
	s_cbranch_execnz .LBB2_698
.LBB2_491:                              ;   in Loop: Header=BB2_393 Depth=4
	s_or_b32 exec_lo, exec_lo, s24
	s_and_saveexec_b32 s14, s3
	s_cbranch_execz .LBB2_493
.LBB2_492:                              ;   in Loop: Header=BB2_393 Depth=4
	v_bfe_u32 v147, v13, 16, 3
	v_lshlrev_b32_e32 v151, 8, v13
	s_delay_alu instid0(VALU_DEP_2) | instskip(NEXT) | instid1(VALU_DEP_1)
	v_clz_i32_u32_e32 v149, v147
	v_min_u32_e32 v149, 32, v149
	s_delay_alu instid0(VALU_DEP_1) | instskip(SKIP_1) | instid1(VALU_DEP_2)
	v_subrev_nc_u32_e32 v150, 28, v149
	v_sub_nc_u32_e32 v149, 29, v149
	v_lshlrev_b32_e32 v148, v150, v148
	v_bfe_u32 v150, v13, 19, 4
	s_delay_alu instid0(VALU_DEP_2) | instskip(NEXT) | instid1(VALU_DEP_2)
	v_and_b32_e32 v148, 7, v148
	v_cmp_eq_u32_e64 s13, 0, v150
	s_delay_alu instid0(VALU_DEP_1) | instskip(NEXT) | instid1(VALU_DEP_3)
	v_cndmask_b32_e64 v149, v150, v149, s13
	v_cndmask_b32_e64 v147, v147, v148, s13
	v_and_b32_e32 v148, 0x80000000, v151
	s_delay_alu instid0(VALU_DEP_3) | instskip(NEXT) | instid1(VALU_DEP_3)
	v_lshl_add_u32 v149, v149, 23, 0x3b800000
	v_lshlrev_b32_e32 v147, 20, v147
	s_delay_alu instid0(VALU_DEP_1)
	v_or3_b32 v147, v148, v149, v147
.LBB2_493:                              ;   in Loop: Header=BB2_393 Depth=4
	s_or_b32 exec_lo, exec_lo, s14
	v_lshrrev_b32_e32 v148, 16, v9
	s_mov_b32 s3, 0
	s_mov_b32 s24, exec_lo
                                        ; implicit-def: $sgpr14
	s_delay_alu instid0(VALU_DEP_1) | instskip(NEXT) | instid1(VALU_DEP_1)
	v_and_b32_e32 v150, 0xff, v148
	v_cmpx_lt_i16_e64 0x7f, v150
	s_xor_b32 s24, exec_lo, s24
	s_cbranch_execnz .LBB2_699
; %bb.494:                              ;   in Loop: Header=BB2_393 Depth=4
	s_or_saveexec_b32 s24, s24
	v_mov_b32_e32 v149, s14
	s_xor_b32 exec_lo, exec_lo, s24
	s_cbranch_execnz .LBB2_702
.LBB2_495:                              ;   in Loop: Header=BB2_393 Depth=4
	s_or_b32 exec_lo, exec_lo, s24
	s_and_saveexec_b32 s14, s3
	s_cbranch_execz .LBB2_497
.LBB2_496:                              ;   in Loop: Header=BB2_393 Depth=4
	v_bfe_u32 v149, v9, 16, 3
	v_lshlrev_b32_e32 v160, 8, v9
	s_delay_alu instid0(VALU_DEP_2) | instskip(NEXT) | instid1(VALU_DEP_1)
	v_clz_i32_u32_e32 v150, v149
	v_min_u32_e32 v150, 32, v150
	s_delay_alu instid0(VALU_DEP_1) | instskip(SKIP_1) | instid1(VALU_DEP_2)
	v_subrev_nc_u32_e32 v151, 28, v150
	v_sub_nc_u32_e32 v150, 29, v150
	v_lshlrev_b32_e32 v148, v151, v148
	v_bfe_u32 v151, v9, 19, 4
	s_delay_alu instid0(VALU_DEP_2) | instskip(NEXT) | instid1(VALU_DEP_2)
	v_and_b32_e32 v148, 7, v148
	v_cmp_eq_u32_e64 s13, 0, v151
	s_delay_alu instid0(VALU_DEP_1) | instskip(NEXT) | instid1(VALU_DEP_3)
	v_cndmask_b32_e64 v150, v151, v150, s13
	v_cndmask_b32_e64 v148, v149, v148, s13
	v_and_b32_e32 v149, 0x80000000, v160
	s_delay_alu instid0(VALU_DEP_3) | instskip(NEXT) | instid1(VALU_DEP_3)
	v_lshl_add_u32 v150, v150, 23, 0x3b800000
	v_lshlrev_b32_e32 v148, 20, v148
	s_delay_alu instid0(VALU_DEP_1)
	v_or3_b32 v149, v149, v150, v148
.LBB2_497:                              ;   in Loop: Header=BB2_393 Depth=4
	s_or_b32 exec_lo, exec_lo, s14
	s_delay_alu instid0(VALU_DEP_1) | instskip(NEXT) | instid1(VALU_DEP_1)
	v_add_f32_e32 v148, v147, v149
	v_and_b32_e32 v147, 0x7f800000, v148
	s_delay_alu instid0(VALU_DEP_1) | instskip(SKIP_1) | instid1(VALU_DEP_2)
	v_cmp_ne_u32_e64 s13, 0x7f800000, v147
	v_mov_b32_e32 v147, 0x80
	s_and_saveexec_b32 s3, s13
	s_cbranch_execz .LBB2_505
; %bb.498:                              ;   in Loop: Header=BB2_393 Depth=4
	v_mov_b32_e32 v147, 0
	s_mov_b32 s24, exec_lo
	v_cmpx_ne_u32_e32 0, v148
	s_cbranch_execz .LBB2_504
; %bb.499:                              ;   in Loop: Header=BB2_393 Depth=4
	v_bfe_u32 v147, v148, 23, 8
	v_and_b32_e32 v149, 0x7fffff, v148
	s_delay_alu instid0(VALU_DEP_2) | instskip(SKIP_1) | instid1(VALU_DEP_3)
	v_sub_nc_u32_e32 v150, 0x78, v147
	v_cmp_gt_u32_e64 s13, 0x79, v147
	v_or_b32_e32 v151, 0x800000, v149
	s_delay_alu instid0(VALU_DEP_2) | instskip(SKIP_2) | instid1(VALU_DEP_2)
	v_cndmask_b32_e64 v150, 0, v150, s13
	v_cmp_eq_u32_e64 s13, 0, v147
	v_add_nc_u32_e32 v147, 0xffffff89, v147
	v_cndmask_b32_e64 v150, v150, 0x77, s13
	v_cndmask_b32_e64 v149, v151, v149, s13
	s_delay_alu instid0(VALU_DEP_3) | instskip(NEXT) | instid1(VALU_DEP_3)
	v_cndmask_b32_e64 v147, v147, 0xffffff8a, s13
	v_lshl_add_u32 v151, 0x100000, v150, -1
	s_delay_alu instid0(VALU_DEP_3) | instskip(SKIP_1) | instid1(VALU_DEP_4)
	v_lshrrev_b32_e32 v160, v150, v149
	v_lshlrev_b32_e64 v162, v150, 0x80000
	v_add_nc_u32_e32 v150, v150, v147
	s_delay_alu instid0(VALU_DEP_4) | instskip(NEXT) | instid1(VALU_DEP_4)
	v_and_b32_e32 v149, v151, v149
	v_bfe_u32 v161, v160, 20, 1
	s_delay_alu instid0(VALU_DEP_2) | instskip(NEXT) | instid1(VALU_DEP_2)
	v_cmp_eq_u32_e64 s14, v149, v162
	v_add_nc_u32_e32 v151, -1, v161
	s_delay_alu instid0(VALU_DEP_1) | instskip(SKIP_2) | instid1(VALU_DEP_2)
	v_cndmask_b32_e64 v149, 0, v151, s14
	v_lshrrev_b32_e32 v151, 23, v160
	s_mov_b32 s14, exec_lo
	v_add_nc_u32_e32 v149, v149, v160
	s_delay_alu instid0(VALU_DEP_2) | instskip(NEXT) | instid1(VALU_DEP_2)
	v_xor_b32_e32 v151, 1, v151
	v_and_b32_e32 v147, 0xfffff, v149
	s_delay_alu instid0(VALU_DEP_1) | instskip(NEXT) | instid1(VALU_DEP_3)
	v_add_nc_u32_e32 v149, v147, v160
                                        ; implicit-def: $vgpr147
	v_cmpx_ne_u32_e64 v150, v151
	s_xor_b32 s14, exec_lo, s14
; %bb.500:                              ;   in Loop: Header=BB2_393 Depth=4
	s_delay_alu instid0(VALU_DEP_2) | instskip(SKIP_1) | instid1(VALU_DEP_2)
	v_cmp_lt_u32_e64 s13, 0xffffff, v149
	v_sub_nc_u32_e32 v147, v150, v151
	v_cndmask_b32_e64 v150, 0, 1, s13
	s_delay_alu instid0(VALU_DEP_2) | instskip(NEXT) | instid1(VALU_DEP_2)
	v_add_co_ci_u32_e64 v147, s13, 0, v147, s13
	v_lshrrev_b32_e32 v149, v150, v149
; %bb.501:                              ;   in Loop: Header=BB2_393 Depth=4
	s_and_not1_saveexec_b32 s13, s14
; %bb.502:                              ;   in Loop: Header=BB2_393 Depth=4
	s_delay_alu instid0(VALU_DEP_1)
	v_bfe_u32 v147, v149, 23, 1
; %bb.503:                              ;   in Loop: Header=BB2_393 Depth=4
	s_or_b32 exec_lo, exec_lo, s13
	v_lshrrev_b32_e32 v149, 20, v149
	s_delay_alu instid0(VALU_DEP_2) | instskip(SKIP_2) | instid1(VALU_DEP_3)
	v_min_i32_e32 v150, 15, v147
	v_cmp_gt_i32_e64 s13, 16, v147
	v_lshrrev_b32_e32 v148, 24, v148
	v_lshlrev_b32_e32 v150, 3, v150
	s_delay_alu instid0(VALU_DEP_3) | instskip(NEXT) | instid1(VALU_DEP_3)
	v_cndmask_b32_e64 v149, 7, v149, s13
	v_and_b32_e32 v148, 0x80, v148
	s_delay_alu instid0(VALU_DEP_3) | instskip(NEXT) | instid1(VALU_DEP_3)
	v_and_b32_e32 v150, 0xf8, v150
	v_and_b32_e32 v151, 7, v149
	v_or_b32_e32 v147, v147, v149
	s_delay_alu instid0(VALU_DEP_2) | instskip(NEXT) | instid1(VALU_DEP_2)
	v_or3_b32 v148, v150, v148, v151
	v_cmp_ne_u32_e64 s13, 0, v147
	s_delay_alu instid0(VALU_DEP_1)
	v_cndmask_b32_e64 v147, 0, v148, s13
.LBB2_504:                              ;   in Loop: Header=BB2_393 Depth=4
	s_or_b32 exec_lo, exec_lo, s24
.LBB2_505:                              ;   in Loop: Header=BB2_393 Depth=4
	s_delay_alu instid0(SALU_CYCLE_1) | instskip(SKIP_3) | instid1(VALU_DEP_1)
	s_or_b32 exec_lo, exec_lo, s3
	v_lshrrev_b32_e32 v149, 24, v13
	s_mov_b32 s3, 0
	s_mov_b32 s24, exec_lo
                                        ; implicit-def: $sgpr14
	v_cmpx_lt_i16_e64 0x7f, v149
	s_xor_b32 s24, exec_lo, s24
	s_cbranch_execnz .LBB2_703
; %bb.506:                              ;   in Loop: Header=BB2_393 Depth=4
	s_or_saveexec_b32 s24, s24
	v_mov_b32_e32 v148, s14
	s_xor_b32 exec_lo, exec_lo, s24
	s_cbranch_execnz .LBB2_706
.LBB2_507:                              ;   in Loop: Header=BB2_393 Depth=4
	s_or_b32 exec_lo, exec_lo, s24
	s_and_saveexec_b32 s14, s3
	s_cbranch_execz .LBB2_509
.LBB2_508:                              ;   in Loop: Header=BB2_393 Depth=4
	v_bfe_u32 v148, v13, 24, 3
	s_delay_alu instid0(VALU_DEP_1) | instskip(NEXT) | instid1(VALU_DEP_1)
	v_clz_i32_u32_e32 v150, v148
	v_min_u32_e32 v150, 32, v150
	s_delay_alu instid0(VALU_DEP_1) | instskip(SKIP_1) | instid1(VALU_DEP_2)
	v_subrev_nc_u32_e32 v151, 28, v150
	v_sub_nc_u32_e32 v150, 29, v150
	v_lshlrev_b32_e32 v149, v151, v149
	v_bfe_u32 v151, v13, 27, 4
	v_and_b32_e32 v13, 0x80000000, v13
	s_delay_alu instid0(VALU_DEP_3) | instskip(NEXT) | instid1(VALU_DEP_3)
	v_and_b32_e32 v149, 7, v149
	v_cmp_eq_u32_e64 s13, 0, v151
	s_delay_alu instid0(VALU_DEP_1) | instskip(NEXT) | instid1(VALU_DEP_3)
	v_cndmask_b32_e64 v150, v151, v150, s13
	v_cndmask_b32_e64 v148, v148, v149, s13
	s_delay_alu instid0(VALU_DEP_2) | instskip(NEXT) | instid1(VALU_DEP_2)
	v_lshl_add_u32 v149, v150, 23, 0x3b800000
	v_lshlrev_b32_e32 v148, 20, v148
	s_delay_alu instid0(VALU_DEP_1)
	v_or3_b32 v148, v13, v149, v148
.LBB2_509:                              ;   in Loop: Header=BB2_393 Depth=4
	s_or_b32 exec_lo, exec_lo, s14
	v_lshrrev_b32_e32 v13, 24, v9
	s_mov_b32 s3, 0
	s_mov_b32 s24, exec_lo
                                        ; implicit-def: $sgpr14
	s_delay_alu instid0(VALU_DEP_1)
	v_cmpx_lt_i16_e32 0x7f, v13
	s_xor_b32 s24, exec_lo, s24
	s_cbranch_execnz .LBB2_707
; %bb.510:                              ;   in Loop: Header=BB2_393 Depth=4
	s_or_saveexec_b32 s24, s24
	v_mov_b32_e32 v149, s14
	s_xor_b32 exec_lo, exec_lo, s24
	s_cbranch_execnz .LBB2_710
.LBB2_511:                              ;   in Loop: Header=BB2_393 Depth=4
	s_or_b32 exec_lo, exec_lo, s24
	s_and_saveexec_b32 s14, s3
	s_cbranch_execz .LBB2_513
.LBB2_512:                              ;   in Loop: Header=BB2_393 Depth=4
	v_bfe_u32 v149, v9, 24, 3
	s_delay_alu instid0(VALU_DEP_1) | instskip(NEXT) | instid1(VALU_DEP_1)
	v_clz_i32_u32_e32 v150, v149
	v_min_u32_e32 v150, 32, v150
	s_delay_alu instid0(VALU_DEP_1) | instskip(SKIP_1) | instid1(VALU_DEP_2)
	v_subrev_nc_u32_e32 v151, 28, v150
	v_sub_nc_u32_e32 v150, 29, v150
	v_lshlrev_b32_e32 v13, v151, v13
	v_bfe_u32 v151, v9, 27, 4
	v_and_b32_e32 v9, 0x80000000, v9
	s_delay_alu instid0(VALU_DEP_3) | instskip(NEXT) | instid1(VALU_DEP_3)
	v_and_b32_e32 v13, 7, v13
	v_cmp_eq_u32_e64 s13, 0, v151
	s_delay_alu instid0(VALU_DEP_1) | instskip(NEXT) | instid1(VALU_DEP_3)
	v_cndmask_b32_e64 v150, v151, v150, s13
	v_cndmask_b32_e64 v13, v149, v13, s13
	s_delay_alu instid0(VALU_DEP_2) | instskip(NEXT) | instid1(VALU_DEP_2)
	v_lshl_add_u32 v149, v150, 23, 0x3b800000
	v_lshlrev_b32_e32 v13, 20, v13
	s_delay_alu instid0(VALU_DEP_1)
	v_or3_b32 v149, v9, v149, v13
.LBB2_513:                              ;   in Loop: Header=BB2_393 Depth=4
	s_or_b32 exec_lo, exec_lo, s14
	s_delay_alu instid0(VALU_DEP_1) | instskip(NEXT) | instid1(VALU_DEP_1)
	v_add_f32_e32 v13, v148, v149
	v_and_b32_e32 v9, 0x7f800000, v13
	s_delay_alu instid0(VALU_DEP_1) | instskip(SKIP_1) | instid1(VALU_DEP_2)
	v_cmp_ne_u32_e64 s13, 0x7f800000, v9
	v_mov_b32_e32 v9, 0x8000
	s_and_saveexec_b32 s3, s13
	s_cbranch_execz .LBB2_521
; %bb.514:                              ;   in Loop: Header=BB2_393 Depth=4
	v_mov_b32_e32 v9, 0
	s_mov_b32 s24, exec_lo
	v_cmpx_ne_u32_e32 0, v13
	s_cbranch_execz .LBB2_520
; %bb.515:                              ;   in Loop: Header=BB2_393 Depth=4
	v_bfe_u32 v9, v13, 23, 8
	v_and_b32_e32 v148, 0x7fffff, v13
	s_delay_alu instid0(VALU_DEP_2) | instskip(SKIP_1) | instid1(VALU_DEP_3)
	v_sub_nc_u32_e32 v149, 0x78, v9
	v_cmp_gt_u32_e64 s13, 0x79, v9
	v_or_b32_e32 v150, 0x800000, v148
	s_delay_alu instid0(VALU_DEP_2) | instskip(SKIP_2) | instid1(VALU_DEP_2)
	v_cndmask_b32_e64 v149, 0, v149, s13
	v_cmp_eq_u32_e64 s13, 0, v9
	v_add_nc_u32_e32 v9, 0xffffff89, v9
	v_cndmask_b32_e64 v149, v149, 0x77, s13
	v_cndmask_b32_e64 v148, v150, v148, s13
	s_delay_alu instid0(VALU_DEP_3) | instskip(NEXT) | instid1(VALU_DEP_3)
	v_cndmask_b32_e64 v9, v9, 0xffffff8a, s13
	v_lshl_add_u32 v150, 0x100000, v149, -1
	s_delay_alu instid0(VALU_DEP_3) | instskip(SKIP_1) | instid1(VALU_DEP_4)
	v_lshrrev_b32_e32 v151, v149, v148
	v_lshlrev_b32_e64 v161, v149, 0x80000
	v_add_nc_u32_e32 v149, v149, v9
	s_delay_alu instid0(VALU_DEP_4) | instskip(NEXT) | instid1(VALU_DEP_4)
	v_and_b32_e32 v148, v150, v148
	v_bfe_u32 v160, v151, 20, 1
	s_delay_alu instid0(VALU_DEP_2) | instskip(NEXT) | instid1(VALU_DEP_2)
	v_cmp_eq_u32_e64 s14, v148, v161
	v_add_nc_u32_e32 v150, -1, v160
	s_delay_alu instid0(VALU_DEP_1) | instskip(SKIP_2) | instid1(VALU_DEP_2)
	v_cndmask_b32_e64 v148, 0, v150, s14
	v_lshrrev_b32_e32 v150, 23, v151
	s_mov_b32 s14, exec_lo
	v_add_nc_u32_e32 v148, v148, v151
	s_delay_alu instid0(VALU_DEP_2) | instskip(NEXT) | instid1(VALU_DEP_2)
	v_xor_b32_e32 v150, 1, v150
	v_and_b32_e32 v9, 0xfffff, v148
	s_delay_alu instid0(VALU_DEP_1) | instskip(NEXT) | instid1(VALU_DEP_3)
	v_add_nc_u32_e32 v148, v9, v151
                                        ; implicit-def: $vgpr9
	v_cmpx_ne_u32_e64 v149, v150
	s_xor_b32 s14, exec_lo, s14
; %bb.516:                              ;   in Loop: Header=BB2_393 Depth=4
	s_delay_alu instid0(VALU_DEP_2) | instskip(SKIP_1) | instid1(VALU_DEP_2)
	v_cmp_lt_u32_e64 s13, 0xffffff, v148
	v_sub_nc_u32_e32 v9, v149, v150
	v_cndmask_b32_e64 v149, 0, 1, s13
	s_delay_alu instid0(VALU_DEP_2) | instskip(NEXT) | instid1(VALU_DEP_2)
	v_add_co_ci_u32_e64 v9, s13, 0, v9, s13
	v_lshrrev_b32_e32 v148, v149, v148
; %bb.517:                              ;   in Loop: Header=BB2_393 Depth=4
	s_and_not1_saveexec_b32 s13, s14
; %bb.518:                              ;   in Loop: Header=BB2_393 Depth=4
	s_delay_alu instid0(VALU_DEP_1)
	v_bfe_u32 v9, v148, 23, 1
; %bb.519:                              ;   in Loop: Header=BB2_393 Depth=4
	s_or_b32 exec_lo, exec_lo, s13
	v_lshrrev_b32_e32 v148, 20, v148
	s_delay_alu instid0(VALU_DEP_2) | instskip(SKIP_2) | instid1(VALU_DEP_3)
	v_min_i32_e32 v149, 15, v9
	v_cmp_gt_i32_e64 s13, 16, v9
	v_lshrrev_b32_e32 v13, 24, v13
	v_lshlrev_b32_e32 v149, 3, v149
	s_delay_alu instid0(VALU_DEP_3) | instskip(NEXT) | instid1(VALU_DEP_3)
	v_cndmask_b32_e64 v148, 7, v148, s13
	v_and_b32_e32 v13, 0x80, v13
	s_delay_alu instid0(VALU_DEP_3) | instskip(NEXT) | instid1(VALU_DEP_3)
	v_and_b32_e32 v149, 0xf8, v149
	v_and_b32_e32 v150, 7, v148
	v_or_b32_e32 v9, v9, v148
	s_delay_alu instid0(VALU_DEP_2) | instskip(NEXT) | instid1(VALU_DEP_2)
	v_or3_b32 v13, v13, v149, v150
	v_cmp_ne_u32_e64 s13, 0, v9
	s_delay_alu instid0(VALU_DEP_2) | instskip(NEXT) | instid1(VALU_DEP_1)
	v_lshlrev_b32_e32 v13, 8, v13
	v_cndmask_b32_e64 v9, 0, v13, s13
.LBB2_520:                              ;   in Loop: Header=BB2_393 Depth=4
	s_or_b32 exec_lo, exec_lo, s24
.LBB2_521:                              ;   in Loop: Header=BB2_393 Depth=4
	s_delay_alu instid0(SALU_CYCLE_1) | instskip(SKIP_3) | instid1(VALU_DEP_1)
	s_or_b32 exec_lo, exec_lo, s3
	v_and_b32_e32 v148, 0xff, v14
	s_mov_b32 s3, 0
	s_mov_b32 s24, exec_lo
                                        ; implicit-def: $sgpr14
	v_cmpx_lt_i16_e64 0x7f, v148
	s_xor_b32 s24, exec_lo, s24
	s_cbranch_execnz .LBB2_711
; %bb.522:                              ;   in Loop: Header=BB2_393 Depth=4
	s_or_saveexec_b32 s24, s24
	v_mov_b32_e32 v13, s14
	s_xor_b32 exec_lo, exec_lo, s24
	s_cbranch_execnz .LBB2_714
.LBB2_523:                              ;   in Loop: Header=BB2_393 Depth=4
	s_or_b32 exec_lo, exec_lo, s24
	s_and_saveexec_b32 s14, s3
	s_cbranch_execz .LBB2_525
.LBB2_524:                              ;   in Loop: Header=BB2_393 Depth=4
	v_and_b32_e32 v13, 7, v14
	v_bfe_u32 v150, v14, 3, 4
	v_lshlrev_b32_e32 v151, 24, v14
	s_delay_alu instid0(VALU_DEP_3) | instskip(NEXT) | instid1(VALU_DEP_3)
	v_clz_i32_u32_e32 v148, v13
	v_cmp_eq_u32_e64 s13, 0, v150
	s_delay_alu instid0(VALU_DEP_2) | instskip(NEXT) | instid1(VALU_DEP_1)
	v_min_u32_e32 v148, 32, v148
	v_subrev_nc_u32_e32 v149, 28, v148
	v_sub_nc_u32_e32 v148, 29, v148
	s_delay_alu instid0(VALU_DEP_2) | instskip(NEXT) | instid1(VALU_DEP_2)
	v_lshlrev_b32_e32 v149, v149, v14
	v_cndmask_b32_e64 v148, v150, v148, s13
	s_delay_alu instid0(VALU_DEP_2) | instskip(NEXT) | instid1(VALU_DEP_2)
	v_and_b32_e32 v149, 7, v149
	v_lshl_add_u32 v148, v148, 23, 0x3b800000
	s_delay_alu instid0(VALU_DEP_2) | instskip(SKIP_1) | instid1(VALU_DEP_2)
	v_cndmask_b32_e64 v13, v13, v149, s13
	v_and_b32_e32 v149, 0x80000000, v151
	v_lshlrev_b32_e32 v13, 20, v13
	s_delay_alu instid0(VALU_DEP_1)
	v_or3_b32 v13, v149, v148, v13
.LBB2_525:                              ;   in Loop: Header=BB2_393 Depth=4
	s_or_b32 exec_lo, exec_lo, s14
	v_and_b32_e32 v149, 0xff, v10
	s_mov_b32 s3, 0
	s_mov_b32 s24, exec_lo
                                        ; implicit-def: $sgpr14
	s_delay_alu instid0(VALU_DEP_1)
	v_cmpx_lt_i16_e64 0x7f, v149
	s_xor_b32 s24, exec_lo, s24
	s_cbranch_execnz .LBB2_715
; %bb.526:                              ;   in Loop: Header=BB2_393 Depth=4
	s_or_saveexec_b32 s24, s24
	v_mov_b32_e32 v148, s14
	s_xor_b32 exec_lo, exec_lo, s24
	s_cbranch_execnz .LBB2_718
.LBB2_527:                              ;   in Loop: Header=BB2_393 Depth=4
	s_or_b32 exec_lo, exec_lo, s24
	s_and_saveexec_b32 s14, s3
	s_cbranch_execz .LBB2_529
.LBB2_528:                              ;   in Loop: Header=BB2_393 Depth=4
	v_and_b32_e32 v148, 7, v10
	v_bfe_u32 v151, v10, 3, 4
	v_lshlrev_b32_e32 v160, 24, v10
	s_delay_alu instid0(VALU_DEP_3) | instskip(NEXT) | instid1(VALU_DEP_3)
	v_clz_i32_u32_e32 v149, v148
	v_cmp_eq_u32_e64 s13, 0, v151
	s_delay_alu instid0(VALU_DEP_2) | instskip(NEXT) | instid1(VALU_DEP_1)
	v_min_u32_e32 v149, 32, v149
	v_subrev_nc_u32_e32 v150, 28, v149
	v_sub_nc_u32_e32 v149, 29, v149
	s_delay_alu instid0(VALU_DEP_2) | instskip(NEXT) | instid1(VALU_DEP_2)
	v_lshlrev_b32_e32 v150, v150, v10
	v_cndmask_b32_e64 v149, v151, v149, s13
	s_delay_alu instid0(VALU_DEP_2) | instskip(NEXT) | instid1(VALU_DEP_2)
	v_and_b32_e32 v150, 7, v150
	v_lshl_add_u32 v149, v149, 23, 0x3b800000
	s_delay_alu instid0(VALU_DEP_2) | instskip(SKIP_1) | instid1(VALU_DEP_2)
	v_cndmask_b32_e64 v148, v148, v150, s13
	v_and_b32_e32 v150, 0x80000000, v160
	v_lshlrev_b32_e32 v148, 20, v148
	s_delay_alu instid0(VALU_DEP_1)
	v_or3_b32 v148, v150, v149, v148
.LBB2_529:                              ;   in Loop: Header=BB2_393 Depth=4
	s_or_b32 exec_lo, exec_lo, s14
	s_delay_alu instid0(VALU_DEP_1) | instskip(NEXT) | instid1(VALU_DEP_1)
	v_add_f32_e32 v148, v13, v148
	v_and_b32_e32 v13, 0x7f800000, v148
	s_delay_alu instid0(VALU_DEP_1) | instskip(SKIP_1) | instid1(VALU_DEP_2)
	v_cmp_ne_u32_e64 s13, 0x7f800000, v13
	v_mov_b32_e32 v13, 0x80
	s_and_saveexec_b32 s3, s13
	s_cbranch_execz .LBB2_537
; %bb.530:                              ;   in Loop: Header=BB2_393 Depth=4
	v_mov_b32_e32 v13, 0
	s_mov_b32 s24, exec_lo
	v_cmpx_ne_u32_e32 0, v148
	s_cbranch_execz .LBB2_536
; %bb.531:                              ;   in Loop: Header=BB2_393 Depth=4
	v_bfe_u32 v13, v148, 23, 8
	v_and_b32_e32 v149, 0x7fffff, v148
	s_delay_alu instid0(VALU_DEP_2) | instskip(SKIP_1) | instid1(VALU_DEP_3)
	v_sub_nc_u32_e32 v150, 0x78, v13
	v_cmp_gt_u32_e64 s13, 0x79, v13
	v_or_b32_e32 v151, 0x800000, v149
	s_delay_alu instid0(VALU_DEP_2) | instskip(SKIP_2) | instid1(VALU_DEP_2)
	v_cndmask_b32_e64 v150, 0, v150, s13
	v_cmp_eq_u32_e64 s13, 0, v13
	v_add_nc_u32_e32 v13, 0xffffff89, v13
	v_cndmask_b32_e64 v150, v150, 0x77, s13
	v_cndmask_b32_e64 v149, v151, v149, s13
	s_delay_alu instid0(VALU_DEP_3) | instskip(NEXT) | instid1(VALU_DEP_3)
	v_cndmask_b32_e64 v13, v13, 0xffffff8a, s13
	v_lshl_add_u32 v151, 0x100000, v150, -1
	s_delay_alu instid0(VALU_DEP_3) | instskip(SKIP_1) | instid1(VALU_DEP_4)
	v_lshrrev_b32_e32 v160, v150, v149
	v_lshlrev_b32_e64 v162, v150, 0x80000
	v_add_nc_u32_e32 v150, v150, v13
	s_delay_alu instid0(VALU_DEP_4) | instskip(NEXT) | instid1(VALU_DEP_4)
	v_and_b32_e32 v149, v151, v149
	v_bfe_u32 v161, v160, 20, 1
	s_delay_alu instid0(VALU_DEP_2) | instskip(NEXT) | instid1(VALU_DEP_2)
	v_cmp_eq_u32_e64 s14, v149, v162
	v_add_nc_u32_e32 v151, -1, v161
	s_delay_alu instid0(VALU_DEP_1) | instskip(SKIP_2) | instid1(VALU_DEP_2)
	v_cndmask_b32_e64 v149, 0, v151, s14
	v_lshrrev_b32_e32 v151, 23, v160
	s_mov_b32 s14, exec_lo
	v_add_nc_u32_e32 v149, v149, v160
	s_delay_alu instid0(VALU_DEP_2) | instskip(NEXT) | instid1(VALU_DEP_2)
	v_xor_b32_e32 v151, 1, v151
	v_and_b32_e32 v13, 0xfffff, v149
	s_delay_alu instid0(VALU_DEP_1) | instskip(NEXT) | instid1(VALU_DEP_3)
	v_add_nc_u32_e32 v149, v13, v160
                                        ; implicit-def: $vgpr13
	v_cmpx_ne_u32_e64 v150, v151
	s_xor_b32 s14, exec_lo, s14
; %bb.532:                              ;   in Loop: Header=BB2_393 Depth=4
	s_delay_alu instid0(VALU_DEP_2) | instskip(SKIP_1) | instid1(VALU_DEP_2)
	v_cmp_lt_u32_e64 s13, 0xffffff, v149
	v_sub_nc_u32_e32 v13, v150, v151
	v_cndmask_b32_e64 v150, 0, 1, s13
	s_delay_alu instid0(VALU_DEP_2) | instskip(NEXT) | instid1(VALU_DEP_2)
	v_add_co_ci_u32_e64 v13, s13, 0, v13, s13
	v_lshrrev_b32_e32 v149, v150, v149
; %bb.533:                              ;   in Loop: Header=BB2_393 Depth=4
	s_and_not1_saveexec_b32 s13, s14
; %bb.534:                              ;   in Loop: Header=BB2_393 Depth=4
	s_delay_alu instid0(VALU_DEP_1)
	v_bfe_u32 v13, v149, 23, 1
; %bb.535:                              ;   in Loop: Header=BB2_393 Depth=4
	s_or_b32 exec_lo, exec_lo, s13
	v_lshrrev_b32_e32 v149, 20, v149
	s_delay_alu instid0(VALU_DEP_2) | instskip(SKIP_2) | instid1(VALU_DEP_3)
	v_cmp_gt_i32_e64 s13, 16, v13
	v_lshrrev_b32_e32 v148, 24, v148
	v_min_i32_e32 v150, 15, v13
	v_cndmask_b32_e64 v149, 7, v149, s13
	s_delay_alu instid0(VALU_DEP_3) | instskip(NEXT) | instid1(VALU_DEP_3)
	v_and_b32_e32 v148, 0x80, v148
	v_lshlrev_b32_e32 v150, 3, v150
	s_delay_alu instid0(VALU_DEP_3) | instskip(SKIP_1) | instid1(VALU_DEP_2)
	v_and_b32_e32 v151, 7, v149
	v_or_b32_e32 v13, v13, v149
	v_or3_b32 v148, v150, v148, v151
	s_delay_alu instid0(VALU_DEP_2) | instskip(NEXT) | instid1(VALU_DEP_1)
	v_cmp_ne_u32_e64 s13, 0, v13
	v_cndmask_b32_e64 v13, 0, v148, s13
.LBB2_536:                              ;   in Loop: Header=BB2_393 Depth=4
	s_or_b32 exec_lo, exec_lo, s24
.LBB2_537:                              ;   in Loop: Header=BB2_393 Depth=4
	s_delay_alu instid0(SALU_CYCLE_1) | instskip(SKIP_3) | instid1(VALU_DEP_1)
	s_or_b32 exec_lo, exec_lo, s3
	v_lshrrev_b16 v149, 8, v14
	s_mov_b32 s3, 0
	s_mov_b32 s24, exec_lo
                                        ; implicit-def: $sgpr14
	v_cmpx_lt_i16_e64 0x7f, v149
	s_xor_b32 s24, exec_lo, s24
	s_cbranch_execnz .LBB2_719
; %bb.538:                              ;   in Loop: Header=BB2_393 Depth=4
	s_or_saveexec_b32 s24, s24
	v_mov_b32_e32 v148, s14
	s_xor_b32 exec_lo, exec_lo, s24
	s_cbranch_execnz .LBB2_722
.LBB2_539:                              ;   in Loop: Header=BB2_393 Depth=4
	s_or_b32 exec_lo, exec_lo, s24
	s_and_saveexec_b32 s14, s3
	s_cbranch_execz .LBB2_541
.LBB2_540:                              ;   in Loop: Header=BB2_393 Depth=4
	v_and_b32_e32 v148, 0xffff, v149
	v_lshlrev_b32_e32 v149, 24, v149
	s_delay_alu instid0(VALU_DEP_2) | instskip(NEXT) | instid1(VALU_DEP_2)
	v_and_b32_e32 v150, 7, v148
	v_and_b32_e32 v149, 0x80000000, v149
	s_delay_alu instid0(VALU_DEP_2) | instskip(NEXT) | instid1(VALU_DEP_1)
	v_clz_i32_u32_e32 v151, v150
	v_min_u32_e32 v151, 32, v151
	s_delay_alu instid0(VALU_DEP_1) | instskip(SKIP_1) | instid1(VALU_DEP_2)
	v_subrev_nc_u32_e32 v160, 28, v151
	v_sub_nc_u32_e32 v151, 29, v151
	v_lshlrev_b32_e32 v160, v160, v148
	v_bfe_u32 v148, v148, 3, 4
	s_delay_alu instid0(VALU_DEP_2) | instskip(NEXT) | instid1(VALU_DEP_2)
	v_and_b32_e32 v160, 7, v160
	v_cmp_eq_u32_e64 s13, 0, v148
	s_delay_alu instid0(VALU_DEP_1) | instskip(NEXT) | instid1(VALU_DEP_3)
	v_cndmask_b32_e64 v148, v148, v151, s13
	v_cndmask_b32_e64 v150, v150, v160, s13
	s_delay_alu instid0(VALU_DEP_2) | instskip(NEXT) | instid1(VALU_DEP_2)
	v_lshl_add_u32 v148, v148, 23, 0x3b800000
	v_lshlrev_b32_e32 v150, 20, v150
	s_delay_alu instid0(VALU_DEP_1)
	v_or3_b32 v148, v149, v148, v150
.LBB2_541:                              ;   in Loop: Header=BB2_393 Depth=4
	s_or_b32 exec_lo, exec_lo, s14
	v_lshrrev_b16 v149, 8, v10
	s_mov_b32 s3, 0
	s_mov_b32 s24, exec_lo
                                        ; implicit-def: $sgpr14
	s_delay_alu instid0(VALU_DEP_1)
	v_cmpx_lt_i16_e64 0x7f, v149
	s_xor_b32 s24, exec_lo, s24
	s_cbranch_execnz .LBB2_723
; %bb.542:                              ;   in Loop: Header=BB2_393 Depth=4
	s_or_saveexec_b32 s24, s24
	v_mov_b32_e32 v150, s14
	s_xor_b32 exec_lo, exec_lo, s24
	s_cbranch_execnz .LBB2_726
.LBB2_543:                              ;   in Loop: Header=BB2_393 Depth=4
	s_or_b32 exec_lo, exec_lo, s24
	s_and_saveexec_b32 s14, s3
	s_cbranch_execz .LBB2_545
.LBB2_544:                              ;   in Loop: Header=BB2_393 Depth=4
	v_and_b32_e32 v150, 0xffff, v149
	v_lshlrev_b32_e32 v149, 24, v149
	s_delay_alu instid0(VALU_DEP_2) | instskip(NEXT) | instid1(VALU_DEP_2)
	v_and_b32_e32 v151, 7, v150
	v_and_b32_e32 v149, 0x80000000, v149
	s_delay_alu instid0(VALU_DEP_2) | instskip(NEXT) | instid1(VALU_DEP_1)
	v_clz_i32_u32_e32 v160, v151
	v_min_u32_e32 v160, 32, v160
	s_delay_alu instid0(VALU_DEP_1) | instskip(SKIP_1) | instid1(VALU_DEP_2)
	v_subrev_nc_u32_e32 v161, 28, v160
	v_sub_nc_u32_e32 v160, 29, v160
	v_lshlrev_b32_e32 v161, v161, v150
	v_bfe_u32 v150, v150, 3, 4
	s_delay_alu instid0(VALU_DEP_2) | instskip(NEXT) | instid1(VALU_DEP_2)
	v_and_b32_e32 v161, 7, v161
	v_cmp_eq_u32_e64 s13, 0, v150
	s_delay_alu instid0(VALU_DEP_1) | instskip(NEXT) | instid1(VALU_DEP_3)
	v_cndmask_b32_e64 v150, v150, v160, s13
	v_cndmask_b32_e64 v151, v151, v161, s13
	s_delay_alu instid0(VALU_DEP_2) | instskip(NEXT) | instid1(VALU_DEP_2)
	v_lshl_add_u32 v150, v150, 23, 0x3b800000
	v_lshlrev_b32_e32 v151, 20, v151
	s_delay_alu instid0(VALU_DEP_1)
	v_or3_b32 v150, v149, v150, v151
.LBB2_545:                              ;   in Loop: Header=BB2_393 Depth=4
	s_or_b32 exec_lo, exec_lo, s14
	s_delay_alu instid0(VALU_DEP_1) | instskip(NEXT) | instid1(VALU_DEP_1)
	v_add_f32_e32 v149, v148, v150
	v_and_b32_e32 v148, 0x7f800000, v149
	s_delay_alu instid0(VALU_DEP_1) | instskip(SKIP_1) | instid1(VALU_DEP_2)
	v_cmp_ne_u32_e64 s13, 0x7f800000, v148
	v_mov_b32_e32 v148, 0x80
	s_and_saveexec_b32 s3, s13
	s_cbranch_execz .LBB2_553
; %bb.546:                              ;   in Loop: Header=BB2_393 Depth=4
	v_mov_b32_e32 v148, 0
	s_mov_b32 s24, exec_lo
	v_cmpx_ne_u32_e32 0, v149
	s_cbranch_execz .LBB2_552
; %bb.547:                              ;   in Loop: Header=BB2_393 Depth=4
	v_bfe_u32 v148, v149, 23, 8
	v_and_b32_e32 v150, 0x7fffff, v149
	s_delay_alu instid0(VALU_DEP_2) | instskip(SKIP_1) | instid1(VALU_DEP_3)
	v_sub_nc_u32_e32 v151, 0x78, v148
	v_cmp_gt_u32_e64 s13, 0x79, v148
	v_or_b32_e32 v160, 0x800000, v150
	s_delay_alu instid0(VALU_DEP_2) | instskip(SKIP_2) | instid1(VALU_DEP_2)
	v_cndmask_b32_e64 v151, 0, v151, s13
	v_cmp_eq_u32_e64 s13, 0, v148
	v_add_nc_u32_e32 v148, 0xffffff89, v148
	v_cndmask_b32_e64 v151, v151, 0x77, s13
	v_cndmask_b32_e64 v150, v160, v150, s13
	s_delay_alu instid0(VALU_DEP_3) | instskip(NEXT) | instid1(VALU_DEP_3)
	v_cndmask_b32_e64 v148, v148, 0xffffff8a, s13
	v_lshl_add_u32 v160, 0x100000, v151, -1
	s_delay_alu instid0(VALU_DEP_3) | instskip(SKIP_1) | instid1(VALU_DEP_4)
	v_lshrrev_b32_e32 v161, v151, v150
	v_lshlrev_b32_e64 v163, v151, 0x80000
	v_add_nc_u32_e32 v151, v151, v148
	s_delay_alu instid0(VALU_DEP_4) | instskip(NEXT) | instid1(VALU_DEP_4)
	v_and_b32_e32 v150, v160, v150
	v_bfe_u32 v162, v161, 20, 1
	s_delay_alu instid0(VALU_DEP_2) | instskip(NEXT) | instid1(VALU_DEP_2)
	v_cmp_eq_u32_e64 s14, v150, v163
	v_add_nc_u32_e32 v160, -1, v162
	s_delay_alu instid0(VALU_DEP_1) | instskip(SKIP_2) | instid1(VALU_DEP_2)
	v_cndmask_b32_e64 v150, 0, v160, s14
	v_lshrrev_b32_e32 v160, 23, v161
	s_mov_b32 s14, exec_lo
	v_add_nc_u32_e32 v150, v150, v161
	s_delay_alu instid0(VALU_DEP_2) | instskip(NEXT) | instid1(VALU_DEP_2)
	v_xor_b32_e32 v160, 1, v160
	v_and_b32_e32 v148, 0xfffff, v150
	s_delay_alu instid0(VALU_DEP_1) | instskip(NEXT) | instid1(VALU_DEP_3)
	v_add_nc_u32_e32 v150, v148, v161
                                        ; implicit-def: $vgpr148
	v_cmpx_ne_u32_e64 v151, v160
	s_xor_b32 s14, exec_lo, s14
; %bb.548:                              ;   in Loop: Header=BB2_393 Depth=4
	s_delay_alu instid0(VALU_DEP_2) | instskip(SKIP_1) | instid1(VALU_DEP_2)
	v_cmp_lt_u32_e64 s13, 0xffffff, v150
	v_sub_nc_u32_e32 v148, v151, v160
	v_cndmask_b32_e64 v151, 0, 1, s13
	s_delay_alu instid0(VALU_DEP_2) | instskip(NEXT) | instid1(VALU_DEP_2)
	v_add_co_ci_u32_e64 v148, s13, 0, v148, s13
	v_lshrrev_b32_e32 v150, v151, v150
; %bb.549:                              ;   in Loop: Header=BB2_393 Depth=4
	s_and_not1_saveexec_b32 s13, s14
; %bb.550:                              ;   in Loop: Header=BB2_393 Depth=4
	s_delay_alu instid0(VALU_DEP_1)
	v_bfe_u32 v148, v150, 23, 1
; %bb.551:                              ;   in Loop: Header=BB2_393 Depth=4
	s_or_b32 exec_lo, exec_lo, s13
	v_lshrrev_b32_e32 v150, 20, v150
	s_delay_alu instid0(VALU_DEP_2) | instskip(SKIP_2) | instid1(VALU_DEP_3)
	v_cmp_gt_i32_e64 s13, 16, v148
	v_lshrrev_b32_e32 v149, 24, v149
	v_min_i32_e32 v151, 15, v148
	v_cndmask_b32_e64 v150, 7, v150, s13
	s_delay_alu instid0(VALU_DEP_3) | instskip(NEXT) | instid1(VALU_DEP_3)
	v_and_b32_e32 v149, 0x80, v149
	v_lshlrev_b32_e32 v151, 3, v151
	s_delay_alu instid0(VALU_DEP_3) | instskip(SKIP_1) | instid1(VALU_DEP_2)
	v_and_b32_e32 v160, 7, v150
	v_or_b32_e32 v148, v148, v150
	v_or3_b32 v149, v151, v149, v160
	s_delay_alu instid0(VALU_DEP_2) | instskip(NEXT) | instid1(VALU_DEP_1)
	v_cmp_ne_u32_e64 s13, 0, v148
	v_cndmask_b32_e64 v148, 0, v149, s13
.LBB2_552:                              ;   in Loop: Header=BB2_393 Depth=4
	s_or_b32 exec_lo, exec_lo, s24
.LBB2_553:                              ;   in Loop: Header=BB2_393 Depth=4
	s_delay_alu instid0(SALU_CYCLE_1) | instskip(SKIP_3) | instid1(VALU_DEP_1)
	s_or_b32 exec_lo, exec_lo, s3
	v_lshrrev_b32_e32 v150, 16, v14
	s_mov_b32 s3, 0
	s_mov_b32 s24, exec_lo
                                        ; implicit-def: $sgpr14
	v_and_b32_e32 v151, 0xff, v150
	s_delay_alu instid0(VALU_DEP_1)
	v_cmpx_lt_i16_e64 0x7f, v151
	s_xor_b32 s24, exec_lo, s24
	s_cbranch_execnz .LBB2_727
; %bb.554:                              ;   in Loop: Header=BB2_393 Depth=4
	s_or_saveexec_b32 s24, s24
	v_mov_b32_e32 v149, s14
	s_xor_b32 exec_lo, exec_lo, s24
	s_cbranch_execnz .LBB2_730
.LBB2_555:                              ;   in Loop: Header=BB2_393 Depth=4
	s_or_b32 exec_lo, exec_lo, s24
	s_and_saveexec_b32 s14, s3
	s_cbranch_execz .LBB2_557
.LBB2_556:                              ;   in Loop: Header=BB2_393 Depth=4
	v_bfe_u32 v149, v14, 16, 3
	v_lshlrev_b32_e32 v161, 8, v14
	s_delay_alu instid0(VALU_DEP_2) | instskip(NEXT) | instid1(VALU_DEP_1)
	v_clz_i32_u32_e32 v151, v149
	v_min_u32_e32 v151, 32, v151
	s_delay_alu instid0(VALU_DEP_1) | instskip(SKIP_1) | instid1(VALU_DEP_2)
	v_subrev_nc_u32_e32 v160, 28, v151
	v_sub_nc_u32_e32 v151, 29, v151
	v_lshlrev_b32_e32 v150, v160, v150
	v_bfe_u32 v160, v14, 19, 4
	s_delay_alu instid0(VALU_DEP_2) | instskip(NEXT) | instid1(VALU_DEP_2)
	v_and_b32_e32 v150, 7, v150
	v_cmp_eq_u32_e64 s13, 0, v160
	s_delay_alu instid0(VALU_DEP_1) | instskip(NEXT) | instid1(VALU_DEP_3)
	v_cndmask_b32_e64 v151, v160, v151, s13
	v_cndmask_b32_e64 v149, v149, v150, s13
	v_and_b32_e32 v150, 0x80000000, v161
	s_delay_alu instid0(VALU_DEP_3) | instskip(NEXT) | instid1(VALU_DEP_3)
	v_lshl_add_u32 v151, v151, 23, 0x3b800000
	v_lshlrev_b32_e32 v149, 20, v149
	s_delay_alu instid0(VALU_DEP_1)
	v_or3_b32 v149, v150, v151, v149
.LBB2_557:                              ;   in Loop: Header=BB2_393 Depth=4
	s_or_b32 exec_lo, exec_lo, s14
	v_lshrrev_b32_e32 v150, 16, v10
	s_mov_b32 s3, 0
	s_mov_b32 s24, exec_lo
                                        ; implicit-def: $sgpr14
	s_delay_alu instid0(VALU_DEP_1) | instskip(NEXT) | instid1(VALU_DEP_1)
	v_and_b32_e32 v160, 0xff, v150
	v_cmpx_lt_i16_e64 0x7f, v160
	s_xor_b32 s24, exec_lo, s24
	s_cbranch_execnz .LBB2_731
; %bb.558:                              ;   in Loop: Header=BB2_393 Depth=4
	s_or_saveexec_b32 s24, s24
	v_mov_b32_e32 v151, s14
	s_xor_b32 exec_lo, exec_lo, s24
	s_cbranch_execnz .LBB2_734
.LBB2_559:                              ;   in Loop: Header=BB2_393 Depth=4
	s_or_b32 exec_lo, exec_lo, s24
	s_and_saveexec_b32 s14, s3
	s_cbranch_execz .LBB2_561
.LBB2_560:                              ;   in Loop: Header=BB2_393 Depth=4
	v_bfe_u32 v151, v10, 16, 3
	v_lshlrev_b32_e32 v162, 8, v10
	s_delay_alu instid0(VALU_DEP_2) | instskip(NEXT) | instid1(VALU_DEP_1)
	v_clz_i32_u32_e32 v160, v151
	v_min_u32_e32 v160, 32, v160
	s_delay_alu instid0(VALU_DEP_1) | instskip(SKIP_1) | instid1(VALU_DEP_2)
	v_subrev_nc_u32_e32 v161, 28, v160
	v_sub_nc_u32_e32 v160, 29, v160
	v_lshlrev_b32_e32 v150, v161, v150
	v_bfe_u32 v161, v10, 19, 4
	s_delay_alu instid0(VALU_DEP_2) | instskip(NEXT) | instid1(VALU_DEP_2)
	v_and_b32_e32 v150, 7, v150
	v_cmp_eq_u32_e64 s13, 0, v161
	s_delay_alu instid0(VALU_DEP_1) | instskip(NEXT) | instid1(VALU_DEP_3)
	v_cndmask_b32_e64 v160, v161, v160, s13
	v_cndmask_b32_e64 v150, v151, v150, s13
	v_and_b32_e32 v151, 0x80000000, v162
	s_delay_alu instid0(VALU_DEP_3) | instskip(NEXT) | instid1(VALU_DEP_3)
	v_lshl_add_u32 v160, v160, 23, 0x3b800000
	v_lshlrev_b32_e32 v150, 20, v150
	s_delay_alu instid0(VALU_DEP_1)
	v_or3_b32 v151, v151, v160, v150
.LBB2_561:                              ;   in Loop: Header=BB2_393 Depth=4
	s_or_b32 exec_lo, exec_lo, s14
	s_delay_alu instid0(VALU_DEP_1) | instskip(NEXT) | instid1(VALU_DEP_1)
	v_add_f32_e32 v150, v149, v151
	v_and_b32_e32 v149, 0x7f800000, v150
	s_delay_alu instid0(VALU_DEP_1) | instskip(SKIP_1) | instid1(VALU_DEP_2)
	v_cmp_ne_u32_e64 s13, 0x7f800000, v149
	v_mov_b32_e32 v149, 0x80
	s_and_saveexec_b32 s3, s13
	s_cbranch_execz .LBB2_569
; %bb.562:                              ;   in Loop: Header=BB2_393 Depth=4
	v_mov_b32_e32 v149, 0
	s_mov_b32 s24, exec_lo
	v_cmpx_ne_u32_e32 0, v150
	s_cbranch_execz .LBB2_568
; %bb.563:                              ;   in Loop: Header=BB2_393 Depth=4
	v_bfe_u32 v149, v150, 23, 8
	v_and_b32_e32 v151, 0x7fffff, v150
	s_delay_alu instid0(VALU_DEP_2) | instskip(SKIP_1) | instid1(VALU_DEP_3)
	v_sub_nc_u32_e32 v160, 0x78, v149
	v_cmp_gt_u32_e64 s13, 0x79, v149
	v_or_b32_e32 v161, 0x800000, v151
	s_delay_alu instid0(VALU_DEP_2) | instskip(SKIP_2) | instid1(VALU_DEP_2)
	v_cndmask_b32_e64 v160, 0, v160, s13
	v_cmp_eq_u32_e64 s13, 0, v149
	v_add_nc_u32_e32 v149, 0xffffff89, v149
	v_cndmask_b32_e64 v160, v160, 0x77, s13
	v_cndmask_b32_e64 v151, v161, v151, s13
	s_delay_alu instid0(VALU_DEP_3) | instskip(NEXT) | instid1(VALU_DEP_3)
	v_cndmask_b32_e64 v149, v149, 0xffffff8a, s13
	v_lshl_add_u32 v161, 0x100000, v160, -1
	s_delay_alu instid0(VALU_DEP_3) | instskip(SKIP_1) | instid1(VALU_DEP_4)
	v_lshrrev_b32_e32 v162, v160, v151
	v_lshlrev_b32_e64 v164, v160, 0x80000
	v_add_nc_u32_e32 v160, v160, v149
	s_delay_alu instid0(VALU_DEP_4) | instskip(NEXT) | instid1(VALU_DEP_4)
	v_and_b32_e32 v151, v161, v151
	v_bfe_u32 v163, v162, 20, 1
	s_delay_alu instid0(VALU_DEP_2) | instskip(NEXT) | instid1(VALU_DEP_2)
	v_cmp_eq_u32_e64 s14, v151, v164
	v_add_nc_u32_e32 v161, -1, v163
	s_delay_alu instid0(VALU_DEP_1) | instskip(SKIP_2) | instid1(VALU_DEP_2)
	v_cndmask_b32_e64 v151, 0, v161, s14
	v_lshrrev_b32_e32 v161, 23, v162
	s_mov_b32 s14, exec_lo
	v_add_nc_u32_e32 v151, v151, v162
	s_delay_alu instid0(VALU_DEP_2) | instskip(NEXT) | instid1(VALU_DEP_2)
	v_xor_b32_e32 v161, 1, v161
	v_and_b32_e32 v149, 0xfffff, v151
	s_delay_alu instid0(VALU_DEP_1) | instskip(NEXT) | instid1(VALU_DEP_3)
	v_add_nc_u32_e32 v151, v149, v162
                                        ; implicit-def: $vgpr149
	v_cmpx_ne_u32_e64 v160, v161
	s_xor_b32 s14, exec_lo, s14
; %bb.564:                              ;   in Loop: Header=BB2_393 Depth=4
	s_delay_alu instid0(VALU_DEP_2) | instskip(SKIP_1) | instid1(VALU_DEP_2)
	v_cmp_lt_u32_e64 s13, 0xffffff, v151
	v_sub_nc_u32_e32 v149, v160, v161
	v_cndmask_b32_e64 v160, 0, 1, s13
	s_delay_alu instid0(VALU_DEP_2) | instskip(NEXT) | instid1(VALU_DEP_2)
	v_add_co_ci_u32_e64 v149, s13, 0, v149, s13
	v_lshrrev_b32_e32 v151, v160, v151
; %bb.565:                              ;   in Loop: Header=BB2_393 Depth=4
	s_and_not1_saveexec_b32 s13, s14
; %bb.566:                              ;   in Loop: Header=BB2_393 Depth=4
	s_delay_alu instid0(VALU_DEP_1)
	v_bfe_u32 v149, v151, 23, 1
; %bb.567:                              ;   in Loop: Header=BB2_393 Depth=4
	s_or_b32 exec_lo, exec_lo, s13
	v_lshrrev_b32_e32 v151, 20, v151
	s_delay_alu instid0(VALU_DEP_2) | instskip(SKIP_2) | instid1(VALU_DEP_3)
	v_cmp_gt_i32_e64 s13, 16, v149
	v_lshrrev_b32_e32 v150, 24, v150
	v_min_i32_e32 v160, 15, v149
	v_cndmask_b32_e64 v151, 7, v151, s13
	s_delay_alu instid0(VALU_DEP_3) | instskip(NEXT) | instid1(VALU_DEP_3)
	v_and_b32_e32 v150, 0x80, v150
	v_lshlrev_b32_e32 v160, 3, v160
	s_delay_alu instid0(VALU_DEP_3) | instskip(SKIP_1) | instid1(VALU_DEP_2)
	v_and_b32_e32 v161, 7, v151
	v_or_b32_e32 v149, v149, v151
	v_or3_b32 v150, v160, v150, v161
	s_delay_alu instid0(VALU_DEP_2) | instskip(NEXT) | instid1(VALU_DEP_1)
	v_cmp_ne_u32_e64 s13, 0, v149
	v_cndmask_b32_e64 v149, 0, v150, s13
.LBB2_568:                              ;   in Loop: Header=BB2_393 Depth=4
	s_or_b32 exec_lo, exec_lo, s24
.LBB2_569:                              ;   in Loop: Header=BB2_393 Depth=4
	s_delay_alu instid0(SALU_CYCLE_1) | instskip(SKIP_3) | instid1(VALU_DEP_1)
	s_or_b32 exec_lo, exec_lo, s3
	v_lshrrev_b32_e32 v151, 24, v14
	s_mov_b32 s3, 0
	s_mov_b32 s24, exec_lo
                                        ; implicit-def: $sgpr14
	v_cmpx_lt_i16_e64 0x7f, v151
	s_xor_b32 s24, exec_lo, s24
	s_cbranch_execnz .LBB2_735
; %bb.570:                              ;   in Loop: Header=BB2_393 Depth=4
	s_or_saveexec_b32 s24, s24
	v_mov_b32_e32 v150, s14
	s_xor_b32 exec_lo, exec_lo, s24
	s_cbranch_execnz .LBB2_738
.LBB2_571:                              ;   in Loop: Header=BB2_393 Depth=4
	s_or_b32 exec_lo, exec_lo, s24
	s_and_saveexec_b32 s14, s3
	s_cbranch_execz .LBB2_573
.LBB2_572:                              ;   in Loop: Header=BB2_393 Depth=4
	v_bfe_u32 v150, v14, 24, 3
	s_delay_alu instid0(VALU_DEP_1) | instskip(NEXT) | instid1(VALU_DEP_1)
	v_clz_i32_u32_e32 v160, v150
	v_min_u32_e32 v160, 32, v160
	s_delay_alu instid0(VALU_DEP_1) | instskip(SKIP_1) | instid1(VALU_DEP_2)
	v_subrev_nc_u32_e32 v161, 28, v160
	v_sub_nc_u32_e32 v160, 29, v160
	v_lshlrev_b32_e32 v151, v161, v151
	v_bfe_u32 v161, v14, 27, 4
	v_and_b32_e32 v14, 0x80000000, v14
	s_delay_alu instid0(VALU_DEP_3) | instskip(NEXT) | instid1(VALU_DEP_3)
	v_and_b32_e32 v151, 7, v151
	v_cmp_eq_u32_e64 s13, 0, v161
	s_delay_alu instid0(VALU_DEP_1) | instskip(NEXT) | instid1(VALU_DEP_3)
	v_cndmask_b32_e64 v160, v161, v160, s13
	v_cndmask_b32_e64 v150, v150, v151, s13
	s_delay_alu instid0(VALU_DEP_2) | instskip(NEXT) | instid1(VALU_DEP_2)
	v_lshl_add_u32 v151, v160, 23, 0x3b800000
	v_lshlrev_b32_e32 v150, 20, v150
	s_delay_alu instid0(VALU_DEP_1)
	v_or3_b32 v150, v14, v151, v150
.LBB2_573:                              ;   in Loop: Header=BB2_393 Depth=4
	s_or_b32 exec_lo, exec_lo, s14
	v_lshrrev_b32_e32 v14, 24, v10
	s_mov_b32 s3, 0
	s_mov_b32 s24, exec_lo
                                        ; implicit-def: $sgpr14
	s_delay_alu instid0(VALU_DEP_1)
	v_cmpx_lt_i16_e32 0x7f, v14
	s_xor_b32 s24, exec_lo, s24
	s_cbranch_execnz .LBB2_739
; %bb.574:                              ;   in Loop: Header=BB2_393 Depth=4
	s_or_saveexec_b32 s24, s24
	v_mov_b32_e32 v151, s14
	s_xor_b32 exec_lo, exec_lo, s24
	s_cbranch_execnz .LBB2_742
.LBB2_575:                              ;   in Loop: Header=BB2_393 Depth=4
	s_or_b32 exec_lo, exec_lo, s24
	s_and_saveexec_b32 s14, s3
	s_cbranch_execz .LBB2_577
.LBB2_576:                              ;   in Loop: Header=BB2_393 Depth=4
	v_bfe_u32 v151, v10, 24, 3
	s_delay_alu instid0(VALU_DEP_1) | instskip(NEXT) | instid1(VALU_DEP_1)
	v_clz_i32_u32_e32 v160, v151
	v_min_u32_e32 v160, 32, v160
	s_delay_alu instid0(VALU_DEP_1) | instskip(SKIP_1) | instid1(VALU_DEP_2)
	v_subrev_nc_u32_e32 v161, 28, v160
	v_sub_nc_u32_e32 v160, 29, v160
	v_lshlrev_b32_e32 v14, v161, v14
	v_bfe_u32 v161, v10, 27, 4
	v_and_b32_e32 v10, 0x80000000, v10
	s_delay_alu instid0(VALU_DEP_3) | instskip(NEXT) | instid1(VALU_DEP_3)
	v_and_b32_e32 v14, 7, v14
	v_cmp_eq_u32_e64 s13, 0, v161
	s_delay_alu instid0(VALU_DEP_1) | instskip(NEXT) | instid1(VALU_DEP_3)
	v_cndmask_b32_e64 v160, v161, v160, s13
	v_cndmask_b32_e64 v14, v151, v14, s13
	s_delay_alu instid0(VALU_DEP_2) | instskip(NEXT) | instid1(VALU_DEP_2)
	v_lshl_add_u32 v151, v160, 23, 0x3b800000
	v_lshlrev_b32_e32 v14, 20, v14
	s_delay_alu instid0(VALU_DEP_1)
	v_or3_b32 v151, v10, v151, v14
.LBB2_577:                              ;   in Loop: Header=BB2_393 Depth=4
	s_or_b32 exec_lo, exec_lo, s14
	s_delay_alu instid0(VALU_DEP_1) | instskip(NEXT) | instid1(VALU_DEP_1)
	v_add_f32_e32 v14, v150, v151
	v_and_b32_e32 v10, 0x7f800000, v14
	s_delay_alu instid0(VALU_DEP_1) | instskip(SKIP_1) | instid1(VALU_DEP_2)
	v_cmp_ne_u32_e64 s13, 0x7f800000, v10
	v_mov_b32_e32 v10, 0x80
	s_and_saveexec_b32 s3, s13
	s_cbranch_execz .LBB2_585
; %bb.578:                              ;   in Loop: Header=BB2_393 Depth=4
	v_mov_b32_e32 v10, 0
	s_mov_b32 s24, exec_lo
	v_cmpx_ne_u32_e32 0, v14
	s_cbranch_execz .LBB2_584
; %bb.579:                              ;   in Loop: Header=BB2_393 Depth=4
	v_bfe_u32 v10, v14, 23, 8
	v_and_b32_e32 v150, 0x7fffff, v14
	s_delay_alu instid0(VALU_DEP_2) | instskip(SKIP_1) | instid1(VALU_DEP_3)
	v_sub_nc_u32_e32 v151, 0x78, v10
	v_cmp_gt_u32_e64 s13, 0x79, v10
	v_or_b32_e32 v160, 0x800000, v150
	s_delay_alu instid0(VALU_DEP_2) | instskip(SKIP_2) | instid1(VALU_DEP_2)
	v_cndmask_b32_e64 v151, 0, v151, s13
	v_cmp_eq_u32_e64 s13, 0, v10
	v_add_nc_u32_e32 v10, 0xffffff89, v10
	v_cndmask_b32_e64 v151, v151, 0x77, s13
	v_cndmask_b32_e64 v150, v160, v150, s13
	s_delay_alu instid0(VALU_DEP_3) | instskip(NEXT) | instid1(VALU_DEP_3)
	v_cndmask_b32_e64 v10, v10, 0xffffff8a, s13
	v_lshl_add_u32 v160, 0x100000, v151, -1
	s_delay_alu instid0(VALU_DEP_3) | instskip(SKIP_1) | instid1(VALU_DEP_4)
	v_lshrrev_b32_e32 v161, v151, v150
	v_lshlrev_b32_e64 v163, v151, 0x80000
	v_add_nc_u32_e32 v151, v151, v10
	s_delay_alu instid0(VALU_DEP_4) | instskip(NEXT) | instid1(VALU_DEP_4)
	v_and_b32_e32 v150, v160, v150
	v_bfe_u32 v162, v161, 20, 1
	s_delay_alu instid0(VALU_DEP_2) | instskip(NEXT) | instid1(VALU_DEP_2)
	v_cmp_eq_u32_e64 s14, v150, v163
	v_add_nc_u32_e32 v160, -1, v162
	s_delay_alu instid0(VALU_DEP_1) | instskip(SKIP_2) | instid1(VALU_DEP_2)
	v_cndmask_b32_e64 v150, 0, v160, s14
	v_lshrrev_b32_e32 v160, 23, v161
	s_mov_b32 s14, exec_lo
	v_add_nc_u32_e32 v150, v150, v161
	s_delay_alu instid0(VALU_DEP_2) | instskip(NEXT) | instid1(VALU_DEP_2)
	v_xor_b32_e32 v160, 1, v160
	v_and_b32_e32 v10, 0xfffff, v150
	s_delay_alu instid0(VALU_DEP_1) | instskip(NEXT) | instid1(VALU_DEP_3)
	v_add_nc_u32_e32 v150, v10, v161
                                        ; implicit-def: $vgpr10
	v_cmpx_ne_u32_e64 v151, v160
	s_xor_b32 s14, exec_lo, s14
; %bb.580:                              ;   in Loop: Header=BB2_393 Depth=4
	s_delay_alu instid0(VALU_DEP_2) | instskip(SKIP_1) | instid1(VALU_DEP_2)
	v_cmp_lt_u32_e64 s13, 0xffffff, v150
	v_sub_nc_u32_e32 v10, v151, v160
	v_cndmask_b32_e64 v151, 0, 1, s13
	s_delay_alu instid0(VALU_DEP_2) | instskip(NEXT) | instid1(VALU_DEP_2)
	v_add_co_ci_u32_e64 v10, s13, 0, v10, s13
	v_lshrrev_b32_e32 v150, v151, v150
; %bb.581:                              ;   in Loop: Header=BB2_393 Depth=4
	s_and_not1_saveexec_b32 s13, s14
; %bb.582:                              ;   in Loop: Header=BB2_393 Depth=4
	s_delay_alu instid0(VALU_DEP_1)
	v_bfe_u32 v10, v150, 23, 1
; %bb.583:                              ;   in Loop: Header=BB2_393 Depth=4
	s_or_b32 exec_lo, exec_lo, s13
	v_lshrrev_b32_e32 v150, 20, v150
	s_delay_alu instid0(VALU_DEP_2) | instskip(SKIP_2) | instid1(VALU_DEP_3)
	v_cmp_gt_i32_e64 s13, 16, v10
	v_lshrrev_b32_e32 v14, 24, v14
	v_min_i32_e32 v151, 15, v10
	v_cndmask_b32_e64 v150, 7, v150, s13
	s_delay_alu instid0(VALU_DEP_3) | instskip(NEXT) | instid1(VALU_DEP_3)
	v_and_b32_e32 v14, 0x80, v14
	v_lshlrev_b32_e32 v151, 3, v151
	s_delay_alu instid0(VALU_DEP_3) | instskip(SKIP_1) | instid1(VALU_DEP_2)
	v_and_b32_e32 v160, 7, v150
	v_or_b32_e32 v10, v10, v150
	v_or3_b32 v14, v151, v14, v160
	s_delay_alu instid0(VALU_DEP_2) | instskip(NEXT) | instid1(VALU_DEP_1)
	v_cmp_ne_u32_e64 s13, 0, v10
	v_cndmask_b32_e64 v10, 0, v14, s13
.LBB2_584:                              ;   in Loop: Header=BB2_393 Depth=4
	s_or_b32 exec_lo, exec_lo, s24
.LBB2_585:                              ;   in Loop: Header=BB2_393 Depth=4
	s_delay_alu instid0(SALU_CYCLE_1) | instskip(SKIP_3) | instid1(VALU_DEP_1)
	s_or_b32 exec_lo, exec_lo, s3
	v_and_b32_e32 v150, 0xff, v15
	s_mov_b32 s3, 0
	s_mov_b32 s24, exec_lo
                                        ; implicit-def: $sgpr14
	v_cmpx_lt_i16_e64 0x7f, v150
	s_xor_b32 s24, exec_lo, s24
	s_cbranch_execnz .LBB2_743
; %bb.586:                              ;   in Loop: Header=BB2_393 Depth=4
	s_or_saveexec_b32 s24, s24
	v_mov_b32_e32 v14, s14
	s_xor_b32 exec_lo, exec_lo, s24
	s_cbranch_execnz .LBB2_746
.LBB2_587:                              ;   in Loop: Header=BB2_393 Depth=4
	s_or_b32 exec_lo, exec_lo, s24
	s_and_saveexec_b32 s14, s3
	s_cbranch_execz .LBB2_589
.LBB2_588:                              ;   in Loop: Header=BB2_393 Depth=4
	v_and_b32_e32 v14, 7, v15
	v_bfe_u32 v160, v15, 3, 4
	v_lshlrev_b32_e32 v161, 24, v15
	s_delay_alu instid0(VALU_DEP_3) | instskip(NEXT) | instid1(VALU_DEP_3)
	v_clz_i32_u32_e32 v150, v14
	v_cmp_eq_u32_e64 s13, 0, v160
	s_delay_alu instid0(VALU_DEP_2) | instskip(NEXT) | instid1(VALU_DEP_1)
	v_min_u32_e32 v150, 32, v150
	v_subrev_nc_u32_e32 v151, 28, v150
	v_sub_nc_u32_e32 v150, 29, v150
	s_delay_alu instid0(VALU_DEP_2) | instskip(NEXT) | instid1(VALU_DEP_2)
	v_lshlrev_b32_e32 v151, v151, v15
	v_cndmask_b32_e64 v150, v160, v150, s13
	s_delay_alu instid0(VALU_DEP_2) | instskip(NEXT) | instid1(VALU_DEP_2)
	v_and_b32_e32 v151, 7, v151
	v_lshl_add_u32 v150, v150, 23, 0x3b800000
	s_delay_alu instid0(VALU_DEP_2) | instskip(SKIP_1) | instid1(VALU_DEP_2)
	v_cndmask_b32_e64 v14, v14, v151, s13
	v_and_b32_e32 v151, 0x80000000, v161
	v_lshlrev_b32_e32 v14, 20, v14
	s_delay_alu instid0(VALU_DEP_1)
	v_or3_b32 v14, v151, v150, v14
.LBB2_589:                              ;   in Loop: Header=BB2_393 Depth=4
	s_or_b32 exec_lo, exec_lo, s14
	v_and_b32_e32 v151, 0xff, v11
	s_mov_b32 s3, 0
	s_mov_b32 s24, exec_lo
                                        ; implicit-def: $sgpr14
	s_delay_alu instid0(VALU_DEP_1)
	v_cmpx_lt_i16_e64 0x7f, v151
	s_xor_b32 s24, exec_lo, s24
	s_cbranch_execnz .LBB2_747
; %bb.590:                              ;   in Loop: Header=BB2_393 Depth=4
	s_or_saveexec_b32 s24, s24
	v_mov_b32_e32 v150, s14
	s_xor_b32 exec_lo, exec_lo, s24
	s_cbranch_execnz .LBB2_750
.LBB2_591:                              ;   in Loop: Header=BB2_393 Depth=4
	s_or_b32 exec_lo, exec_lo, s24
	s_and_saveexec_b32 s14, s3
	s_cbranch_execz .LBB2_593
.LBB2_592:                              ;   in Loop: Header=BB2_393 Depth=4
	v_and_b32_e32 v150, 7, v11
	v_bfe_u32 v161, v11, 3, 4
	v_lshlrev_b32_e32 v162, 24, v11
	s_delay_alu instid0(VALU_DEP_3) | instskip(NEXT) | instid1(VALU_DEP_3)
	v_clz_i32_u32_e32 v151, v150
	v_cmp_eq_u32_e64 s13, 0, v161
	s_delay_alu instid0(VALU_DEP_2) | instskip(NEXT) | instid1(VALU_DEP_1)
	v_min_u32_e32 v151, 32, v151
	v_subrev_nc_u32_e32 v160, 28, v151
	v_sub_nc_u32_e32 v151, 29, v151
	s_delay_alu instid0(VALU_DEP_2) | instskip(NEXT) | instid1(VALU_DEP_2)
	v_lshlrev_b32_e32 v160, v160, v11
	v_cndmask_b32_e64 v151, v161, v151, s13
	s_delay_alu instid0(VALU_DEP_2) | instskip(NEXT) | instid1(VALU_DEP_2)
	v_and_b32_e32 v160, 7, v160
	v_lshl_add_u32 v151, v151, 23, 0x3b800000
	s_delay_alu instid0(VALU_DEP_2) | instskip(SKIP_1) | instid1(VALU_DEP_2)
	v_cndmask_b32_e64 v150, v150, v160, s13
	v_and_b32_e32 v160, 0x80000000, v162
	v_lshlrev_b32_e32 v150, 20, v150
	s_delay_alu instid0(VALU_DEP_1)
	v_or3_b32 v150, v160, v151, v150
.LBB2_593:                              ;   in Loop: Header=BB2_393 Depth=4
	s_or_b32 exec_lo, exec_lo, s14
	s_delay_alu instid0(VALU_DEP_1) | instskip(NEXT) | instid1(VALU_DEP_1)
	v_add_f32_e32 v150, v14, v150
	v_and_b32_e32 v14, 0x7f800000, v150
	s_delay_alu instid0(VALU_DEP_1) | instskip(SKIP_1) | instid1(VALU_DEP_2)
	v_cmp_ne_u32_e64 s13, 0x7f800000, v14
	v_mov_b32_e32 v14, 0x80
	s_and_saveexec_b32 s3, s13
	s_cbranch_execz .LBB2_601
; %bb.594:                              ;   in Loop: Header=BB2_393 Depth=4
	v_mov_b32_e32 v14, 0
	s_mov_b32 s24, exec_lo
	v_cmpx_ne_u32_e32 0, v150
	s_cbranch_execz .LBB2_600
; %bb.595:                              ;   in Loop: Header=BB2_393 Depth=4
	v_bfe_u32 v14, v150, 23, 8
	v_and_b32_e32 v151, 0x7fffff, v150
	s_delay_alu instid0(VALU_DEP_2) | instskip(SKIP_1) | instid1(VALU_DEP_3)
	v_sub_nc_u32_e32 v160, 0x78, v14
	v_cmp_gt_u32_e64 s13, 0x79, v14
	v_or_b32_e32 v161, 0x800000, v151
	s_delay_alu instid0(VALU_DEP_2) | instskip(SKIP_2) | instid1(VALU_DEP_2)
	v_cndmask_b32_e64 v160, 0, v160, s13
	v_cmp_eq_u32_e64 s13, 0, v14
	v_add_nc_u32_e32 v14, 0xffffff89, v14
	v_cndmask_b32_e64 v160, v160, 0x77, s13
	v_cndmask_b32_e64 v151, v161, v151, s13
	s_delay_alu instid0(VALU_DEP_3) | instskip(NEXT) | instid1(VALU_DEP_3)
	v_cndmask_b32_e64 v14, v14, 0xffffff8a, s13
	v_lshl_add_u32 v161, 0x100000, v160, -1
	s_delay_alu instid0(VALU_DEP_3) | instskip(SKIP_1) | instid1(VALU_DEP_4)
	v_lshrrev_b32_e32 v162, v160, v151
	v_lshlrev_b32_e64 v164, v160, 0x80000
	v_add_nc_u32_e32 v160, v160, v14
	s_delay_alu instid0(VALU_DEP_4) | instskip(NEXT) | instid1(VALU_DEP_4)
	v_and_b32_e32 v151, v161, v151
	v_bfe_u32 v163, v162, 20, 1
	s_delay_alu instid0(VALU_DEP_2) | instskip(NEXT) | instid1(VALU_DEP_2)
	v_cmp_eq_u32_e64 s14, v151, v164
	v_add_nc_u32_e32 v161, -1, v163
	s_delay_alu instid0(VALU_DEP_1) | instskip(SKIP_2) | instid1(VALU_DEP_2)
	v_cndmask_b32_e64 v151, 0, v161, s14
	v_lshrrev_b32_e32 v161, 23, v162
	s_mov_b32 s14, exec_lo
	v_add_nc_u32_e32 v151, v151, v162
	s_delay_alu instid0(VALU_DEP_2) | instskip(NEXT) | instid1(VALU_DEP_2)
	v_xor_b32_e32 v161, 1, v161
	v_and_b32_e32 v14, 0xfffff, v151
	s_delay_alu instid0(VALU_DEP_1) | instskip(NEXT) | instid1(VALU_DEP_3)
	v_add_nc_u32_e32 v151, v14, v162
                                        ; implicit-def: $vgpr14
	v_cmpx_ne_u32_e64 v160, v161
	s_xor_b32 s14, exec_lo, s14
; %bb.596:                              ;   in Loop: Header=BB2_393 Depth=4
	s_delay_alu instid0(VALU_DEP_2) | instskip(SKIP_1) | instid1(VALU_DEP_2)
	v_cmp_lt_u32_e64 s13, 0xffffff, v151
	v_sub_nc_u32_e32 v14, v160, v161
	v_cndmask_b32_e64 v160, 0, 1, s13
	s_delay_alu instid0(VALU_DEP_2) | instskip(NEXT) | instid1(VALU_DEP_2)
	v_add_co_ci_u32_e64 v14, s13, 0, v14, s13
	v_lshrrev_b32_e32 v151, v160, v151
; %bb.597:                              ;   in Loop: Header=BB2_393 Depth=4
	s_and_not1_saveexec_b32 s13, s14
; %bb.598:                              ;   in Loop: Header=BB2_393 Depth=4
	s_delay_alu instid0(VALU_DEP_1)
	v_bfe_u32 v14, v151, 23, 1
; %bb.599:                              ;   in Loop: Header=BB2_393 Depth=4
	s_or_b32 exec_lo, exec_lo, s13
	v_lshrrev_b32_e32 v151, 20, v151
	s_delay_alu instid0(VALU_DEP_2) | instskip(SKIP_2) | instid1(VALU_DEP_3)
	v_cmp_gt_i32_e64 s13, 16, v14
	v_lshrrev_b32_e32 v150, 24, v150
	v_min_i32_e32 v160, 15, v14
	v_cndmask_b32_e64 v151, 7, v151, s13
	s_delay_alu instid0(VALU_DEP_3) | instskip(NEXT) | instid1(VALU_DEP_3)
	v_and_b32_e32 v150, 0x80, v150
	v_lshlrev_b32_e32 v160, 3, v160
	s_delay_alu instid0(VALU_DEP_3) | instskip(SKIP_1) | instid1(VALU_DEP_2)
	v_and_b32_e32 v161, 7, v151
	v_or_b32_e32 v14, v14, v151
	v_or3_b32 v150, v160, v150, v161
	s_delay_alu instid0(VALU_DEP_2) | instskip(NEXT) | instid1(VALU_DEP_1)
	v_cmp_ne_u32_e64 s13, 0, v14
	v_cndmask_b32_e64 v14, 0, v150, s13
.LBB2_600:                              ;   in Loop: Header=BB2_393 Depth=4
	s_or_b32 exec_lo, exec_lo, s24
.LBB2_601:                              ;   in Loop: Header=BB2_393 Depth=4
	s_delay_alu instid0(SALU_CYCLE_1) | instskip(SKIP_3) | instid1(VALU_DEP_1)
	s_or_b32 exec_lo, exec_lo, s3
	v_lshrrev_b16 v151, 8, v15
	s_mov_b32 s3, 0
	s_mov_b32 s24, exec_lo
                                        ; implicit-def: $sgpr14
	v_cmpx_lt_i16_e64 0x7f, v151
	s_xor_b32 s24, exec_lo, s24
	s_cbranch_execnz .LBB2_751
; %bb.602:                              ;   in Loop: Header=BB2_393 Depth=4
	s_or_saveexec_b32 s24, s24
	v_mov_b32_e32 v150, s14
	s_xor_b32 exec_lo, exec_lo, s24
	s_cbranch_execnz .LBB2_754
.LBB2_603:                              ;   in Loop: Header=BB2_393 Depth=4
	s_or_b32 exec_lo, exec_lo, s24
	s_and_saveexec_b32 s14, s3
	s_cbranch_execz .LBB2_605
.LBB2_604:                              ;   in Loop: Header=BB2_393 Depth=4
	v_and_b32_e32 v150, 0xffff, v151
	v_lshlrev_b32_e32 v151, 24, v151
	s_delay_alu instid0(VALU_DEP_2) | instskip(NEXT) | instid1(VALU_DEP_2)
	v_and_b32_e32 v160, 7, v150
	v_and_b32_e32 v151, 0x80000000, v151
	s_delay_alu instid0(VALU_DEP_2) | instskip(NEXT) | instid1(VALU_DEP_1)
	v_clz_i32_u32_e32 v161, v160
	v_min_u32_e32 v161, 32, v161
	s_delay_alu instid0(VALU_DEP_1) | instskip(SKIP_1) | instid1(VALU_DEP_2)
	v_subrev_nc_u32_e32 v162, 28, v161
	v_sub_nc_u32_e32 v161, 29, v161
	v_lshlrev_b32_e32 v162, v162, v150
	v_bfe_u32 v150, v150, 3, 4
	s_delay_alu instid0(VALU_DEP_2) | instskip(NEXT) | instid1(VALU_DEP_2)
	v_and_b32_e32 v162, 7, v162
	v_cmp_eq_u32_e64 s13, 0, v150
	s_delay_alu instid0(VALU_DEP_1) | instskip(NEXT) | instid1(VALU_DEP_3)
	v_cndmask_b32_e64 v150, v150, v161, s13
	v_cndmask_b32_e64 v160, v160, v162, s13
	s_delay_alu instid0(VALU_DEP_2) | instskip(NEXT) | instid1(VALU_DEP_2)
	v_lshl_add_u32 v150, v150, 23, 0x3b800000
	v_lshlrev_b32_e32 v160, 20, v160
	s_delay_alu instid0(VALU_DEP_1)
	v_or3_b32 v150, v151, v150, v160
.LBB2_605:                              ;   in Loop: Header=BB2_393 Depth=4
	s_or_b32 exec_lo, exec_lo, s14
	v_lshrrev_b16 v151, 8, v11
	s_mov_b32 s3, 0
	s_mov_b32 s24, exec_lo
                                        ; implicit-def: $sgpr14
	s_delay_alu instid0(VALU_DEP_1)
	v_cmpx_lt_i16_e64 0x7f, v151
	s_xor_b32 s24, exec_lo, s24
	s_cbranch_execnz .LBB2_755
; %bb.606:                              ;   in Loop: Header=BB2_393 Depth=4
	s_or_saveexec_b32 s24, s24
	v_mov_b32_e32 v160, s14
	s_xor_b32 exec_lo, exec_lo, s24
	s_cbranch_execnz .LBB2_758
.LBB2_607:                              ;   in Loop: Header=BB2_393 Depth=4
	s_or_b32 exec_lo, exec_lo, s24
	s_and_saveexec_b32 s14, s3
	s_cbranch_execz .LBB2_609
.LBB2_608:                              ;   in Loop: Header=BB2_393 Depth=4
	v_and_b32_e32 v160, 0xffff, v151
	v_lshlrev_b32_e32 v151, 24, v151
	s_delay_alu instid0(VALU_DEP_2) | instskip(NEXT) | instid1(VALU_DEP_2)
	v_and_b32_e32 v161, 7, v160
	v_and_b32_e32 v151, 0x80000000, v151
	s_delay_alu instid0(VALU_DEP_2) | instskip(NEXT) | instid1(VALU_DEP_1)
	v_clz_i32_u32_e32 v162, v161
	v_min_u32_e32 v162, 32, v162
	s_delay_alu instid0(VALU_DEP_1) | instskip(SKIP_1) | instid1(VALU_DEP_2)
	v_subrev_nc_u32_e32 v163, 28, v162
	v_sub_nc_u32_e32 v162, 29, v162
	v_lshlrev_b32_e32 v163, v163, v160
	v_bfe_u32 v160, v160, 3, 4
	s_delay_alu instid0(VALU_DEP_2) | instskip(NEXT) | instid1(VALU_DEP_2)
	v_and_b32_e32 v163, 7, v163
	v_cmp_eq_u32_e64 s13, 0, v160
	s_delay_alu instid0(VALU_DEP_1) | instskip(NEXT) | instid1(VALU_DEP_3)
	v_cndmask_b32_e64 v160, v160, v162, s13
	v_cndmask_b32_e64 v161, v161, v163, s13
	s_delay_alu instid0(VALU_DEP_2) | instskip(NEXT) | instid1(VALU_DEP_2)
	v_lshl_add_u32 v160, v160, 23, 0x3b800000
	v_lshlrev_b32_e32 v161, 20, v161
	s_delay_alu instid0(VALU_DEP_1)
	v_or3_b32 v160, v151, v160, v161
.LBB2_609:                              ;   in Loop: Header=BB2_393 Depth=4
	s_or_b32 exec_lo, exec_lo, s14
	s_delay_alu instid0(VALU_DEP_1) | instskip(NEXT) | instid1(VALU_DEP_1)
	v_add_f32_e32 v151, v150, v160
	v_and_b32_e32 v150, 0x7f800000, v151
	s_delay_alu instid0(VALU_DEP_1) | instskip(SKIP_1) | instid1(VALU_DEP_2)
	v_cmp_ne_u32_e64 s13, 0x7f800000, v150
	v_mov_b32_e32 v150, 0x8000
	s_and_saveexec_b32 s3, s13
	s_cbranch_execz .LBB2_617
; %bb.610:                              ;   in Loop: Header=BB2_393 Depth=4
	v_mov_b32_e32 v150, 0
	s_mov_b32 s24, exec_lo
	v_cmpx_ne_u32_e32 0, v151
	s_cbranch_execz .LBB2_616
; %bb.611:                              ;   in Loop: Header=BB2_393 Depth=4
	v_bfe_u32 v150, v151, 23, 8
	v_and_b32_e32 v160, 0x7fffff, v151
	s_delay_alu instid0(VALU_DEP_2) | instskip(SKIP_1) | instid1(VALU_DEP_3)
	v_sub_nc_u32_e32 v161, 0x78, v150
	v_cmp_gt_u32_e64 s13, 0x79, v150
	v_or_b32_e32 v162, 0x800000, v160
	s_delay_alu instid0(VALU_DEP_2) | instskip(SKIP_2) | instid1(VALU_DEP_2)
	v_cndmask_b32_e64 v161, 0, v161, s13
	v_cmp_eq_u32_e64 s13, 0, v150
	v_add_nc_u32_e32 v150, 0xffffff89, v150
	v_cndmask_b32_e64 v161, v161, 0x77, s13
	v_cndmask_b32_e64 v160, v162, v160, s13
	s_delay_alu instid0(VALU_DEP_3) | instskip(NEXT) | instid1(VALU_DEP_3)
	v_cndmask_b32_e64 v150, v150, 0xffffff8a, s13
	v_lshl_add_u32 v162, 0x100000, v161, -1
	s_delay_alu instid0(VALU_DEP_3) | instskip(SKIP_1) | instid1(VALU_DEP_4)
	v_lshrrev_b32_e32 v163, v161, v160
	v_lshlrev_b32_e64 v165, v161, 0x80000
	v_add_nc_u32_e32 v161, v161, v150
	s_delay_alu instid0(VALU_DEP_4) | instskip(NEXT) | instid1(VALU_DEP_4)
	v_and_b32_e32 v160, v162, v160
	v_bfe_u32 v164, v163, 20, 1
	s_delay_alu instid0(VALU_DEP_2) | instskip(NEXT) | instid1(VALU_DEP_2)
	v_cmp_eq_u32_e64 s14, v160, v165
	v_add_nc_u32_e32 v162, -1, v164
	s_delay_alu instid0(VALU_DEP_1) | instskip(SKIP_2) | instid1(VALU_DEP_2)
	v_cndmask_b32_e64 v160, 0, v162, s14
	v_lshrrev_b32_e32 v162, 23, v163
	s_mov_b32 s14, exec_lo
	v_add_nc_u32_e32 v160, v160, v163
	s_delay_alu instid0(VALU_DEP_2) | instskip(NEXT) | instid1(VALU_DEP_2)
	v_xor_b32_e32 v162, 1, v162
	v_and_b32_e32 v150, 0xfffff, v160
	s_delay_alu instid0(VALU_DEP_1) | instskip(NEXT) | instid1(VALU_DEP_3)
	v_add_nc_u32_e32 v160, v150, v163
                                        ; implicit-def: $vgpr150
	v_cmpx_ne_u32_e64 v161, v162
	s_xor_b32 s14, exec_lo, s14
; %bb.612:                              ;   in Loop: Header=BB2_393 Depth=4
	s_delay_alu instid0(VALU_DEP_2) | instskip(SKIP_1) | instid1(VALU_DEP_2)
	v_cmp_lt_u32_e64 s13, 0xffffff, v160
	v_sub_nc_u32_e32 v150, v161, v162
	v_cndmask_b32_e64 v161, 0, 1, s13
	s_delay_alu instid0(VALU_DEP_2) | instskip(NEXT) | instid1(VALU_DEP_2)
	v_add_co_ci_u32_e64 v150, s13, 0, v150, s13
	v_lshrrev_b32_e32 v160, v161, v160
; %bb.613:                              ;   in Loop: Header=BB2_393 Depth=4
	s_and_not1_saveexec_b32 s13, s14
; %bb.614:                              ;   in Loop: Header=BB2_393 Depth=4
	s_delay_alu instid0(VALU_DEP_1)
	v_bfe_u32 v150, v160, 23, 1
; %bb.615:                              ;   in Loop: Header=BB2_393 Depth=4
	s_or_b32 exec_lo, exec_lo, s13
	v_lshrrev_b32_e32 v160, 20, v160
	s_delay_alu instid0(VALU_DEP_2) | instskip(SKIP_2) | instid1(VALU_DEP_3)
	v_min_i32_e32 v161, 15, v150
	v_cmp_gt_i32_e64 s13, 16, v150
	v_lshrrev_b32_e32 v151, 24, v151
	v_lshlrev_b32_e32 v161, 3, v161
	s_delay_alu instid0(VALU_DEP_3) | instskip(NEXT) | instid1(VALU_DEP_3)
	v_cndmask_b32_e64 v160, 7, v160, s13
	v_and_b32_e32 v151, 0x80, v151
	s_delay_alu instid0(VALU_DEP_3) | instskip(NEXT) | instid1(VALU_DEP_3)
	v_and_b32_e32 v161, 0xf8, v161
	v_and_b32_e32 v162, 7, v160
	v_or_b32_e32 v150, v150, v160
	s_delay_alu instid0(VALU_DEP_2) | instskip(NEXT) | instid1(VALU_DEP_2)
	v_or3_b32 v151, v151, v161, v162
	v_cmp_ne_u32_e64 s13, 0, v150
	s_delay_alu instid0(VALU_DEP_2) | instskip(NEXT) | instid1(VALU_DEP_1)
	v_lshlrev_b32_e32 v151, 8, v151
	v_cndmask_b32_e64 v150, 0, v151, s13
.LBB2_616:                              ;   in Loop: Header=BB2_393 Depth=4
	s_or_b32 exec_lo, exec_lo, s24
.LBB2_617:                              ;   in Loop: Header=BB2_393 Depth=4
	s_delay_alu instid0(SALU_CYCLE_1) | instskip(SKIP_3) | instid1(VALU_DEP_1)
	s_or_b32 exec_lo, exec_lo, s3
	v_lshrrev_b32_e32 v160, 16, v15
	s_mov_b32 s3, 0
	s_mov_b32 s24, exec_lo
                                        ; implicit-def: $sgpr14
	v_and_b32_e32 v161, 0xff, v160
	s_delay_alu instid0(VALU_DEP_1)
	v_cmpx_lt_i16_e64 0x7f, v161
	s_xor_b32 s24, exec_lo, s24
	s_cbranch_execnz .LBB2_759
; %bb.618:                              ;   in Loop: Header=BB2_393 Depth=4
	s_or_saveexec_b32 s24, s24
	v_mov_b32_e32 v151, s14
	s_xor_b32 exec_lo, exec_lo, s24
	s_cbranch_execnz .LBB2_762
.LBB2_619:                              ;   in Loop: Header=BB2_393 Depth=4
	s_or_b32 exec_lo, exec_lo, s24
	s_and_saveexec_b32 s14, s3
	s_cbranch_execz .LBB2_621
.LBB2_620:                              ;   in Loop: Header=BB2_393 Depth=4
	v_bfe_u32 v151, v15, 16, 3
	v_lshlrev_b32_e32 v163, 8, v15
	s_delay_alu instid0(VALU_DEP_2) | instskip(NEXT) | instid1(VALU_DEP_1)
	v_clz_i32_u32_e32 v161, v151
	v_min_u32_e32 v161, 32, v161
	s_delay_alu instid0(VALU_DEP_1) | instskip(SKIP_1) | instid1(VALU_DEP_2)
	v_subrev_nc_u32_e32 v162, 28, v161
	v_sub_nc_u32_e32 v161, 29, v161
	v_lshlrev_b32_e32 v160, v162, v160
	v_bfe_u32 v162, v15, 19, 4
	s_delay_alu instid0(VALU_DEP_2) | instskip(NEXT) | instid1(VALU_DEP_2)
	v_and_b32_e32 v160, 7, v160
	v_cmp_eq_u32_e64 s13, 0, v162
	s_delay_alu instid0(VALU_DEP_1) | instskip(NEXT) | instid1(VALU_DEP_3)
	v_cndmask_b32_e64 v161, v162, v161, s13
	v_cndmask_b32_e64 v151, v151, v160, s13
	v_and_b32_e32 v160, 0x80000000, v163
	s_delay_alu instid0(VALU_DEP_3) | instskip(NEXT) | instid1(VALU_DEP_3)
	v_lshl_add_u32 v161, v161, 23, 0x3b800000
	v_lshlrev_b32_e32 v151, 20, v151
	s_delay_alu instid0(VALU_DEP_1)
	v_or3_b32 v151, v160, v161, v151
.LBB2_621:                              ;   in Loop: Header=BB2_393 Depth=4
	s_or_b32 exec_lo, exec_lo, s14
	v_lshrrev_b32_e32 v160, 16, v11
	s_mov_b32 s3, 0
	s_mov_b32 s24, exec_lo
                                        ; implicit-def: $sgpr14
	s_delay_alu instid0(VALU_DEP_1) | instskip(NEXT) | instid1(VALU_DEP_1)
	v_and_b32_e32 v162, 0xff, v160
	v_cmpx_lt_i16_e64 0x7f, v162
	s_xor_b32 s24, exec_lo, s24
	s_cbranch_execnz .LBB2_763
; %bb.622:                              ;   in Loop: Header=BB2_393 Depth=4
	s_or_saveexec_b32 s24, s24
	v_mov_b32_e32 v161, s14
	s_xor_b32 exec_lo, exec_lo, s24
	s_cbranch_execnz .LBB2_766
.LBB2_623:                              ;   in Loop: Header=BB2_393 Depth=4
	s_or_b32 exec_lo, exec_lo, s24
	s_and_saveexec_b32 s14, s3
	s_cbranch_execz .LBB2_625
.LBB2_624:                              ;   in Loop: Header=BB2_393 Depth=4
	v_bfe_u32 v161, v11, 16, 3
	v_lshlrev_b32_e32 v164, 8, v11
	s_delay_alu instid0(VALU_DEP_2) | instskip(NEXT) | instid1(VALU_DEP_1)
	v_clz_i32_u32_e32 v162, v161
	v_min_u32_e32 v162, 32, v162
	s_delay_alu instid0(VALU_DEP_1) | instskip(SKIP_1) | instid1(VALU_DEP_2)
	v_subrev_nc_u32_e32 v163, 28, v162
	v_sub_nc_u32_e32 v162, 29, v162
	v_lshlrev_b32_e32 v160, v163, v160
	v_bfe_u32 v163, v11, 19, 4
	s_delay_alu instid0(VALU_DEP_2) | instskip(NEXT) | instid1(VALU_DEP_2)
	v_and_b32_e32 v160, 7, v160
	v_cmp_eq_u32_e64 s13, 0, v163
	s_delay_alu instid0(VALU_DEP_1) | instskip(NEXT) | instid1(VALU_DEP_3)
	v_cndmask_b32_e64 v162, v163, v162, s13
	v_cndmask_b32_e64 v160, v161, v160, s13
	v_and_b32_e32 v161, 0x80000000, v164
	s_delay_alu instid0(VALU_DEP_3) | instskip(NEXT) | instid1(VALU_DEP_3)
	v_lshl_add_u32 v162, v162, 23, 0x3b800000
	v_lshlrev_b32_e32 v160, 20, v160
	s_delay_alu instid0(VALU_DEP_1)
	v_or3_b32 v161, v161, v162, v160
.LBB2_625:                              ;   in Loop: Header=BB2_393 Depth=4
	s_or_b32 exec_lo, exec_lo, s14
	s_delay_alu instid0(VALU_DEP_1) | instskip(NEXT) | instid1(VALU_DEP_1)
	v_add_f32_e32 v160, v151, v161
	v_and_b32_e32 v151, 0x7f800000, v160
	s_delay_alu instid0(VALU_DEP_1) | instskip(SKIP_1) | instid1(VALU_DEP_2)
	v_cmp_ne_u32_e64 s13, 0x7f800000, v151
	v_mov_b32_e32 v151, 0x80
	s_and_saveexec_b32 s3, s13
	s_cbranch_execz .LBB2_633
; %bb.626:                              ;   in Loop: Header=BB2_393 Depth=4
	v_mov_b32_e32 v151, 0
	s_mov_b32 s24, exec_lo
	v_cmpx_ne_u32_e32 0, v160
	s_cbranch_execz .LBB2_632
; %bb.627:                              ;   in Loop: Header=BB2_393 Depth=4
	v_bfe_u32 v151, v160, 23, 8
	v_and_b32_e32 v161, 0x7fffff, v160
	s_delay_alu instid0(VALU_DEP_2) | instskip(SKIP_1) | instid1(VALU_DEP_3)
	v_sub_nc_u32_e32 v162, 0x78, v151
	v_cmp_gt_u32_e64 s13, 0x79, v151
	v_or_b32_e32 v163, 0x800000, v161
	s_delay_alu instid0(VALU_DEP_2) | instskip(SKIP_2) | instid1(VALU_DEP_2)
	v_cndmask_b32_e64 v162, 0, v162, s13
	v_cmp_eq_u32_e64 s13, 0, v151
	v_add_nc_u32_e32 v151, 0xffffff89, v151
	v_cndmask_b32_e64 v162, v162, 0x77, s13
	v_cndmask_b32_e64 v161, v163, v161, s13
	s_delay_alu instid0(VALU_DEP_3) | instskip(NEXT) | instid1(VALU_DEP_3)
	v_cndmask_b32_e64 v151, v151, 0xffffff8a, s13
	v_lshl_add_u32 v163, 0x100000, v162, -1
	s_delay_alu instid0(VALU_DEP_3) | instskip(SKIP_1) | instid1(VALU_DEP_4)
	v_lshrrev_b32_e32 v164, v162, v161
	v_lshlrev_b32_e64 v166, v162, 0x80000
	v_add_nc_u32_e32 v162, v162, v151
	s_delay_alu instid0(VALU_DEP_4) | instskip(NEXT) | instid1(VALU_DEP_4)
	v_and_b32_e32 v161, v163, v161
	v_bfe_u32 v165, v164, 20, 1
	s_delay_alu instid0(VALU_DEP_2) | instskip(NEXT) | instid1(VALU_DEP_2)
	v_cmp_eq_u32_e64 s14, v161, v166
	v_add_nc_u32_e32 v163, -1, v165
	s_delay_alu instid0(VALU_DEP_1) | instskip(SKIP_2) | instid1(VALU_DEP_2)
	v_cndmask_b32_e64 v161, 0, v163, s14
	v_lshrrev_b32_e32 v163, 23, v164
	s_mov_b32 s14, exec_lo
	v_add_nc_u32_e32 v161, v161, v164
	s_delay_alu instid0(VALU_DEP_2) | instskip(NEXT) | instid1(VALU_DEP_2)
	v_xor_b32_e32 v163, 1, v163
	v_and_b32_e32 v151, 0xfffff, v161
	s_delay_alu instid0(VALU_DEP_1) | instskip(NEXT) | instid1(VALU_DEP_3)
	v_add_nc_u32_e32 v161, v151, v164
                                        ; implicit-def: $vgpr151
	v_cmpx_ne_u32_e64 v162, v163
	s_xor_b32 s14, exec_lo, s14
; %bb.628:                              ;   in Loop: Header=BB2_393 Depth=4
	s_delay_alu instid0(VALU_DEP_2) | instskip(SKIP_1) | instid1(VALU_DEP_2)
	v_cmp_lt_u32_e64 s13, 0xffffff, v161
	v_sub_nc_u32_e32 v151, v162, v163
	v_cndmask_b32_e64 v162, 0, 1, s13
	s_delay_alu instid0(VALU_DEP_2) | instskip(NEXT) | instid1(VALU_DEP_2)
	v_add_co_ci_u32_e64 v151, s13, 0, v151, s13
	v_lshrrev_b32_e32 v161, v162, v161
; %bb.629:                              ;   in Loop: Header=BB2_393 Depth=4
	s_and_not1_saveexec_b32 s13, s14
; %bb.630:                              ;   in Loop: Header=BB2_393 Depth=4
	s_delay_alu instid0(VALU_DEP_1)
	v_bfe_u32 v151, v161, 23, 1
; %bb.631:                              ;   in Loop: Header=BB2_393 Depth=4
	s_or_b32 exec_lo, exec_lo, s13
	v_lshrrev_b32_e32 v161, 20, v161
	s_delay_alu instid0(VALU_DEP_2) | instskip(SKIP_2) | instid1(VALU_DEP_3)
	v_min_i32_e32 v162, 15, v151
	v_cmp_gt_i32_e64 s13, 16, v151
	v_lshrrev_b32_e32 v160, 24, v160
	v_lshlrev_b32_e32 v162, 3, v162
	s_delay_alu instid0(VALU_DEP_3) | instskip(NEXT) | instid1(VALU_DEP_3)
	v_cndmask_b32_e64 v161, 7, v161, s13
	v_and_b32_e32 v160, 0x80, v160
	s_delay_alu instid0(VALU_DEP_3) | instskip(NEXT) | instid1(VALU_DEP_3)
	v_and_b32_e32 v162, 0xf8, v162
	v_and_b32_e32 v163, 7, v161
	v_or_b32_e32 v151, v151, v161
	s_delay_alu instid0(VALU_DEP_2) | instskip(NEXT) | instid1(VALU_DEP_2)
	v_or3_b32 v160, v162, v160, v163
	v_cmp_ne_u32_e64 s13, 0, v151
	s_delay_alu instid0(VALU_DEP_1)
	v_cndmask_b32_e64 v151, 0, v160, s13
.LBB2_632:                              ;   in Loop: Header=BB2_393 Depth=4
	s_or_b32 exec_lo, exec_lo, s24
.LBB2_633:                              ;   in Loop: Header=BB2_393 Depth=4
	s_delay_alu instid0(SALU_CYCLE_1) | instskip(SKIP_3) | instid1(VALU_DEP_1)
	s_or_b32 exec_lo, exec_lo, s3
	v_lshrrev_b32_e32 v161, 24, v15
	s_mov_b32 s3, 0
	s_mov_b32 s24, exec_lo
                                        ; implicit-def: $sgpr14
	v_cmpx_lt_i16_e64 0x7f, v161
	s_xor_b32 s24, exec_lo, s24
	s_cbranch_execnz .LBB2_767
; %bb.634:                              ;   in Loop: Header=BB2_393 Depth=4
	s_or_saveexec_b32 s24, s24
	v_mov_b32_e32 v160, s14
	s_xor_b32 exec_lo, exec_lo, s24
	s_cbranch_execnz .LBB2_770
.LBB2_635:                              ;   in Loop: Header=BB2_393 Depth=4
	s_or_b32 exec_lo, exec_lo, s24
	s_and_saveexec_b32 s14, s3
	s_cbranch_execz .LBB2_637
.LBB2_636:                              ;   in Loop: Header=BB2_393 Depth=4
	v_bfe_u32 v160, v15, 24, 3
	s_delay_alu instid0(VALU_DEP_1) | instskip(NEXT) | instid1(VALU_DEP_1)
	v_clz_i32_u32_e32 v162, v160
	v_min_u32_e32 v162, 32, v162
	s_delay_alu instid0(VALU_DEP_1) | instskip(SKIP_1) | instid1(VALU_DEP_2)
	v_subrev_nc_u32_e32 v163, 28, v162
	v_sub_nc_u32_e32 v162, 29, v162
	v_lshlrev_b32_e32 v161, v163, v161
	v_bfe_u32 v163, v15, 27, 4
	v_and_b32_e32 v15, 0x80000000, v15
	s_delay_alu instid0(VALU_DEP_3) | instskip(NEXT) | instid1(VALU_DEP_3)
	v_and_b32_e32 v161, 7, v161
	v_cmp_eq_u32_e64 s13, 0, v163
	s_delay_alu instid0(VALU_DEP_1) | instskip(NEXT) | instid1(VALU_DEP_3)
	v_cndmask_b32_e64 v162, v163, v162, s13
	v_cndmask_b32_e64 v160, v160, v161, s13
	s_delay_alu instid0(VALU_DEP_2) | instskip(NEXT) | instid1(VALU_DEP_2)
	v_lshl_add_u32 v161, v162, 23, 0x3b800000
	v_lshlrev_b32_e32 v160, 20, v160
	s_delay_alu instid0(VALU_DEP_1)
	v_or3_b32 v160, v15, v161, v160
.LBB2_637:                              ;   in Loop: Header=BB2_393 Depth=4
	s_or_b32 exec_lo, exec_lo, s14
	v_lshrrev_b32_e32 v15, 24, v11
	s_mov_b32 s3, 0
	s_mov_b32 s24, exec_lo
                                        ; implicit-def: $sgpr14
	s_delay_alu instid0(VALU_DEP_1)
	v_cmpx_lt_i16_e32 0x7f, v15
	s_xor_b32 s24, exec_lo, s24
	s_cbranch_execnz .LBB2_771
; %bb.638:                              ;   in Loop: Header=BB2_393 Depth=4
	s_or_saveexec_b32 s24, s24
	v_mov_b32_e32 v161, s14
	s_xor_b32 exec_lo, exec_lo, s24
	s_cbranch_execnz .LBB2_774
.LBB2_639:                              ;   in Loop: Header=BB2_393 Depth=4
	s_or_b32 exec_lo, exec_lo, s24
	s_and_saveexec_b32 s14, s3
	s_cbranch_execz .LBB2_641
.LBB2_640:                              ;   in Loop: Header=BB2_393 Depth=4
	v_bfe_u32 v161, v11, 24, 3
	s_delay_alu instid0(VALU_DEP_1) | instskip(NEXT) | instid1(VALU_DEP_1)
	v_clz_i32_u32_e32 v162, v161
	v_min_u32_e32 v162, 32, v162
	s_delay_alu instid0(VALU_DEP_1) | instskip(SKIP_1) | instid1(VALU_DEP_2)
	v_subrev_nc_u32_e32 v163, 28, v162
	v_sub_nc_u32_e32 v162, 29, v162
	v_lshlrev_b32_e32 v15, v163, v15
	v_bfe_u32 v163, v11, 27, 4
	v_and_b32_e32 v11, 0x80000000, v11
	s_delay_alu instid0(VALU_DEP_3) | instskip(NEXT) | instid1(VALU_DEP_3)
	v_and_b32_e32 v15, 7, v15
	v_cmp_eq_u32_e64 s13, 0, v163
	s_delay_alu instid0(VALU_DEP_1) | instskip(NEXT) | instid1(VALU_DEP_3)
	v_cndmask_b32_e64 v162, v163, v162, s13
	v_cndmask_b32_e64 v15, v161, v15, s13
	s_delay_alu instid0(VALU_DEP_2) | instskip(NEXT) | instid1(VALU_DEP_2)
	v_lshl_add_u32 v161, v162, 23, 0x3b800000
	v_lshlrev_b32_e32 v15, 20, v15
	s_delay_alu instid0(VALU_DEP_1)
	v_or3_b32 v161, v11, v161, v15
.LBB2_641:                              ;   in Loop: Header=BB2_393 Depth=4
	s_or_b32 exec_lo, exec_lo, s14
	s_delay_alu instid0(VALU_DEP_1) | instskip(NEXT) | instid1(VALU_DEP_1)
	v_add_f32_e32 v11, v160, v161
	v_and_b32_e32 v15, 0x7f800000, v11
	s_delay_alu instid0(VALU_DEP_1) | instskip(SKIP_1) | instid1(VALU_DEP_2)
	v_cmp_ne_u32_e64 s13, 0x7f800000, v15
	v_mov_b32_e32 v15, 0x8000
	s_and_saveexec_b32 s3, s13
	s_cbranch_execz .LBB2_392
; %bb.642:                              ;   in Loop: Header=BB2_393 Depth=4
	v_mov_b32_e32 v15, 0
	s_mov_b32 s24, exec_lo
	v_cmpx_ne_u32_e32 0, v11
	s_cbranch_execz .LBB2_391
; %bb.643:                              ;   in Loop: Header=BB2_393 Depth=4
	v_bfe_u32 v15, v11, 23, 8
	v_and_b32_e32 v160, 0x7fffff, v11
	s_delay_alu instid0(VALU_DEP_2) | instskip(SKIP_1) | instid1(VALU_DEP_3)
	v_sub_nc_u32_e32 v161, 0x78, v15
	v_cmp_gt_u32_e64 s13, 0x79, v15
	v_or_b32_e32 v162, 0x800000, v160
	s_delay_alu instid0(VALU_DEP_2) | instskip(SKIP_2) | instid1(VALU_DEP_2)
	v_cndmask_b32_e64 v161, 0, v161, s13
	v_cmp_eq_u32_e64 s13, 0, v15
	v_add_nc_u32_e32 v15, 0xffffff89, v15
	v_cndmask_b32_e64 v161, v161, 0x77, s13
	v_cndmask_b32_e64 v160, v162, v160, s13
	s_delay_alu instid0(VALU_DEP_3) | instskip(NEXT) | instid1(VALU_DEP_3)
	v_cndmask_b32_e64 v15, v15, 0xffffff8a, s13
	v_lshl_add_u32 v162, 0x100000, v161, -1
	s_delay_alu instid0(VALU_DEP_3) | instskip(SKIP_1) | instid1(VALU_DEP_4)
	v_lshrrev_b32_e32 v163, v161, v160
	v_lshlrev_b32_e64 v165, v161, 0x80000
	v_add_nc_u32_e32 v161, v161, v15
	s_delay_alu instid0(VALU_DEP_4) | instskip(NEXT) | instid1(VALU_DEP_4)
	v_and_b32_e32 v160, v162, v160
	v_bfe_u32 v164, v163, 20, 1
	s_delay_alu instid0(VALU_DEP_2) | instskip(NEXT) | instid1(VALU_DEP_2)
	v_cmp_eq_u32_e64 s14, v160, v165
	v_add_nc_u32_e32 v162, -1, v164
	s_delay_alu instid0(VALU_DEP_1) | instskip(SKIP_2) | instid1(VALU_DEP_2)
	v_cndmask_b32_e64 v160, 0, v162, s14
	v_lshrrev_b32_e32 v162, 23, v163
	s_mov_b32 s14, exec_lo
	v_add_nc_u32_e32 v160, v160, v163
	s_delay_alu instid0(VALU_DEP_2) | instskip(NEXT) | instid1(VALU_DEP_2)
	v_xor_b32_e32 v162, 1, v162
	v_and_b32_e32 v15, 0xfffff, v160
	s_delay_alu instid0(VALU_DEP_1) | instskip(NEXT) | instid1(VALU_DEP_3)
	v_add_nc_u32_e32 v160, v15, v163
                                        ; implicit-def: $vgpr15
	v_cmpx_ne_u32_e64 v161, v162
	s_xor_b32 s14, exec_lo, s14
; %bb.644:                              ;   in Loop: Header=BB2_393 Depth=4
	s_delay_alu instid0(VALU_DEP_2) | instskip(SKIP_1) | instid1(VALU_DEP_2)
	v_cmp_lt_u32_e64 s13, 0xffffff, v160
	v_sub_nc_u32_e32 v15, v161, v162
	v_cndmask_b32_e64 v161, 0, 1, s13
	s_delay_alu instid0(VALU_DEP_2) | instskip(NEXT) | instid1(VALU_DEP_2)
	v_add_co_ci_u32_e64 v15, s13, 0, v15, s13
	v_lshrrev_b32_e32 v160, v161, v160
; %bb.645:                              ;   in Loop: Header=BB2_393 Depth=4
	s_and_not1_saveexec_b32 s13, s14
	s_cbranch_execz .LBB2_390
; %bb.646:                              ;   in Loop: Header=BB2_393 Depth=4
	s_delay_alu instid0(VALU_DEP_1)
	v_bfe_u32 v15, v160, 23, 1
	s_branch .LBB2_390
.LBB2_647:                              ;   in Loop: Header=BB2_393 Depth=4
	s_mov_b32 s3, -1
	s_mov_b32 s34, exec_lo
                                        ; implicit-def: $sgpr14
	v_cmpx_eq_u16_e64 0x80, v144
; %bb.648:                              ;   in Loop: Header=BB2_393 Depth=4
	s_mov_b32 s14, 0x7f800001
	s_xor_b32 s3, exec_lo, -1
; %bb.649:                              ;   in Loop: Header=BB2_393 Depth=4
	s_or_b32 exec_lo, exec_lo, s34
	s_delay_alu instid0(SALU_CYCLE_1)
	s_and_b32 s3, s3, exec_lo
                                        ; implicit-def: $vgpr144
	s_or_saveexec_b32 s24, s24
	v_mov_b32_e32 v135, s14
	s_xor_b32 exec_lo, exec_lo, s24
	s_cbranch_execz .LBB2_395
.LBB2_650:                              ;   in Loop: Header=BB2_393 Depth=4
	v_cmp_ne_u16_e64 s13, 0, v144
	v_mov_b32_e32 v135, 0
	s_and_not1_b32 s3, s3, exec_lo
	s_delay_alu instid0(VALU_DEP_2) | instskip(NEXT) | instid1(SALU_CYCLE_1)
	s_and_b32 s13, s13, exec_lo
	s_or_b32 s3, s3, s13
	s_or_b32 exec_lo, exec_lo, s24
	s_and_saveexec_b32 s14, s3
	s_cbranch_execnz .LBB2_396
	s_branch .LBB2_397
.LBB2_651:                              ;   in Loop: Header=BB2_393 Depth=4
	s_mov_b32 s3, -1
	s_mov_b32 s34, exec_lo
                                        ; implicit-def: $sgpr14
	v_cmpx_eq_u16_e64 0x80, v145
; %bb.652:                              ;   in Loop: Header=BB2_393 Depth=4
	s_mov_b32 s14, 0x7f800001
	s_xor_b32 s3, exec_lo, -1
; %bb.653:                              ;   in Loop: Header=BB2_393 Depth=4
	s_or_b32 exec_lo, exec_lo, s34
	s_delay_alu instid0(SALU_CYCLE_1)
	s_and_b32 s3, s3, exec_lo
                                        ; implicit-def: $vgpr145
	s_or_saveexec_b32 s24, s24
	v_mov_b32_e32 v144, s14
	s_xor_b32 exec_lo, exec_lo, s24
	s_cbranch_execz .LBB2_399
.LBB2_654:                              ;   in Loop: Header=BB2_393 Depth=4
	v_cmp_ne_u16_e64 s13, 0, v145
	v_mov_b32_e32 v144, 0
	s_and_not1_b32 s3, s3, exec_lo
	s_delay_alu instid0(VALU_DEP_2) | instskip(NEXT) | instid1(SALU_CYCLE_1)
	s_and_b32 s13, s13, exec_lo
	s_or_b32 s3, s3, s13
	s_or_b32 exec_lo, exec_lo, s24
	s_and_saveexec_b32 s14, s3
	s_cbranch_execnz .LBB2_400
	s_branch .LBB2_401
.LBB2_655:                              ;   in Loop: Header=BB2_393 Depth=4
	s_mov_b32 s3, -1
	s_mov_b32 s34, exec_lo
                                        ; implicit-def: $sgpr14
	v_cmpx_eq_u16_e64 0x80, v145
; %bb.656:                              ;   in Loop: Header=BB2_393 Depth=4
	s_mov_b32 s14, 0x7f800001
	s_xor_b32 s3, exec_lo, -1
; %bb.657:                              ;   in Loop: Header=BB2_393 Depth=4
	s_or_b32 exec_lo, exec_lo, s34
	s_delay_alu instid0(SALU_CYCLE_1)
	s_and_b32 s3, s3, exec_lo
	s_or_saveexec_b32 s24, s24
	v_mov_b32_e32 v144, s14
	s_xor_b32 exec_lo, exec_lo, s24
	s_cbranch_execz .LBB2_411
.LBB2_658:                              ;   in Loop: Header=BB2_393 Depth=4
	v_cmp_ne_u16_e64 s13, 0, v145
	v_mov_b32_e32 v144, 0
	s_and_not1_b32 s3, s3, exec_lo
	s_delay_alu instid0(VALU_DEP_2) | instskip(NEXT) | instid1(SALU_CYCLE_1)
	s_and_b32 s13, s13, exec_lo
	s_or_b32 s3, s3, s13
	s_or_b32 exec_lo, exec_lo, s24
	s_and_saveexec_b32 s14, s3
	s_cbranch_execnz .LBB2_412
	s_branch .LBB2_413
.LBB2_659:                              ;   in Loop: Header=BB2_393 Depth=4
	s_mov_b32 s3, -1
	s_mov_b32 s34, exec_lo
                                        ; implicit-def: $sgpr14
	v_cmpx_eq_u16_e64 0x80, v145
; %bb.660:                              ;   in Loop: Header=BB2_393 Depth=4
	s_mov_b32 s14, 0x7f800001
	s_xor_b32 s3, exec_lo, -1
; %bb.661:                              ;   in Loop: Header=BB2_393 Depth=4
	s_or_b32 exec_lo, exec_lo, s34
	s_delay_alu instid0(SALU_CYCLE_1)
	s_and_b32 s3, s3, exec_lo
	s_or_saveexec_b32 s24, s24
	v_mov_b32_e32 v146, s14
	s_xor_b32 exec_lo, exec_lo, s24
	s_cbranch_execz .LBB2_415
.LBB2_662:                              ;   in Loop: Header=BB2_393 Depth=4
	v_cmp_ne_u16_e64 s13, 0, v145
	v_mov_b32_e32 v146, 0
	s_and_not1_b32 s3, s3, exec_lo
	s_delay_alu instid0(VALU_DEP_2) | instskip(NEXT) | instid1(SALU_CYCLE_1)
	s_and_b32 s13, s13, exec_lo
	s_or_b32 s3, s3, s13
	s_or_b32 exec_lo, exec_lo, s24
	s_and_saveexec_b32 s14, s3
	s_cbranch_execnz .LBB2_416
	s_branch .LBB2_417
.LBB2_663:                              ;   in Loop: Header=BB2_393 Depth=4
	s_mov_b32 s3, -1
	s_mov_b32 s34, exec_lo
                                        ; implicit-def: $sgpr14
	v_cmpx_eq_u16_e64 0x80, v147
; %bb.664:                              ;   in Loop: Header=BB2_393 Depth=4
	s_mov_b32 s14, 0x7f800001
	s_xor_b32 s3, exec_lo, -1
; %bb.665:                              ;   in Loop: Header=BB2_393 Depth=4
	s_or_b32 exec_lo, exec_lo, s34
	s_delay_alu instid0(SALU_CYCLE_1)
	s_and_b32 s3, s3, exec_lo
                                        ; implicit-def: $vgpr147
	s_or_saveexec_b32 s24, s24
	v_mov_b32_e32 v145, s14
	s_xor_b32 exec_lo, exec_lo, s24
	s_cbranch_execz .LBB2_427
.LBB2_666:                              ;   in Loop: Header=BB2_393 Depth=4
	v_cmp_ne_u16_e64 s13, 0, v147
	v_mov_b32_e32 v145, 0
	s_and_not1_b32 s3, s3, exec_lo
	s_delay_alu instid0(VALU_DEP_2) | instskip(NEXT) | instid1(SALU_CYCLE_1)
	s_and_b32 s13, s13, exec_lo
	s_or_b32 s3, s3, s13
	s_or_b32 exec_lo, exec_lo, s24
	s_and_saveexec_b32 s14, s3
	s_cbranch_execnz .LBB2_428
	s_branch .LBB2_429
.LBB2_667:                              ;   in Loop: Header=BB2_393 Depth=4
	s_mov_b32 s3, -1
	s_mov_b32 s34, exec_lo
                                        ; implicit-def: $sgpr14
	v_cmpx_eq_u16_e64 0x80, v148
; %bb.668:                              ;   in Loop: Header=BB2_393 Depth=4
	s_mov_b32 s14, 0x7f800001
	s_xor_b32 s3, exec_lo, -1
; %bb.669:                              ;   in Loop: Header=BB2_393 Depth=4
	s_or_b32 exec_lo, exec_lo, s34
	s_delay_alu instid0(SALU_CYCLE_1)
	s_and_b32 s3, s3, exec_lo
                                        ; implicit-def: $vgpr148
	s_or_saveexec_b32 s24, s24
	v_mov_b32_e32 v147, s14
	s_xor_b32 exec_lo, exec_lo, s24
	s_cbranch_execz .LBB2_431
.LBB2_670:                              ;   in Loop: Header=BB2_393 Depth=4
	v_cmp_ne_u16_e64 s13, 0, v148
	v_mov_b32_e32 v147, 0
	s_and_not1_b32 s3, s3, exec_lo
	s_delay_alu instid0(VALU_DEP_2) | instskip(NEXT) | instid1(SALU_CYCLE_1)
	s_and_b32 s13, s13, exec_lo
	s_or_b32 s3, s3, s13
	s_or_b32 exec_lo, exec_lo, s24
	s_and_saveexec_b32 s14, s3
	s_cbranch_execnz .LBB2_432
	s_branch .LBB2_433
.LBB2_671:                              ;   in Loop: Header=BB2_393 Depth=4
	s_mov_b32 s3, -1
	s_mov_b32 s34, exec_lo
                                        ; implicit-def: $sgpr14
	v_cmpx_eq_u16_e64 0x80, v147
; %bb.672:                              ;   in Loop: Header=BB2_393 Depth=4
	s_mov_b32 s14, 0x7f800001
	s_xor_b32 s3, exec_lo, -1
; %bb.673:                              ;   in Loop: Header=BB2_393 Depth=4
	s_or_b32 exec_lo, exec_lo, s34
	s_delay_alu instid0(SALU_CYCLE_1)
	s_and_b32 s3, s3, exec_lo
	s_or_saveexec_b32 s24, s24
	v_mov_b32_e32 v146, s14
	s_xor_b32 exec_lo, exec_lo, s24
	s_cbranch_execz .LBB2_443
.LBB2_674:                              ;   in Loop: Header=BB2_393 Depth=4
	v_cmp_ne_u16_e64 s13, 0, v147
	v_mov_b32_e32 v146, 0
	s_and_not1_b32 s3, s3, exec_lo
	s_delay_alu instid0(VALU_DEP_2) | instskip(NEXT) | instid1(SALU_CYCLE_1)
	s_and_b32 s13, s13, exec_lo
	s_or_b32 s3, s3, s13
	s_or_b32 exec_lo, exec_lo, s24
	s_and_saveexec_b32 s14, s3
	s_cbranch_execnz .LBB2_444
	s_branch .LBB2_445
.LBB2_675:                              ;   in Loop: Header=BB2_393 Depth=4
	s_mov_b32 s3, -1
	s_mov_b32 s34, exec_lo
                                        ; implicit-def: $sgpr14
	v_cmpx_eq_u16_e32 0x80, v12
; %bb.676:                              ;   in Loop: Header=BB2_393 Depth=4
	s_mov_b32 s14, 0x7f800001
	s_xor_b32 s3, exec_lo, -1
; %bb.677:                              ;   in Loop: Header=BB2_393 Depth=4
	s_or_b32 exec_lo, exec_lo, s34
	s_delay_alu instid0(SALU_CYCLE_1)
	s_and_b32 s3, s3, exec_lo
	s_or_saveexec_b32 s24, s24
	v_mov_b32_e32 v147, s14
	s_xor_b32 exec_lo, exec_lo, s24
	s_cbranch_execz .LBB2_447
.LBB2_678:                              ;   in Loop: Header=BB2_393 Depth=4
	v_cmp_ne_u16_e64 s13, 0, v12
	v_mov_b32_e32 v147, 0
	s_and_not1_b32 s3, s3, exec_lo
	s_delay_alu instid0(VALU_DEP_2) | instskip(NEXT) | instid1(SALU_CYCLE_1)
	s_and_b32 s13, s13, exec_lo
	s_or_b32 s3, s3, s13
	s_or_b32 exec_lo, exec_lo, s24
	s_and_saveexec_b32 s14, s3
	s_cbranch_execnz .LBB2_448
	s_branch .LBB2_449
.LBB2_679:                              ;   in Loop: Header=BB2_393 Depth=4
	s_mov_b32 s3, -1
	s_mov_b32 s34, exec_lo
                                        ; implicit-def: $sgpr14
	v_cmpx_eq_u16_e64 0x80, v146
; %bb.680:                              ;   in Loop: Header=BB2_393 Depth=4
	s_mov_b32 s14, 0x7f800001
	s_xor_b32 s3, exec_lo, -1
; %bb.681:                              ;   in Loop: Header=BB2_393 Depth=4
	s_or_b32 exec_lo, exec_lo, s34
	s_delay_alu instid0(SALU_CYCLE_1)
	s_and_b32 s3, s3, exec_lo
                                        ; implicit-def: $vgpr146
	s_or_saveexec_b32 s24, s24
	v_mov_b32_e32 v12, s14
	s_xor_b32 exec_lo, exec_lo, s24
	s_cbranch_execz .LBB2_459
.LBB2_682:                              ;   in Loop: Header=BB2_393 Depth=4
	v_cmp_ne_u16_e64 s13, 0, v146
	v_mov_b32_e32 v12, 0
	s_and_not1_b32 s3, s3, exec_lo
	s_delay_alu instid0(VALU_DEP_2) | instskip(NEXT) | instid1(SALU_CYCLE_1)
	s_and_b32 s13, s13, exec_lo
	s_or_b32 s3, s3, s13
	s_or_b32 exec_lo, exec_lo, s24
	s_and_saveexec_b32 s14, s3
	s_cbranch_execnz .LBB2_460
	s_branch .LBB2_461
.LBB2_683:                              ;   in Loop: Header=BB2_393 Depth=4
	s_mov_b32 s3, -1
	s_mov_b32 s34, exec_lo
                                        ; implicit-def: $sgpr14
	v_cmpx_eq_u16_e64 0x80, v147
; %bb.684:                              ;   in Loop: Header=BB2_393 Depth=4
	s_mov_b32 s14, 0x7f800001
	s_xor_b32 s3, exec_lo, -1
; %bb.685:                              ;   in Loop: Header=BB2_393 Depth=4
	s_or_b32 exec_lo, exec_lo, s34
	s_delay_alu instid0(SALU_CYCLE_1)
	s_and_b32 s3, s3, exec_lo
                                        ; implicit-def: $vgpr147
	s_or_saveexec_b32 s24, s24
	v_mov_b32_e32 v146, s14
	s_xor_b32 exec_lo, exec_lo, s24
	s_cbranch_execz .LBB2_463
.LBB2_686:                              ;   in Loop: Header=BB2_393 Depth=4
	v_cmp_ne_u16_e64 s13, 0, v147
	v_mov_b32_e32 v146, 0
	s_and_not1_b32 s3, s3, exec_lo
	s_delay_alu instid0(VALU_DEP_2) | instskip(NEXT) | instid1(SALU_CYCLE_1)
	s_and_b32 s13, s13, exec_lo
	s_or_b32 s3, s3, s13
	s_or_b32 exec_lo, exec_lo, s24
	s_and_saveexec_b32 s14, s3
	s_cbranch_execnz .LBB2_464
	s_branch .LBB2_465
.LBB2_687:                              ;   in Loop: Header=BB2_393 Depth=4
	s_mov_b32 s3, -1
	s_mov_b32 s34, exec_lo
                                        ; implicit-def: $sgpr14
	v_cmpx_eq_u16_e64 0x80, v147
; %bb.688:                              ;   in Loop: Header=BB2_393 Depth=4
	s_mov_b32 s14, 0x7f800001
	s_xor_b32 s3, exec_lo, -1
; %bb.689:                              ;   in Loop: Header=BB2_393 Depth=4
	s_or_b32 exec_lo, exec_lo, s34
	s_delay_alu instid0(SALU_CYCLE_1)
	s_and_b32 s3, s3, exec_lo
	s_or_saveexec_b32 s24, s24
	v_mov_b32_e32 v146, s14
	s_xor_b32 exec_lo, exec_lo, s24
	s_cbranch_execz .LBB2_475
.LBB2_690:                              ;   in Loop: Header=BB2_393 Depth=4
	v_cmp_ne_u16_e64 s13, 0, v147
	v_mov_b32_e32 v146, 0
	s_and_not1_b32 s3, s3, exec_lo
	s_delay_alu instid0(VALU_DEP_2) | instskip(NEXT) | instid1(SALU_CYCLE_1)
	s_and_b32 s13, s13, exec_lo
	s_or_b32 s3, s3, s13
	s_or_b32 exec_lo, exec_lo, s24
	s_and_saveexec_b32 s14, s3
	s_cbranch_execnz .LBB2_476
	s_branch .LBB2_477
.LBB2_691:                              ;   in Loop: Header=BB2_393 Depth=4
	s_mov_b32 s3, -1
	s_mov_b32 s34, exec_lo
                                        ; implicit-def: $sgpr14
	v_cmpx_eq_u16_e64 0x80, v147
; %bb.692:                              ;   in Loop: Header=BB2_393 Depth=4
	s_mov_b32 s14, 0x7f800001
	s_xor_b32 s3, exec_lo, -1
; %bb.693:                              ;   in Loop: Header=BB2_393 Depth=4
	s_or_b32 exec_lo, exec_lo, s34
	s_delay_alu instid0(SALU_CYCLE_1)
	s_and_b32 s3, s3, exec_lo
	s_or_saveexec_b32 s24, s24
	v_mov_b32_e32 v148, s14
	s_xor_b32 exec_lo, exec_lo, s24
	s_cbranch_execz .LBB2_479
.LBB2_694:                              ;   in Loop: Header=BB2_393 Depth=4
	v_cmp_ne_u16_e64 s13, 0, v147
	v_mov_b32_e32 v148, 0
	s_and_not1_b32 s3, s3, exec_lo
	s_delay_alu instid0(VALU_DEP_2) | instskip(NEXT) | instid1(SALU_CYCLE_1)
	s_and_b32 s13, s13, exec_lo
	s_or_b32 s3, s3, s13
	s_or_b32 exec_lo, exec_lo, s24
	s_and_saveexec_b32 s14, s3
	s_cbranch_execnz .LBB2_480
	s_branch .LBB2_481
.LBB2_695:                              ;   in Loop: Header=BB2_393 Depth=4
	s_mov_b32 s3, -1
	s_mov_b32 s34, exec_lo
                                        ; implicit-def: $sgpr14
	v_cmpx_eq_u16_e64 0x80, v149
; %bb.696:                              ;   in Loop: Header=BB2_393 Depth=4
	s_mov_b32 s14, 0x7f800001
	s_xor_b32 s3, exec_lo, -1
; %bb.697:                              ;   in Loop: Header=BB2_393 Depth=4
	s_or_b32 exec_lo, exec_lo, s34
	s_delay_alu instid0(SALU_CYCLE_1)
	s_and_b32 s3, s3, exec_lo
                                        ; implicit-def: $vgpr149
	s_or_saveexec_b32 s24, s24
	v_mov_b32_e32 v147, s14
	s_xor_b32 exec_lo, exec_lo, s24
	s_cbranch_execz .LBB2_491
.LBB2_698:                              ;   in Loop: Header=BB2_393 Depth=4
	v_cmp_ne_u16_e64 s13, 0, v149
	v_mov_b32_e32 v147, 0
	s_and_not1_b32 s3, s3, exec_lo
	s_delay_alu instid0(VALU_DEP_2) | instskip(NEXT) | instid1(SALU_CYCLE_1)
	s_and_b32 s13, s13, exec_lo
	s_or_b32 s3, s3, s13
	s_or_b32 exec_lo, exec_lo, s24
	s_and_saveexec_b32 s14, s3
	s_cbranch_execnz .LBB2_492
	s_branch .LBB2_493
.LBB2_699:                              ;   in Loop: Header=BB2_393 Depth=4
	s_mov_b32 s3, -1
	s_mov_b32 s34, exec_lo
                                        ; implicit-def: $sgpr14
	v_cmpx_eq_u16_e64 0x80, v150
; %bb.700:                              ;   in Loop: Header=BB2_393 Depth=4
	s_mov_b32 s14, 0x7f800001
	s_xor_b32 s3, exec_lo, -1
; %bb.701:                              ;   in Loop: Header=BB2_393 Depth=4
	s_or_b32 exec_lo, exec_lo, s34
	s_delay_alu instid0(SALU_CYCLE_1)
	s_and_b32 s3, s3, exec_lo
                                        ; implicit-def: $vgpr150
	s_or_saveexec_b32 s24, s24
	v_mov_b32_e32 v149, s14
	s_xor_b32 exec_lo, exec_lo, s24
	s_cbranch_execz .LBB2_495
.LBB2_702:                              ;   in Loop: Header=BB2_393 Depth=4
	v_cmp_ne_u16_e64 s13, 0, v150
	v_mov_b32_e32 v149, 0
	s_and_not1_b32 s3, s3, exec_lo
	s_delay_alu instid0(VALU_DEP_2) | instskip(NEXT) | instid1(SALU_CYCLE_1)
	s_and_b32 s13, s13, exec_lo
	s_or_b32 s3, s3, s13
	s_or_b32 exec_lo, exec_lo, s24
	s_and_saveexec_b32 s14, s3
	s_cbranch_execnz .LBB2_496
	s_branch .LBB2_497
.LBB2_703:                              ;   in Loop: Header=BB2_393 Depth=4
	s_mov_b32 s3, -1
	s_mov_b32 s34, exec_lo
                                        ; implicit-def: $sgpr14
	v_cmpx_eq_u16_e64 0x80, v149
; %bb.704:                              ;   in Loop: Header=BB2_393 Depth=4
	s_mov_b32 s14, 0x7f800001
	s_xor_b32 s3, exec_lo, -1
; %bb.705:                              ;   in Loop: Header=BB2_393 Depth=4
	s_or_b32 exec_lo, exec_lo, s34
	s_delay_alu instid0(SALU_CYCLE_1)
	s_and_b32 s3, s3, exec_lo
	s_or_saveexec_b32 s24, s24
	v_mov_b32_e32 v148, s14
	s_xor_b32 exec_lo, exec_lo, s24
	s_cbranch_execz .LBB2_507
.LBB2_706:                              ;   in Loop: Header=BB2_393 Depth=4
	v_cmp_ne_u16_e64 s13, 0, v149
	v_mov_b32_e32 v148, 0
	s_and_not1_b32 s3, s3, exec_lo
	s_delay_alu instid0(VALU_DEP_2) | instskip(NEXT) | instid1(SALU_CYCLE_1)
	s_and_b32 s13, s13, exec_lo
	s_or_b32 s3, s3, s13
	s_or_b32 exec_lo, exec_lo, s24
	s_and_saveexec_b32 s14, s3
	s_cbranch_execnz .LBB2_508
	s_branch .LBB2_509
.LBB2_707:                              ;   in Loop: Header=BB2_393 Depth=4
	s_mov_b32 s3, -1
	s_mov_b32 s34, exec_lo
                                        ; implicit-def: $sgpr14
	v_cmpx_eq_u16_e32 0x80, v13
; %bb.708:                              ;   in Loop: Header=BB2_393 Depth=4
	s_mov_b32 s14, 0x7f800001
	s_xor_b32 s3, exec_lo, -1
; %bb.709:                              ;   in Loop: Header=BB2_393 Depth=4
	s_or_b32 exec_lo, exec_lo, s34
	s_delay_alu instid0(SALU_CYCLE_1)
	s_and_b32 s3, s3, exec_lo
	s_or_saveexec_b32 s24, s24
	v_mov_b32_e32 v149, s14
	s_xor_b32 exec_lo, exec_lo, s24
	s_cbranch_execz .LBB2_511
.LBB2_710:                              ;   in Loop: Header=BB2_393 Depth=4
	v_cmp_ne_u16_e64 s13, 0, v13
	v_mov_b32_e32 v149, 0
	s_and_not1_b32 s3, s3, exec_lo
	s_delay_alu instid0(VALU_DEP_2) | instskip(NEXT) | instid1(SALU_CYCLE_1)
	s_and_b32 s13, s13, exec_lo
	s_or_b32 s3, s3, s13
	s_or_b32 exec_lo, exec_lo, s24
	s_and_saveexec_b32 s14, s3
	s_cbranch_execnz .LBB2_512
	s_branch .LBB2_513
.LBB2_711:                              ;   in Loop: Header=BB2_393 Depth=4
	s_mov_b32 s3, -1
	s_mov_b32 s34, exec_lo
                                        ; implicit-def: $sgpr14
	v_cmpx_eq_u16_e64 0x80, v148
; %bb.712:                              ;   in Loop: Header=BB2_393 Depth=4
	s_mov_b32 s14, 0x7f800001
	s_xor_b32 s3, exec_lo, -1
; %bb.713:                              ;   in Loop: Header=BB2_393 Depth=4
	s_or_b32 exec_lo, exec_lo, s34
	s_delay_alu instid0(SALU_CYCLE_1)
	s_and_b32 s3, s3, exec_lo
                                        ; implicit-def: $vgpr148
	s_or_saveexec_b32 s24, s24
	v_mov_b32_e32 v13, s14
	s_xor_b32 exec_lo, exec_lo, s24
	s_cbranch_execz .LBB2_523
.LBB2_714:                              ;   in Loop: Header=BB2_393 Depth=4
	v_cmp_ne_u16_e64 s13, 0, v148
	v_mov_b32_e32 v13, 0
	s_and_not1_b32 s3, s3, exec_lo
	s_delay_alu instid0(VALU_DEP_2) | instskip(NEXT) | instid1(SALU_CYCLE_1)
	s_and_b32 s13, s13, exec_lo
	s_or_b32 s3, s3, s13
	s_or_b32 exec_lo, exec_lo, s24
	s_and_saveexec_b32 s14, s3
	s_cbranch_execnz .LBB2_524
	s_branch .LBB2_525
.LBB2_715:                              ;   in Loop: Header=BB2_393 Depth=4
	s_mov_b32 s3, -1
	s_mov_b32 s34, exec_lo
                                        ; implicit-def: $sgpr14
	v_cmpx_eq_u16_e64 0x80, v149
; %bb.716:                              ;   in Loop: Header=BB2_393 Depth=4
	s_mov_b32 s14, 0x7f800001
	s_xor_b32 s3, exec_lo, -1
; %bb.717:                              ;   in Loop: Header=BB2_393 Depth=4
	s_or_b32 exec_lo, exec_lo, s34
	s_delay_alu instid0(SALU_CYCLE_1)
	s_and_b32 s3, s3, exec_lo
                                        ; implicit-def: $vgpr149
	s_or_saveexec_b32 s24, s24
	v_mov_b32_e32 v148, s14
	s_xor_b32 exec_lo, exec_lo, s24
	s_cbranch_execz .LBB2_527
.LBB2_718:                              ;   in Loop: Header=BB2_393 Depth=4
	v_cmp_ne_u16_e64 s13, 0, v149
	v_mov_b32_e32 v148, 0
	s_and_not1_b32 s3, s3, exec_lo
	s_delay_alu instid0(VALU_DEP_2) | instskip(NEXT) | instid1(SALU_CYCLE_1)
	s_and_b32 s13, s13, exec_lo
	s_or_b32 s3, s3, s13
	s_or_b32 exec_lo, exec_lo, s24
	s_and_saveexec_b32 s14, s3
	s_cbranch_execnz .LBB2_528
	s_branch .LBB2_529
.LBB2_719:                              ;   in Loop: Header=BB2_393 Depth=4
	s_mov_b32 s3, -1
	s_mov_b32 s34, exec_lo
                                        ; implicit-def: $sgpr14
	v_cmpx_eq_u16_e64 0x80, v149
; %bb.720:                              ;   in Loop: Header=BB2_393 Depth=4
	s_mov_b32 s14, 0x7f800001
	s_xor_b32 s3, exec_lo, -1
; %bb.721:                              ;   in Loop: Header=BB2_393 Depth=4
	s_or_b32 exec_lo, exec_lo, s34
	s_delay_alu instid0(SALU_CYCLE_1)
	s_and_b32 s3, s3, exec_lo
	s_or_saveexec_b32 s24, s24
	v_mov_b32_e32 v148, s14
	s_xor_b32 exec_lo, exec_lo, s24
	s_cbranch_execz .LBB2_539
.LBB2_722:                              ;   in Loop: Header=BB2_393 Depth=4
	v_cmp_ne_u16_e64 s13, 0, v149
	v_mov_b32_e32 v148, 0
	s_and_not1_b32 s3, s3, exec_lo
	s_delay_alu instid0(VALU_DEP_2) | instskip(NEXT) | instid1(SALU_CYCLE_1)
	s_and_b32 s13, s13, exec_lo
	s_or_b32 s3, s3, s13
	s_or_b32 exec_lo, exec_lo, s24
	s_and_saveexec_b32 s14, s3
	s_cbranch_execnz .LBB2_540
	s_branch .LBB2_541
.LBB2_723:                              ;   in Loop: Header=BB2_393 Depth=4
	s_mov_b32 s3, -1
	s_mov_b32 s34, exec_lo
                                        ; implicit-def: $sgpr14
	v_cmpx_eq_u16_e64 0x80, v149
; %bb.724:                              ;   in Loop: Header=BB2_393 Depth=4
	s_mov_b32 s14, 0x7f800001
	s_xor_b32 s3, exec_lo, -1
; %bb.725:                              ;   in Loop: Header=BB2_393 Depth=4
	s_or_b32 exec_lo, exec_lo, s34
	s_delay_alu instid0(SALU_CYCLE_1)
	s_and_b32 s3, s3, exec_lo
	s_or_saveexec_b32 s24, s24
	v_mov_b32_e32 v150, s14
	s_xor_b32 exec_lo, exec_lo, s24
	s_cbranch_execz .LBB2_543
.LBB2_726:                              ;   in Loop: Header=BB2_393 Depth=4
	v_cmp_ne_u16_e64 s13, 0, v149
	v_mov_b32_e32 v150, 0
	s_and_not1_b32 s3, s3, exec_lo
	s_delay_alu instid0(VALU_DEP_2) | instskip(NEXT) | instid1(SALU_CYCLE_1)
	s_and_b32 s13, s13, exec_lo
	s_or_b32 s3, s3, s13
	s_or_b32 exec_lo, exec_lo, s24
	s_and_saveexec_b32 s14, s3
	s_cbranch_execnz .LBB2_544
	s_branch .LBB2_545
.LBB2_727:                              ;   in Loop: Header=BB2_393 Depth=4
	s_mov_b32 s3, -1
	s_mov_b32 s34, exec_lo
                                        ; implicit-def: $sgpr14
	v_cmpx_eq_u16_e64 0x80, v151
; %bb.728:                              ;   in Loop: Header=BB2_393 Depth=4
	s_mov_b32 s14, 0x7f800001
	s_xor_b32 s3, exec_lo, -1
; %bb.729:                              ;   in Loop: Header=BB2_393 Depth=4
	s_or_b32 exec_lo, exec_lo, s34
	s_delay_alu instid0(SALU_CYCLE_1)
	s_and_b32 s3, s3, exec_lo
                                        ; implicit-def: $vgpr151
	s_or_saveexec_b32 s24, s24
	v_mov_b32_e32 v149, s14
	s_xor_b32 exec_lo, exec_lo, s24
	s_cbranch_execz .LBB2_555
.LBB2_730:                              ;   in Loop: Header=BB2_393 Depth=4
	v_cmp_ne_u16_e64 s13, 0, v151
	v_mov_b32_e32 v149, 0
	s_and_not1_b32 s3, s3, exec_lo
	s_delay_alu instid0(VALU_DEP_2) | instskip(NEXT) | instid1(SALU_CYCLE_1)
	s_and_b32 s13, s13, exec_lo
	s_or_b32 s3, s3, s13
	s_or_b32 exec_lo, exec_lo, s24
	s_and_saveexec_b32 s14, s3
	s_cbranch_execnz .LBB2_556
	s_branch .LBB2_557
.LBB2_731:                              ;   in Loop: Header=BB2_393 Depth=4
	s_mov_b32 s3, -1
	s_mov_b32 s34, exec_lo
                                        ; implicit-def: $sgpr14
	v_cmpx_eq_u16_e64 0x80, v160
; %bb.732:                              ;   in Loop: Header=BB2_393 Depth=4
	s_mov_b32 s14, 0x7f800001
	s_xor_b32 s3, exec_lo, -1
; %bb.733:                              ;   in Loop: Header=BB2_393 Depth=4
	s_or_b32 exec_lo, exec_lo, s34
	s_delay_alu instid0(SALU_CYCLE_1)
	s_and_b32 s3, s3, exec_lo
                                        ; implicit-def: $vgpr160
	s_or_saveexec_b32 s24, s24
	v_mov_b32_e32 v151, s14
	s_xor_b32 exec_lo, exec_lo, s24
	s_cbranch_execz .LBB2_559
.LBB2_734:                              ;   in Loop: Header=BB2_393 Depth=4
	v_cmp_ne_u16_e64 s13, 0, v160
	v_mov_b32_e32 v151, 0
	s_and_not1_b32 s3, s3, exec_lo
	s_delay_alu instid0(VALU_DEP_2) | instskip(NEXT) | instid1(SALU_CYCLE_1)
	s_and_b32 s13, s13, exec_lo
	s_or_b32 s3, s3, s13
	s_or_b32 exec_lo, exec_lo, s24
	s_and_saveexec_b32 s14, s3
	s_cbranch_execnz .LBB2_560
	s_branch .LBB2_561
.LBB2_735:                              ;   in Loop: Header=BB2_393 Depth=4
	s_mov_b32 s3, -1
	s_mov_b32 s34, exec_lo
                                        ; implicit-def: $sgpr14
	v_cmpx_eq_u16_e64 0x80, v151
; %bb.736:                              ;   in Loop: Header=BB2_393 Depth=4
	s_mov_b32 s14, 0x7f800001
	s_xor_b32 s3, exec_lo, -1
; %bb.737:                              ;   in Loop: Header=BB2_393 Depth=4
	s_or_b32 exec_lo, exec_lo, s34
	s_delay_alu instid0(SALU_CYCLE_1)
	s_and_b32 s3, s3, exec_lo
	s_or_saveexec_b32 s24, s24
	v_mov_b32_e32 v150, s14
	s_xor_b32 exec_lo, exec_lo, s24
	s_cbranch_execz .LBB2_571
.LBB2_738:                              ;   in Loop: Header=BB2_393 Depth=4
	v_cmp_ne_u16_e64 s13, 0, v151
	v_mov_b32_e32 v150, 0
	s_and_not1_b32 s3, s3, exec_lo
	s_delay_alu instid0(VALU_DEP_2) | instskip(NEXT) | instid1(SALU_CYCLE_1)
	s_and_b32 s13, s13, exec_lo
	s_or_b32 s3, s3, s13
	s_or_b32 exec_lo, exec_lo, s24
	s_and_saveexec_b32 s14, s3
	s_cbranch_execnz .LBB2_572
	s_branch .LBB2_573
.LBB2_739:                              ;   in Loop: Header=BB2_393 Depth=4
	s_mov_b32 s3, -1
	s_mov_b32 s34, exec_lo
                                        ; implicit-def: $sgpr14
	v_cmpx_eq_u16_e32 0x80, v14
; %bb.740:                              ;   in Loop: Header=BB2_393 Depth=4
	s_mov_b32 s14, 0x7f800001
	s_xor_b32 s3, exec_lo, -1
; %bb.741:                              ;   in Loop: Header=BB2_393 Depth=4
	s_or_b32 exec_lo, exec_lo, s34
	s_delay_alu instid0(SALU_CYCLE_1)
	s_and_b32 s3, s3, exec_lo
	s_or_saveexec_b32 s24, s24
	v_mov_b32_e32 v151, s14
	s_xor_b32 exec_lo, exec_lo, s24
	s_cbranch_execz .LBB2_575
.LBB2_742:                              ;   in Loop: Header=BB2_393 Depth=4
	v_cmp_ne_u16_e64 s13, 0, v14
	v_mov_b32_e32 v151, 0
	s_and_not1_b32 s3, s3, exec_lo
	s_delay_alu instid0(VALU_DEP_2) | instskip(NEXT) | instid1(SALU_CYCLE_1)
	s_and_b32 s13, s13, exec_lo
	s_or_b32 s3, s3, s13
	s_or_b32 exec_lo, exec_lo, s24
	s_and_saveexec_b32 s14, s3
	s_cbranch_execnz .LBB2_576
	s_branch .LBB2_577
.LBB2_743:                              ;   in Loop: Header=BB2_393 Depth=4
	s_mov_b32 s3, -1
	s_mov_b32 s34, exec_lo
                                        ; implicit-def: $sgpr14
	v_cmpx_eq_u16_e64 0x80, v150
; %bb.744:                              ;   in Loop: Header=BB2_393 Depth=4
	s_mov_b32 s14, 0x7f800001
	s_xor_b32 s3, exec_lo, -1
; %bb.745:                              ;   in Loop: Header=BB2_393 Depth=4
	s_or_b32 exec_lo, exec_lo, s34
	s_delay_alu instid0(SALU_CYCLE_1)
	s_and_b32 s3, s3, exec_lo
                                        ; implicit-def: $vgpr150
	s_or_saveexec_b32 s24, s24
	v_mov_b32_e32 v14, s14
	s_xor_b32 exec_lo, exec_lo, s24
	s_cbranch_execz .LBB2_587
.LBB2_746:                              ;   in Loop: Header=BB2_393 Depth=4
	v_cmp_ne_u16_e64 s13, 0, v150
	v_mov_b32_e32 v14, 0
	s_and_not1_b32 s3, s3, exec_lo
	s_delay_alu instid0(VALU_DEP_2) | instskip(NEXT) | instid1(SALU_CYCLE_1)
	s_and_b32 s13, s13, exec_lo
	s_or_b32 s3, s3, s13
	s_or_b32 exec_lo, exec_lo, s24
	s_and_saveexec_b32 s14, s3
	s_cbranch_execnz .LBB2_588
	s_branch .LBB2_589
.LBB2_747:                              ;   in Loop: Header=BB2_393 Depth=4
	s_mov_b32 s3, -1
	s_mov_b32 s34, exec_lo
                                        ; implicit-def: $sgpr14
	v_cmpx_eq_u16_e64 0x80, v151
; %bb.748:                              ;   in Loop: Header=BB2_393 Depth=4
	s_mov_b32 s14, 0x7f800001
	s_xor_b32 s3, exec_lo, -1
; %bb.749:                              ;   in Loop: Header=BB2_393 Depth=4
	s_or_b32 exec_lo, exec_lo, s34
	s_delay_alu instid0(SALU_CYCLE_1)
	s_and_b32 s3, s3, exec_lo
                                        ; implicit-def: $vgpr151
	s_or_saveexec_b32 s24, s24
	v_mov_b32_e32 v150, s14
	s_xor_b32 exec_lo, exec_lo, s24
	s_cbranch_execz .LBB2_591
.LBB2_750:                              ;   in Loop: Header=BB2_393 Depth=4
	v_cmp_ne_u16_e64 s13, 0, v151
	v_mov_b32_e32 v150, 0
	s_and_not1_b32 s3, s3, exec_lo
	s_delay_alu instid0(VALU_DEP_2) | instskip(NEXT) | instid1(SALU_CYCLE_1)
	s_and_b32 s13, s13, exec_lo
	s_or_b32 s3, s3, s13
	s_or_b32 exec_lo, exec_lo, s24
	s_and_saveexec_b32 s14, s3
	s_cbranch_execnz .LBB2_592
	s_branch .LBB2_593
.LBB2_751:                              ;   in Loop: Header=BB2_393 Depth=4
	s_mov_b32 s3, -1
	s_mov_b32 s34, exec_lo
                                        ; implicit-def: $sgpr14
	v_cmpx_eq_u16_e64 0x80, v151
; %bb.752:                              ;   in Loop: Header=BB2_393 Depth=4
	s_mov_b32 s14, 0x7f800001
	s_xor_b32 s3, exec_lo, -1
; %bb.753:                              ;   in Loop: Header=BB2_393 Depth=4
	s_or_b32 exec_lo, exec_lo, s34
	s_delay_alu instid0(SALU_CYCLE_1)
	s_and_b32 s3, s3, exec_lo
	s_or_saveexec_b32 s24, s24
	v_mov_b32_e32 v150, s14
	s_xor_b32 exec_lo, exec_lo, s24
	s_cbranch_execz .LBB2_603
.LBB2_754:                              ;   in Loop: Header=BB2_393 Depth=4
	v_cmp_ne_u16_e64 s13, 0, v151
	v_mov_b32_e32 v150, 0
	s_and_not1_b32 s3, s3, exec_lo
	s_delay_alu instid0(VALU_DEP_2) | instskip(NEXT) | instid1(SALU_CYCLE_1)
	s_and_b32 s13, s13, exec_lo
	s_or_b32 s3, s3, s13
	s_or_b32 exec_lo, exec_lo, s24
	s_and_saveexec_b32 s14, s3
	s_cbranch_execnz .LBB2_604
	s_branch .LBB2_605
.LBB2_755:                              ;   in Loop: Header=BB2_393 Depth=4
	s_mov_b32 s3, -1
	s_mov_b32 s34, exec_lo
                                        ; implicit-def: $sgpr14
	v_cmpx_eq_u16_e64 0x80, v151
; %bb.756:                              ;   in Loop: Header=BB2_393 Depth=4
	s_mov_b32 s14, 0x7f800001
	s_xor_b32 s3, exec_lo, -1
; %bb.757:                              ;   in Loop: Header=BB2_393 Depth=4
	s_or_b32 exec_lo, exec_lo, s34
	s_delay_alu instid0(SALU_CYCLE_1)
	s_and_b32 s3, s3, exec_lo
	s_or_saveexec_b32 s24, s24
	v_mov_b32_e32 v160, s14
	s_xor_b32 exec_lo, exec_lo, s24
	s_cbranch_execz .LBB2_607
.LBB2_758:                              ;   in Loop: Header=BB2_393 Depth=4
	v_cmp_ne_u16_e64 s13, 0, v151
	v_mov_b32_e32 v160, 0
	s_and_not1_b32 s3, s3, exec_lo
	s_delay_alu instid0(VALU_DEP_2) | instskip(NEXT) | instid1(SALU_CYCLE_1)
	s_and_b32 s13, s13, exec_lo
	s_or_b32 s3, s3, s13
	s_or_b32 exec_lo, exec_lo, s24
	s_and_saveexec_b32 s14, s3
	s_cbranch_execnz .LBB2_608
	s_branch .LBB2_609
.LBB2_759:                              ;   in Loop: Header=BB2_393 Depth=4
	s_mov_b32 s3, -1
	s_mov_b32 s34, exec_lo
                                        ; implicit-def: $sgpr14
	v_cmpx_eq_u16_e64 0x80, v161
; %bb.760:                              ;   in Loop: Header=BB2_393 Depth=4
	s_mov_b32 s14, 0x7f800001
	s_xor_b32 s3, exec_lo, -1
; %bb.761:                              ;   in Loop: Header=BB2_393 Depth=4
	s_or_b32 exec_lo, exec_lo, s34
	s_delay_alu instid0(SALU_CYCLE_1)
	s_and_b32 s3, s3, exec_lo
                                        ; implicit-def: $vgpr161
	s_or_saveexec_b32 s24, s24
	v_mov_b32_e32 v151, s14
	s_xor_b32 exec_lo, exec_lo, s24
	s_cbranch_execz .LBB2_619
.LBB2_762:                              ;   in Loop: Header=BB2_393 Depth=4
	v_cmp_ne_u16_e64 s13, 0, v161
	v_mov_b32_e32 v151, 0
	s_and_not1_b32 s3, s3, exec_lo
	s_delay_alu instid0(VALU_DEP_2) | instskip(NEXT) | instid1(SALU_CYCLE_1)
	s_and_b32 s13, s13, exec_lo
	s_or_b32 s3, s3, s13
	s_or_b32 exec_lo, exec_lo, s24
	s_and_saveexec_b32 s14, s3
	s_cbranch_execnz .LBB2_620
	s_branch .LBB2_621
.LBB2_763:                              ;   in Loop: Header=BB2_393 Depth=4
	s_mov_b32 s3, -1
	s_mov_b32 s34, exec_lo
                                        ; implicit-def: $sgpr14
	v_cmpx_eq_u16_e64 0x80, v162
; %bb.764:                              ;   in Loop: Header=BB2_393 Depth=4
	s_mov_b32 s14, 0x7f800001
	s_xor_b32 s3, exec_lo, -1
; %bb.765:                              ;   in Loop: Header=BB2_393 Depth=4
	s_or_b32 exec_lo, exec_lo, s34
	s_delay_alu instid0(SALU_CYCLE_1)
	s_and_b32 s3, s3, exec_lo
                                        ; implicit-def: $vgpr162
	s_or_saveexec_b32 s24, s24
	v_mov_b32_e32 v161, s14
	s_xor_b32 exec_lo, exec_lo, s24
	s_cbranch_execz .LBB2_623
.LBB2_766:                              ;   in Loop: Header=BB2_393 Depth=4
	v_cmp_ne_u16_e64 s13, 0, v162
	v_mov_b32_e32 v161, 0
	s_and_not1_b32 s3, s3, exec_lo
	s_delay_alu instid0(VALU_DEP_2) | instskip(NEXT) | instid1(SALU_CYCLE_1)
	s_and_b32 s13, s13, exec_lo
	s_or_b32 s3, s3, s13
	s_or_b32 exec_lo, exec_lo, s24
	s_and_saveexec_b32 s14, s3
	s_cbranch_execnz .LBB2_624
	s_branch .LBB2_625
.LBB2_767:                              ;   in Loop: Header=BB2_393 Depth=4
	s_mov_b32 s3, -1
	s_mov_b32 s34, exec_lo
                                        ; implicit-def: $sgpr14
	v_cmpx_eq_u16_e64 0x80, v161
; %bb.768:                              ;   in Loop: Header=BB2_393 Depth=4
	s_mov_b32 s14, 0x7f800001
	s_xor_b32 s3, exec_lo, -1
; %bb.769:                              ;   in Loop: Header=BB2_393 Depth=4
	s_or_b32 exec_lo, exec_lo, s34
	s_delay_alu instid0(SALU_CYCLE_1)
	s_and_b32 s3, s3, exec_lo
	s_or_saveexec_b32 s24, s24
	v_mov_b32_e32 v160, s14
	s_xor_b32 exec_lo, exec_lo, s24
	s_cbranch_execz .LBB2_635
.LBB2_770:                              ;   in Loop: Header=BB2_393 Depth=4
	v_cmp_ne_u16_e64 s13, 0, v161
	v_mov_b32_e32 v160, 0
	s_and_not1_b32 s3, s3, exec_lo
	s_delay_alu instid0(VALU_DEP_2) | instskip(NEXT) | instid1(SALU_CYCLE_1)
	s_and_b32 s13, s13, exec_lo
	s_or_b32 s3, s3, s13
	s_or_b32 exec_lo, exec_lo, s24
	s_and_saveexec_b32 s14, s3
	s_cbranch_execnz .LBB2_636
	s_branch .LBB2_637
.LBB2_771:                              ;   in Loop: Header=BB2_393 Depth=4
	s_mov_b32 s3, -1
	s_mov_b32 s34, exec_lo
                                        ; implicit-def: $sgpr14
	v_cmpx_eq_u16_e32 0x80, v15
; %bb.772:                              ;   in Loop: Header=BB2_393 Depth=4
	s_mov_b32 s14, 0x7f800001
	s_xor_b32 s3, exec_lo, -1
; %bb.773:                              ;   in Loop: Header=BB2_393 Depth=4
	s_or_b32 exec_lo, exec_lo, s34
	s_delay_alu instid0(SALU_CYCLE_1)
	s_and_b32 s3, s3, exec_lo
	s_or_saveexec_b32 s24, s24
	v_mov_b32_e32 v161, s14
	s_xor_b32 exec_lo, exec_lo, s24
	s_cbranch_execz .LBB2_639
.LBB2_774:                              ;   in Loop: Header=BB2_393 Depth=4
	v_cmp_ne_u16_e64 s13, 0, v15
	v_mov_b32_e32 v161, 0
	s_and_not1_b32 s3, s3, exec_lo
	s_delay_alu instid0(VALU_DEP_2) | instskip(NEXT) | instid1(SALU_CYCLE_1)
	s_and_b32 s13, s13, exec_lo
	s_or_b32 s3, s3, s13
	s_or_b32 exec_lo, exec_lo, s24
	s_and_saveexec_b32 s14, s3
	s_cbranch_execnz .LBB2_640
	s_branch .LBB2_641
.LBB2_775:                              ;   in Loop: Header=BB2_305 Depth=3
	s_or_b32 exec_lo, exec_lo, s31
.LBB2_776:                              ;   in Loop: Header=BB2_305 Depth=3
	s_delay_alu instid0(SALU_CYCLE_1) | instskip(SKIP_3) | instid1(VALU_DEP_1)
	s_or_b32 exec_lo, exec_lo, s30
	v_dual_mov_b32 v14, 0 :: v_dual_and_b32 v9, 15, v55
	s_mov_b32 s3, 0
	s_mov_b32 s30, exec_lo
                                        ; implicit-def: $vgpr15
                                        ; implicit-def: $vgpr66
                                        ; implicit-def: $vgpr8
	v_cndmask_b32_e32 v132, v133, v9, vcc_lo
	s_delay_alu instid0(VALU_DEP_1)
	v_cmpx_ne_u32_e32 0, v132
	s_cbranch_execz .LBB2_1169
; %bb.777:                              ;   in Loop: Header=BB2_305 Depth=3
	v_cmp_lt_i32_e64 s13, 0, v134
	v_ashrrev_i32_e32 v11, 31, v132
	v_sub_nc_u32_e32 v9, v133, v9
	s_mov_b32 s31, exec_lo
	s_delay_alu instid0(VALU_DEP_3) | instskip(NEXT) | instid1(VALU_DEP_3)
	v_cndmask_b32_e64 v8, 0, v83, s13
	v_lshrrev_b32_e32 v11, 23, v11
	s_delay_alu instid0(VALU_DEP_3) | instskip(NEXT) | instid1(VALU_DEP_3)
	v_cndmask_b32_e32 v9, 0, v9, vcc_lo
	v_sub_nc_u32_e32 v8, v8, v134
	s_delay_alu instid0(VALU_DEP_3) | instskip(NEXT) | instid1(VALU_DEP_3)
	v_add_nc_u32_e32 v11, v132, v11
	v_add_nc_u32_e32 v2, v9, v2
	s_delay_alu instid0(VALU_DEP_3) | instskip(NEXT) | instid1(VALU_DEP_3)
	v_lshl_add_u32 v8, v8, 5, v85
	v_and_b32_e32 v134, 0xfffffe00, v11
	v_ashrrev_i32_e32 v11, 9, v11
	s_delay_alu instid0(VALU_DEP_3) | instskip(NEXT) | instid1(VALU_DEP_3)
	v_ashrrev_i32_e32 v10, 31, v8
	v_sub_nc_u32_e32 v133, v132, v134
	s_delay_alu instid0(VALU_DEP_2) | instskip(NEXT) | instid1(VALU_DEP_2)
	v_lshrrev_b32_e32 v10, 27, v10
	v_cmp_lt_i32_e32 vcc_lo, 15, v133
	s_delay_alu instid0(VALU_DEP_2) | instskip(SKIP_1) | instid1(VALU_DEP_2)
	v_add_nc_u32_e32 v10, v8, v10
	v_add_co_ci_u32_e64 v11, s13, 0, v11, vcc_lo
	v_and_b32_e32 v12, 0xffffffe0, v10
	v_ashrrev_i32_e32 v10, 5, v10
	s_delay_alu instid0(VALU_DEP_2) | instskip(NEXT) | instid1(VALU_DEP_2)
	v_sub_nc_u32_e32 v135, v8, v12
	v_sub_nc_u32_e32 v144, v11, v10
	s_delay_alu instid0(VALU_DEP_2) | instskip(NEXT) | instid1(VALU_DEP_1)
	v_lshlrev_b32_e32 v8, 4, v135
	v_lshl_add_u32 v8, v10, 9, v8
	s_delay_alu instid0(VALU_DEP_1) | instskip(NEXT) | instid1(VALU_DEP_1)
	v_sub_nc_u32_e32 v145, v132, v8
	v_cmpx_lt_i32_e32 15, v145
	s_cbranch_execz .LBB2_1166
; %bb.778:                              ;   in Loop: Header=BB2_305 Depth=3
	s_cbranch_execz .LBB2_779
; %bb.5038:
	s_getpc_b64 s[46:47]
.Lpost_getpc76:
	s_add_u32 s46, s46, (.LBB2_4684-.Lpost_getpc76)&4294967295
	s_addc_u32 s47, s47, (.LBB2_4684-.Lpost_getpc76)>>32
	s_setpc_b64 s[46:47]
.LBB2_779:                              ;   in Loop: Header=BB2_305 Depth=3
	ds_load_b128 v[9:12], v0
	ds_load_b64 v[13:14], v0
	v_add_nc_u32_e32 v8, v8, v2
	s_mov_b32 s34, 0
	s_delay_alu instid0(VALU_DEP_1) | instskip(SKIP_2) | instid1(VALU_DEP_1)
	v_ashrrev_i32_e32 v15, 31, v8
	s_waitcnt lgkmcnt(1)
	v_add_co_u32 v66, s13, v9, v8
	v_add_co_ci_u32_e64 v67, s13, v10, v15, s13
	v_add_co_u32 v68, s13, v11, v8
	s_delay_alu instid0(VALU_DEP_1) | instskip(SKIP_2) | instid1(VALU_DEP_1)
	v_add_co_ci_u32_e64 v69, s13, v12, v15, s13
	s_waitcnt lgkmcnt(0)
	v_add_co_u32 v70, s13, v13, v8
	v_add_co_ci_u32_e64 v71, s13, v14, v15, s13
	s_branch .LBB2_783
.LBB2_780:                              ;   in Loop: Header=BB2_783 Depth=4
	s_or_b32 exec_lo, exec_lo, s13
	s_delay_alu instid0(VALU_DEP_1) | instskip(NEXT) | instid1(VALU_DEP_2)
	v_lshrrev_b32_e32 v163, 20, v163
	v_min_i32_e32 v164, 15, v15
	v_cmp_gt_i32_e64 s13, 16, v15
	v_lshrrev_b32_e32 v11, 24, v11
	s_delay_alu instid0(VALU_DEP_3) | instskip(NEXT) | instid1(VALU_DEP_3)
	v_lshlrev_b32_e32 v164, 3, v164
	v_cndmask_b32_e64 v163, 7, v163, s13
	s_delay_alu instid0(VALU_DEP_3) | instskip(NEXT) | instid1(VALU_DEP_3)
	v_and_b32_e32 v11, 0x80, v11
	v_and_b32_e32 v164, 0xf8, v164
	s_delay_alu instid0(VALU_DEP_3) | instskip(SKIP_1) | instid1(VALU_DEP_2)
	v_and_b32_e32 v165, 7, v163
	v_or_b32_e32 v15, v15, v163
	v_or3_b32 v11, v11, v164, v165
	s_delay_alu instid0(VALU_DEP_2) | instskip(NEXT) | instid1(VALU_DEP_2)
	v_cmp_ne_u32_e64 s13, 0, v15
	v_lshlrev_b32_e32 v11, 8, v11
	s_delay_alu instid0(VALU_DEP_1)
	v_cndmask_b32_e64 v15, 0, v11, s13
.LBB2_781:                              ;   in Loop: Header=BB2_783 Depth=4
	s_or_b32 exec_lo, exec_lo, s24
.LBB2_782:                              ;   in Loop: Header=BB2_783 Depth=4
	s_delay_alu instid0(SALU_CYCLE_1)
	s_or_b32 exec_lo, exec_lo, s3
	v_or_b32_e32 v9, v9, v150
	v_and_b32_e32 v11, 0xff, v148
	v_lshlrev_b32_e32 v147, 8, v147
	v_and_b32_e32 v148, 0xff, v160
	v_lshlrev_b32_e32 v150, 8, v151
	v_or_b32_e32 v15, v15, v162
	v_and_b32_e32 v12, 0xff, v12
	v_lshlrev_b32_e32 v8, 24, v8
	v_lshlrev_b32_e32 v9, 16, v9
	;; [unrolled: 1-line block ×3, first 2 shown]
	v_perm_b32 v146, v147, v146, 0xc0c0500
	v_lshlrev_b32_e32 v10, 24, v10
	v_lshlrev_b32_e32 v147, 16, v148
	v_perm_b32 v13, v150, v13, 0xc0c0500
	v_and_b32_e32 v14, 0xff, v14
	v_lshlrev_b32_e32 v15, 16, v15
	v_add_co_u32 v66, s13, v66, v100
	v_or3_b32 v9, v149, v12, v9
	v_or3_b32 v8, v8, v11, v146
	;; [unrolled: 1-line block ×4, first 2 shown]
	v_sub_nc_u32_e32 v145, v145, v86
	v_add_co_ci_u32_e64 v67, s13, v67, v101, s13
	v_add_co_u32 v68, s13, v68, v100
	s_delay_alu instid0(VALU_DEP_1) | instskip(SKIP_3) | instid1(VALU_DEP_1)
	v_add_co_ci_u32_e64 v69, s13, v69, v101, s13
	global_store_b128 v[70:71], v[8:11], off glc slc dlc
	v_cmp_gt_i32_e64 s13, 16, v145
	v_add_co_u32 v70, s14, v70, v100
	v_add_co_ci_u32_e64 v71, s14, v71, v101, s14
	v_sub_nc_u32_e32 v144, v144, v83
	s_delay_alu instid0(VALU_DEP_4) | instskip(NEXT) | instid1(SALU_CYCLE_1)
	s_or_b32 s34, s13, s34
	s_and_not1_b32 exec_lo, exec_lo, s34
	s_cbranch_execz .LBB2_1165
.LBB2_783:                              ;   Parent Loop BB2_51 Depth=1
                                        ;     Parent Loop BB2_303 Depth=2
                                        ;       Parent Loop BB2_305 Depth=3
                                        ; =>      This Inner Loop Header: Depth=4
	global_load_b128 v[12:15], v[66:67], off slc dlc
	global_load_b128 v[8:11], v[68:69], off slc dlc
	s_mov_b32 s3, 0
	s_mov_b32 s24, exec_lo
                                        ; implicit-def: $sgpr14
	s_waitcnt vmcnt(1)
	v_and_b32_e32 v147, 0xff, v12
	s_delay_alu instid0(VALU_DEP_1)
	v_cmpx_lt_i16_e64 0x7f, v147
	s_xor_b32 s24, exec_lo, s24
	s_cbranch_execnz .LBB2_1037
; %bb.784:                              ;   in Loop: Header=BB2_783 Depth=4
	s_or_saveexec_b32 s24, s24
	v_mov_b32_e32 v146, s14
	s_xor_b32 exec_lo, exec_lo, s24
	s_cbranch_execnz .LBB2_1040
.LBB2_785:                              ;   in Loop: Header=BB2_783 Depth=4
	s_or_b32 exec_lo, exec_lo, s24
	s_and_saveexec_b32 s14, s3
	s_cbranch_execz .LBB2_787
.LBB2_786:                              ;   in Loop: Header=BB2_783 Depth=4
	v_and_b32_e32 v146, 7, v12
	v_bfe_u32 v149, v12, 3, 4
	v_lshlrev_b32_e32 v150, 24, v12
	s_delay_alu instid0(VALU_DEP_3) | instskip(NEXT) | instid1(VALU_DEP_3)
	v_clz_i32_u32_e32 v147, v146
	v_cmp_eq_u32_e64 s13, 0, v149
	s_delay_alu instid0(VALU_DEP_2) | instskip(NEXT) | instid1(VALU_DEP_1)
	v_min_u32_e32 v147, 32, v147
	v_subrev_nc_u32_e32 v148, 28, v147
	v_sub_nc_u32_e32 v147, 29, v147
	s_delay_alu instid0(VALU_DEP_2) | instskip(NEXT) | instid1(VALU_DEP_2)
	v_lshlrev_b32_e32 v148, v148, v12
	v_cndmask_b32_e64 v147, v149, v147, s13
	s_delay_alu instid0(VALU_DEP_2) | instskip(NEXT) | instid1(VALU_DEP_2)
	v_and_b32_e32 v148, 7, v148
	v_lshl_add_u32 v147, v147, 23, 0x3b800000
	s_delay_alu instid0(VALU_DEP_2) | instskip(SKIP_1) | instid1(VALU_DEP_2)
	v_cndmask_b32_e64 v146, v146, v148, s13
	v_and_b32_e32 v148, 0x80000000, v150
	v_lshlrev_b32_e32 v146, 20, v146
	s_delay_alu instid0(VALU_DEP_1)
	v_or3_b32 v146, v148, v147, v146
.LBB2_787:                              ;   in Loop: Header=BB2_783 Depth=4
	s_or_b32 exec_lo, exec_lo, s14
	s_waitcnt vmcnt(0)
	v_and_b32_e32 v148, 0xff, v8
	s_mov_b32 s3, 0
	s_mov_b32 s24, exec_lo
                                        ; implicit-def: $sgpr14
	s_delay_alu instid0(VALU_DEP_1)
	v_cmpx_lt_i16_e64 0x7f, v148
	s_xor_b32 s24, exec_lo, s24
	s_cbranch_execnz .LBB2_1041
; %bb.788:                              ;   in Loop: Header=BB2_783 Depth=4
	s_or_saveexec_b32 s24, s24
	v_mov_b32_e32 v147, s14
	s_xor_b32 exec_lo, exec_lo, s24
	s_cbranch_execnz .LBB2_1044
.LBB2_789:                              ;   in Loop: Header=BB2_783 Depth=4
	s_or_b32 exec_lo, exec_lo, s24
	s_and_saveexec_b32 s14, s3
	s_cbranch_execz .LBB2_791
.LBB2_790:                              ;   in Loop: Header=BB2_783 Depth=4
	v_and_b32_e32 v147, 7, v8
	v_bfe_u32 v150, v8, 3, 4
	v_lshlrev_b32_e32 v151, 24, v8
	s_delay_alu instid0(VALU_DEP_3) | instskip(NEXT) | instid1(VALU_DEP_3)
	v_clz_i32_u32_e32 v148, v147
	v_cmp_eq_u32_e64 s13, 0, v150
	s_delay_alu instid0(VALU_DEP_2) | instskip(NEXT) | instid1(VALU_DEP_1)
	v_min_u32_e32 v148, 32, v148
	v_subrev_nc_u32_e32 v149, 28, v148
	v_sub_nc_u32_e32 v148, 29, v148
	s_delay_alu instid0(VALU_DEP_2) | instskip(NEXT) | instid1(VALU_DEP_2)
	v_lshlrev_b32_e32 v149, v149, v8
	v_cndmask_b32_e64 v148, v150, v148, s13
	s_delay_alu instid0(VALU_DEP_2) | instskip(NEXT) | instid1(VALU_DEP_2)
	v_and_b32_e32 v149, 7, v149
	v_lshl_add_u32 v148, v148, 23, 0x3b800000
	s_delay_alu instid0(VALU_DEP_2) | instskip(SKIP_1) | instid1(VALU_DEP_2)
	v_cndmask_b32_e64 v147, v147, v149, s13
	v_and_b32_e32 v149, 0x80000000, v151
	v_lshlrev_b32_e32 v147, 20, v147
	s_delay_alu instid0(VALU_DEP_1)
	v_or3_b32 v147, v149, v148, v147
.LBB2_791:                              ;   in Loop: Header=BB2_783 Depth=4
	s_or_b32 exec_lo, exec_lo, s14
	s_delay_alu instid0(VALU_DEP_1) | instskip(NEXT) | instid1(VALU_DEP_1)
	v_add_f32_e32 v147, v146, v147
	v_and_b32_e32 v146, 0x7f800000, v147
	s_delay_alu instid0(VALU_DEP_1) | instskip(SKIP_1) | instid1(VALU_DEP_2)
	v_cmp_ne_u32_e64 s13, 0x7f800000, v146
	v_mov_b32_e32 v146, 0x80
	s_and_saveexec_b32 s3, s13
	s_cbranch_execz .LBB2_799
; %bb.792:                              ;   in Loop: Header=BB2_783 Depth=4
	v_mov_b32_e32 v146, 0
	s_mov_b32 s24, exec_lo
	v_cmpx_ne_u32_e32 0, v147
	s_cbranch_execz .LBB2_798
; %bb.793:                              ;   in Loop: Header=BB2_783 Depth=4
	v_bfe_u32 v146, v147, 23, 8
	v_and_b32_e32 v148, 0x7fffff, v147
	s_delay_alu instid0(VALU_DEP_2) | instskip(SKIP_1) | instid1(VALU_DEP_3)
	v_sub_nc_u32_e32 v149, 0x78, v146
	v_cmp_gt_u32_e64 s13, 0x79, v146
	v_or_b32_e32 v150, 0x800000, v148
	s_delay_alu instid0(VALU_DEP_2) | instskip(SKIP_2) | instid1(VALU_DEP_2)
	v_cndmask_b32_e64 v149, 0, v149, s13
	v_cmp_eq_u32_e64 s13, 0, v146
	v_add_nc_u32_e32 v146, 0xffffff89, v146
	v_cndmask_b32_e64 v149, v149, 0x77, s13
	v_cndmask_b32_e64 v148, v150, v148, s13
	s_delay_alu instid0(VALU_DEP_3) | instskip(NEXT) | instid1(VALU_DEP_3)
	v_cndmask_b32_e64 v146, v146, 0xffffff8a, s13
	v_lshl_add_u32 v150, 0x100000, v149, -1
	s_delay_alu instid0(VALU_DEP_3) | instskip(SKIP_1) | instid1(VALU_DEP_4)
	v_lshrrev_b32_e32 v151, v149, v148
	v_lshlrev_b32_e64 v161, v149, 0x80000
	v_add_nc_u32_e32 v149, v149, v146
	s_delay_alu instid0(VALU_DEP_4) | instskip(NEXT) | instid1(VALU_DEP_4)
	v_and_b32_e32 v148, v150, v148
	v_bfe_u32 v160, v151, 20, 1
	s_delay_alu instid0(VALU_DEP_2) | instskip(NEXT) | instid1(VALU_DEP_2)
	v_cmp_eq_u32_e64 s14, v148, v161
	v_add_nc_u32_e32 v150, -1, v160
	s_delay_alu instid0(VALU_DEP_1) | instskip(SKIP_2) | instid1(VALU_DEP_2)
	v_cndmask_b32_e64 v148, 0, v150, s14
	v_lshrrev_b32_e32 v150, 23, v151
	s_mov_b32 s14, exec_lo
	v_add_nc_u32_e32 v148, v148, v151
	s_delay_alu instid0(VALU_DEP_2) | instskip(NEXT) | instid1(VALU_DEP_2)
	v_xor_b32_e32 v150, 1, v150
	v_and_b32_e32 v146, 0xfffff, v148
	s_delay_alu instid0(VALU_DEP_1) | instskip(NEXT) | instid1(VALU_DEP_3)
	v_add_nc_u32_e32 v148, v146, v151
                                        ; implicit-def: $vgpr146
	v_cmpx_ne_u32_e64 v149, v150
	s_xor_b32 s14, exec_lo, s14
; %bb.794:                              ;   in Loop: Header=BB2_783 Depth=4
	s_delay_alu instid0(VALU_DEP_2) | instskip(SKIP_1) | instid1(VALU_DEP_2)
	v_cmp_lt_u32_e64 s13, 0xffffff, v148
	v_sub_nc_u32_e32 v146, v149, v150
	v_cndmask_b32_e64 v149, 0, 1, s13
	s_delay_alu instid0(VALU_DEP_2) | instskip(NEXT) | instid1(VALU_DEP_2)
	v_add_co_ci_u32_e64 v146, s13, 0, v146, s13
	v_lshrrev_b32_e32 v148, v149, v148
; %bb.795:                              ;   in Loop: Header=BB2_783 Depth=4
	s_and_not1_saveexec_b32 s13, s14
; %bb.796:                              ;   in Loop: Header=BB2_783 Depth=4
	s_delay_alu instid0(VALU_DEP_1)
	v_bfe_u32 v146, v148, 23, 1
; %bb.797:                              ;   in Loop: Header=BB2_783 Depth=4
	s_or_b32 exec_lo, exec_lo, s13
	v_lshrrev_b32_e32 v148, 20, v148
	s_delay_alu instid0(VALU_DEP_2) | instskip(SKIP_2) | instid1(VALU_DEP_3)
	v_cmp_gt_i32_e64 s13, 16, v146
	v_lshrrev_b32_e32 v147, 24, v147
	v_min_i32_e32 v149, 15, v146
	v_cndmask_b32_e64 v148, 7, v148, s13
	s_delay_alu instid0(VALU_DEP_3) | instskip(NEXT) | instid1(VALU_DEP_3)
	v_and_b32_e32 v147, 0x80, v147
	v_lshlrev_b32_e32 v149, 3, v149
	s_delay_alu instid0(VALU_DEP_3) | instskip(SKIP_1) | instid1(VALU_DEP_2)
	v_and_b32_e32 v150, 7, v148
	v_or_b32_e32 v146, v146, v148
	v_or3_b32 v147, v149, v147, v150
	s_delay_alu instid0(VALU_DEP_2) | instskip(NEXT) | instid1(VALU_DEP_1)
	v_cmp_ne_u32_e64 s13, 0, v146
	v_cndmask_b32_e64 v146, 0, v147, s13
.LBB2_798:                              ;   in Loop: Header=BB2_783 Depth=4
	s_or_b32 exec_lo, exec_lo, s24
.LBB2_799:                              ;   in Loop: Header=BB2_783 Depth=4
	s_delay_alu instid0(SALU_CYCLE_1) | instskip(SKIP_3) | instid1(VALU_DEP_1)
	s_or_b32 exec_lo, exec_lo, s3
	v_lshrrev_b16 v148, 8, v12
	s_mov_b32 s3, 0
	s_mov_b32 s24, exec_lo
                                        ; implicit-def: $sgpr14
	v_cmpx_lt_i16_e64 0x7f, v148
	s_xor_b32 s24, exec_lo, s24
	s_cbranch_execnz .LBB2_1045
; %bb.800:                              ;   in Loop: Header=BB2_783 Depth=4
	s_or_saveexec_b32 s24, s24
	v_mov_b32_e32 v147, s14
	s_xor_b32 exec_lo, exec_lo, s24
	s_cbranch_execnz .LBB2_1048
.LBB2_801:                              ;   in Loop: Header=BB2_783 Depth=4
	s_or_b32 exec_lo, exec_lo, s24
	s_and_saveexec_b32 s14, s3
	s_cbranch_execz .LBB2_803
.LBB2_802:                              ;   in Loop: Header=BB2_783 Depth=4
	v_and_b32_e32 v147, 0xffff, v148
	v_lshlrev_b32_e32 v148, 24, v148
	s_delay_alu instid0(VALU_DEP_2) | instskip(NEXT) | instid1(VALU_DEP_2)
	v_and_b32_e32 v149, 7, v147
	v_and_b32_e32 v148, 0x80000000, v148
	s_delay_alu instid0(VALU_DEP_2) | instskip(NEXT) | instid1(VALU_DEP_1)
	v_clz_i32_u32_e32 v150, v149
	v_min_u32_e32 v150, 32, v150
	s_delay_alu instid0(VALU_DEP_1) | instskip(SKIP_1) | instid1(VALU_DEP_2)
	v_subrev_nc_u32_e32 v151, 28, v150
	v_sub_nc_u32_e32 v150, 29, v150
	v_lshlrev_b32_e32 v151, v151, v147
	v_bfe_u32 v147, v147, 3, 4
	s_delay_alu instid0(VALU_DEP_2) | instskip(NEXT) | instid1(VALU_DEP_2)
	v_and_b32_e32 v151, 7, v151
	v_cmp_eq_u32_e64 s13, 0, v147
	s_delay_alu instid0(VALU_DEP_1) | instskip(NEXT) | instid1(VALU_DEP_3)
	v_cndmask_b32_e64 v147, v147, v150, s13
	v_cndmask_b32_e64 v149, v149, v151, s13
	s_delay_alu instid0(VALU_DEP_2) | instskip(NEXT) | instid1(VALU_DEP_2)
	v_lshl_add_u32 v147, v147, 23, 0x3b800000
	v_lshlrev_b32_e32 v149, 20, v149
	s_delay_alu instid0(VALU_DEP_1)
	v_or3_b32 v147, v148, v147, v149
.LBB2_803:                              ;   in Loop: Header=BB2_783 Depth=4
	s_or_b32 exec_lo, exec_lo, s14
	v_lshrrev_b16 v148, 8, v8
	s_mov_b32 s3, 0
	s_mov_b32 s24, exec_lo
                                        ; implicit-def: $sgpr14
	s_delay_alu instid0(VALU_DEP_1)
	v_cmpx_lt_i16_e64 0x7f, v148
	s_xor_b32 s24, exec_lo, s24
	s_cbranch_execnz .LBB2_1049
; %bb.804:                              ;   in Loop: Header=BB2_783 Depth=4
	s_or_saveexec_b32 s24, s24
	v_mov_b32_e32 v149, s14
	s_xor_b32 exec_lo, exec_lo, s24
	s_cbranch_execnz .LBB2_1052
.LBB2_805:                              ;   in Loop: Header=BB2_783 Depth=4
	s_or_b32 exec_lo, exec_lo, s24
	s_and_saveexec_b32 s14, s3
	s_cbranch_execz .LBB2_807
.LBB2_806:                              ;   in Loop: Header=BB2_783 Depth=4
	v_and_b32_e32 v149, 0xffff, v148
	v_lshlrev_b32_e32 v148, 24, v148
	s_delay_alu instid0(VALU_DEP_2) | instskip(NEXT) | instid1(VALU_DEP_2)
	v_and_b32_e32 v150, 7, v149
	v_and_b32_e32 v148, 0x80000000, v148
	s_delay_alu instid0(VALU_DEP_2) | instskip(NEXT) | instid1(VALU_DEP_1)
	v_clz_i32_u32_e32 v151, v150
	v_min_u32_e32 v151, 32, v151
	s_delay_alu instid0(VALU_DEP_1) | instskip(SKIP_1) | instid1(VALU_DEP_2)
	v_subrev_nc_u32_e32 v160, 28, v151
	v_sub_nc_u32_e32 v151, 29, v151
	v_lshlrev_b32_e32 v160, v160, v149
	v_bfe_u32 v149, v149, 3, 4
	s_delay_alu instid0(VALU_DEP_2) | instskip(NEXT) | instid1(VALU_DEP_2)
	v_and_b32_e32 v160, 7, v160
	v_cmp_eq_u32_e64 s13, 0, v149
	s_delay_alu instid0(VALU_DEP_1) | instskip(NEXT) | instid1(VALU_DEP_3)
	v_cndmask_b32_e64 v149, v149, v151, s13
	v_cndmask_b32_e64 v150, v150, v160, s13
	s_delay_alu instid0(VALU_DEP_2) | instskip(NEXT) | instid1(VALU_DEP_2)
	v_lshl_add_u32 v149, v149, 23, 0x3b800000
	v_lshlrev_b32_e32 v150, 20, v150
	s_delay_alu instid0(VALU_DEP_1)
	v_or3_b32 v149, v148, v149, v150
.LBB2_807:                              ;   in Loop: Header=BB2_783 Depth=4
	s_or_b32 exec_lo, exec_lo, s14
	s_delay_alu instid0(VALU_DEP_1) | instskip(NEXT) | instid1(VALU_DEP_1)
	v_add_f32_e32 v148, v147, v149
	v_and_b32_e32 v147, 0x7f800000, v148
	s_delay_alu instid0(VALU_DEP_1) | instskip(SKIP_1) | instid1(VALU_DEP_2)
	v_cmp_ne_u32_e64 s13, 0x7f800000, v147
	v_mov_b32_e32 v147, 0x80
	s_and_saveexec_b32 s3, s13
	s_cbranch_execz .LBB2_815
; %bb.808:                              ;   in Loop: Header=BB2_783 Depth=4
	v_mov_b32_e32 v147, 0
	s_mov_b32 s24, exec_lo
	v_cmpx_ne_u32_e32 0, v148
	s_cbranch_execz .LBB2_814
; %bb.809:                              ;   in Loop: Header=BB2_783 Depth=4
	v_bfe_u32 v147, v148, 23, 8
	v_and_b32_e32 v149, 0x7fffff, v148
	s_delay_alu instid0(VALU_DEP_2) | instskip(SKIP_1) | instid1(VALU_DEP_3)
	v_sub_nc_u32_e32 v150, 0x78, v147
	v_cmp_gt_u32_e64 s13, 0x79, v147
	v_or_b32_e32 v151, 0x800000, v149
	s_delay_alu instid0(VALU_DEP_2) | instskip(SKIP_2) | instid1(VALU_DEP_2)
	v_cndmask_b32_e64 v150, 0, v150, s13
	v_cmp_eq_u32_e64 s13, 0, v147
	v_add_nc_u32_e32 v147, 0xffffff89, v147
	v_cndmask_b32_e64 v150, v150, 0x77, s13
	v_cndmask_b32_e64 v149, v151, v149, s13
	s_delay_alu instid0(VALU_DEP_3) | instskip(NEXT) | instid1(VALU_DEP_3)
	v_cndmask_b32_e64 v147, v147, 0xffffff8a, s13
	v_lshl_add_u32 v151, 0x100000, v150, -1
	s_delay_alu instid0(VALU_DEP_3) | instskip(SKIP_1) | instid1(VALU_DEP_4)
	v_lshrrev_b32_e32 v160, v150, v149
	v_lshlrev_b32_e64 v162, v150, 0x80000
	v_add_nc_u32_e32 v150, v150, v147
	s_delay_alu instid0(VALU_DEP_4) | instskip(NEXT) | instid1(VALU_DEP_4)
	v_and_b32_e32 v149, v151, v149
	v_bfe_u32 v161, v160, 20, 1
	s_delay_alu instid0(VALU_DEP_2) | instskip(NEXT) | instid1(VALU_DEP_2)
	v_cmp_eq_u32_e64 s14, v149, v162
	v_add_nc_u32_e32 v151, -1, v161
	s_delay_alu instid0(VALU_DEP_1) | instskip(SKIP_2) | instid1(VALU_DEP_2)
	v_cndmask_b32_e64 v149, 0, v151, s14
	v_lshrrev_b32_e32 v151, 23, v160
	s_mov_b32 s14, exec_lo
	v_add_nc_u32_e32 v149, v149, v160
	s_delay_alu instid0(VALU_DEP_2) | instskip(NEXT) | instid1(VALU_DEP_2)
	v_xor_b32_e32 v151, 1, v151
	v_and_b32_e32 v147, 0xfffff, v149
	s_delay_alu instid0(VALU_DEP_1) | instskip(NEXT) | instid1(VALU_DEP_3)
	v_add_nc_u32_e32 v149, v147, v160
                                        ; implicit-def: $vgpr147
	v_cmpx_ne_u32_e64 v150, v151
	s_xor_b32 s14, exec_lo, s14
; %bb.810:                              ;   in Loop: Header=BB2_783 Depth=4
	s_delay_alu instid0(VALU_DEP_2) | instskip(SKIP_1) | instid1(VALU_DEP_2)
	v_cmp_lt_u32_e64 s13, 0xffffff, v149
	v_sub_nc_u32_e32 v147, v150, v151
	v_cndmask_b32_e64 v150, 0, 1, s13
	s_delay_alu instid0(VALU_DEP_2) | instskip(NEXT) | instid1(VALU_DEP_2)
	v_add_co_ci_u32_e64 v147, s13, 0, v147, s13
	v_lshrrev_b32_e32 v149, v150, v149
; %bb.811:                              ;   in Loop: Header=BB2_783 Depth=4
	s_and_not1_saveexec_b32 s13, s14
; %bb.812:                              ;   in Loop: Header=BB2_783 Depth=4
	s_delay_alu instid0(VALU_DEP_1)
	v_bfe_u32 v147, v149, 23, 1
; %bb.813:                              ;   in Loop: Header=BB2_783 Depth=4
	s_or_b32 exec_lo, exec_lo, s13
	v_lshrrev_b32_e32 v149, 20, v149
	s_delay_alu instid0(VALU_DEP_2) | instskip(SKIP_2) | instid1(VALU_DEP_3)
	v_cmp_gt_i32_e64 s13, 16, v147
	v_lshrrev_b32_e32 v148, 24, v148
	v_min_i32_e32 v150, 15, v147
	v_cndmask_b32_e64 v149, 7, v149, s13
	s_delay_alu instid0(VALU_DEP_3) | instskip(NEXT) | instid1(VALU_DEP_3)
	v_and_b32_e32 v148, 0x80, v148
	v_lshlrev_b32_e32 v150, 3, v150
	s_delay_alu instid0(VALU_DEP_3) | instskip(SKIP_1) | instid1(VALU_DEP_2)
	v_and_b32_e32 v151, 7, v149
	v_or_b32_e32 v147, v147, v149
	v_or3_b32 v148, v150, v148, v151
	s_delay_alu instid0(VALU_DEP_2) | instskip(NEXT) | instid1(VALU_DEP_1)
	v_cmp_ne_u32_e64 s13, 0, v147
	v_cndmask_b32_e64 v147, 0, v148, s13
.LBB2_814:                              ;   in Loop: Header=BB2_783 Depth=4
	s_or_b32 exec_lo, exec_lo, s24
.LBB2_815:                              ;   in Loop: Header=BB2_783 Depth=4
	s_delay_alu instid0(SALU_CYCLE_1) | instskip(SKIP_3) | instid1(VALU_DEP_1)
	s_or_b32 exec_lo, exec_lo, s3
	v_lshrrev_b32_e32 v149, 16, v12
	s_mov_b32 s3, 0
	s_mov_b32 s24, exec_lo
                                        ; implicit-def: $sgpr14
	v_and_b32_e32 v150, 0xff, v149
	s_delay_alu instid0(VALU_DEP_1)
	v_cmpx_lt_i16_e64 0x7f, v150
	s_xor_b32 s24, exec_lo, s24
	s_cbranch_execnz .LBB2_1053
; %bb.816:                              ;   in Loop: Header=BB2_783 Depth=4
	s_or_saveexec_b32 s24, s24
	v_mov_b32_e32 v148, s14
	s_xor_b32 exec_lo, exec_lo, s24
	s_cbranch_execnz .LBB2_1056
.LBB2_817:                              ;   in Loop: Header=BB2_783 Depth=4
	s_or_b32 exec_lo, exec_lo, s24
	s_and_saveexec_b32 s14, s3
	s_cbranch_execz .LBB2_819
.LBB2_818:                              ;   in Loop: Header=BB2_783 Depth=4
	v_bfe_u32 v148, v12, 16, 3
	v_lshlrev_b32_e32 v160, 8, v12
	s_delay_alu instid0(VALU_DEP_2) | instskip(NEXT) | instid1(VALU_DEP_1)
	v_clz_i32_u32_e32 v150, v148
	v_min_u32_e32 v150, 32, v150
	s_delay_alu instid0(VALU_DEP_1) | instskip(SKIP_1) | instid1(VALU_DEP_2)
	v_subrev_nc_u32_e32 v151, 28, v150
	v_sub_nc_u32_e32 v150, 29, v150
	v_lshlrev_b32_e32 v149, v151, v149
	v_bfe_u32 v151, v12, 19, 4
	s_delay_alu instid0(VALU_DEP_2) | instskip(NEXT) | instid1(VALU_DEP_2)
	v_and_b32_e32 v149, 7, v149
	v_cmp_eq_u32_e64 s13, 0, v151
	s_delay_alu instid0(VALU_DEP_1) | instskip(NEXT) | instid1(VALU_DEP_3)
	v_cndmask_b32_e64 v150, v151, v150, s13
	v_cndmask_b32_e64 v148, v148, v149, s13
	v_and_b32_e32 v149, 0x80000000, v160
	s_delay_alu instid0(VALU_DEP_3) | instskip(NEXT) | instid1(VALU_DEP_3)
	v_lshl_add_u32 v150, v150, 23, 0x3b800000
	v_lshlrev_b32_e32 v148, 20, v148
	s_delay_alu instid0(VALU_DEP_1)
	v_or3_b32 v148, v149, v150, v148
.LBB2_819:                              ;   in Loop: Header=BB2_783 Depth=4
	s_or_b32 exec_lo, exec_lo, s14
	v_lshrrev_b32_e32 v149, 16, v8
	s_mov_b32 s3, 0
	s_mov_b32 s24, exec_lo
                                        ; implicit-def: $sgpr14
	s_delay_alu instid0(VALU_DEP_1) | instskip(NEXT) | instid1(VALU_DEP_1)
	v_and_b32_e32 v151, 0xff, v149
	v_cmpx_lt_i16_e64 0x7f, v151
	s_xor_b32 s24, exec_lo, s24
	s_cbranch_execnz .LBB2_1057
; %bb.820:                              ;   in Loop: Header=BB2_783 Depth=4
	s_or_saveexec_b32 s24, s24
	v_mov_b32_e32 v150, s14
	s_xor_b32 exec_lo, exec_lo, s24
	s_cbranch_execnz .LBB2_1060
.LBB2_821:                              ;   in Loop: Header=BB2_783 Depth=4
	s_or_b32 exec_lo, exec_lo, s24
	s_and_saveexec_b32 s14, s3
	s_cbranch_execz .LBB2_823
.LBB2_822:                              ;   in Loop: Header=BB2_783 Depth=4
	v_bfe_u32 v150, v8, 16, 3
	v_lshlrev_b32_e32 v161, 8, v8
	s_delay_alu instid0(VALU_DEP_2) | instskip(NEXT) | instid1(VALU_DEP_1)
	v_clz_i32_u32_e32 v151, v150
	v_min_u32_e32 v151, 32, v151
	s_delay_alu instid0(VALU_DEP_1) | instskip(SKIP_1) | instid1(VALU_DEP_2)
	v_subrev_nc_u32_e32 v160, 28, v151
	v_sub_nc_u32_e32 v151, 29, v151
	v_lshlrev_b32_e32 v149, v160, v149
	v_bfe_u32 v160, v8, 19, 4
	s_delay_alu instid0(VALU_DEP_2) | instskip(NEXT) | instid1(VALU_DEP_2)
	v_and_b32_e32 v149, 7, v149
	v_cmp_eq_u32_e64 s13, 0, v160
	s_delay_alu instid0(VALU_DEP_1) | instskip(NEXT) | instid1(VALU_DEP_3)
	v_cndmask_b32_e64 v151, v160, v151, s13
	v_cndmask_b32_e64 v149, v150, v149, s13
	v_and_b32_e32 v150, 0x80000000, v161
	s_delay_alu instid0(VALU_DEP_3) | instskip(NEXT) | instid1(VALU_DEP_3)
	v_lshl_add_u32 v151, v151, 23, 0x3b800000
	v_lshlrev_b32_e32 v149, 20, v149
	s_delay_alu instid0(VALU_DEP_1)
	v_or3_b32 v150, v150, v151, v149
.LBB2_823:                              ;   in Loop: Header=BB2_783 Depth=4
	s_or_b32 exec_lo, exec_lo, s14
	s_delay_alu instid0(VALU_DEP_1) | instskip(NEXT) | instid1(VALU_DEP_1)
	v_add_f32_e32 v149, v148, v150
	v_and_b32_e32 v148, 0x7f800000, v149
	s_delay_alu instid0(VALU_DEP_1) | instskip(SKIP_1) | instid1(VALU_DEP_2)
	v_cmp_ne_u32_e64 s13, 0x7f800000, v148
	v_mov_b32_e32 v148, 0x80
	s_and_saveexec_b32 s3, s13
	s_cbranch_execz .LBB2_831
; %bb.824:                              ;   in Loop: Header=BB2_783 Depth=4
	v_mov_b32_e32 v148, 0
	s_mov_b32 s24, exec_lo
	v_cmpx_ne_u32_e32 0, v149
	s_cbranch_execz .LBB2_830
; %bb.825:                              ;   in Loop: Header=BB2_783 Depth=4
	v_bfe_u32 v148, v149, 23, 8
	v_and_b32_e32 v150, 0x7fffff, v149
	s_delay_alu instid0(VALU_DEP_2) | instskip(SKIP_1) | instid1(VALU_DEP_3)
	v_sub_nc_u32_e32 v151, 0x78, v148
	v_cmp_gt_u32_e64 s13, 0x79, v148
	v_or_b32_e32 v160, 0x800000, v150
	s_delay_alu instid0(VALU_DEP_2) | instskip(SKIP_2) | instid1(VALU_DEP_2)
	v_cndmask_b32_e64 v151, 0, v151, s13
	v_cmp_eq_u32_e64 s13, 0, v148
	v_add_nc_u32_e32 v148, 0xffffff89, v148
	v_cndmask_b32_e64 v151, v151, 0x77, s13
	v_cndmask_b32_e64 v150, v160, v150, s13
	s_delay_alu instid0(VALU_DEP_3) | instskip(NEXT) | instid1(VALU_DEP_3)
	v_cndmask_b32_e64 v148, v148, 0xffffff8a, s13
	v_lshl_add_u32 v160, 0x100000, v151, -1
	s_delay_alu instid0(VALU_DEP_3) | instskip(SKIP_1) | instid1(VALU_DEP_4)
	v_lshrrev_b32_e32 v161, v151, v150
	v_lshlrev_b32_e64 v163, v151, 0x80000
	v_add_nc_u32_e32 v151, v151, v148
	s_delay_alu instid0(VALU_DEP_4) | instskip(NEXT) | instid1(VALU_DEP_4)
	v_and_b32_e32 v150, v160, v150
	v_bfe_u32 v162, v161, 20, 1
	s_delay_alu instid0(VALU_DEP_2) | instskip(NEXT) | instid1(VALU_DEP_2)
	v_cmp_eq_u32_e64 s14, v150, v163
	v_add_nc_u32_e32 v160, -1, v162
	s_delay_alu instid0(VALU_DEP_1) | instskip(SKIP_2) | instid1(VALU_DEP_2)
	v_cndmask_b32_e64 v150, 0, v160, s14
	v_lshrrev_b32_e32 v160, 23, v161
	s_mov_b32 s14, exec_lo
	v_add_nc_u32_e32 v150, v150, v161
	s_delay_alu instid0(VALU_DEP_2) | instskip(NEXT) | instid1(VALU_DEP_2)
	v_xor_b32_e32 v160, 1, v160
	v_and_b32_e32 v148, 0xfffff, v150
	s_delay_alu instid0(VALU_DEP_1) | instskip(NEXT) | instid1(VALU_DEP_3)
	v_add_nc_u32_e32 v150, v148, v161
                                        ; implicit-def: $vgpr148
	v_cmpx_ne_u32_e64 v151, v160
	s_xor_b32 s14, exec_lo, s14
; %bb.826:                              ;   in Loop: Header=BB2_783 Depth=4
	s_delay_alu instid0(VALU_DEP_2) | instskip(SKIP_1) | instid1(VALU_DEP_2)
	v_cmp_lt_u32_e64 s13, 0xffffff, v150
	v_sub_nc_u32_e32 v148, v151, v160
	v_cndmask_b32_e64 v151, 0, 1, s13
	s_delay_alu instid0(VALU_DEP_2) | instskip(NEXT) | instid1(VALU_DEP_2)
	v_add_co_ci_u32_e64 v148, s13, 0, v148, s13
	v_lshrrev_b32_e32 v150, v151, v150
; %bb.827:                              ;   in Loop: Header=BB2_783 Depth=4
	s_and_not1_saveexec_b32 s13, s14
; %bb.828:                              ;   in Loop: Header=BB2_783 Depth=4
	s_delay_alu instid0(VALU_DEP_1)
	v_bfe_u32 v148, v150, 23, 1
; %bb.829:                              ;   in Loop: Header=BB2_783 Depth=4
	s_or_b32 exec_lo, exec_lo, s13
	v_lshrrev_b32_e32 v150, 20, v150
	s_delay_alu instid0(VALU_DEP_2) | instskip(SKIP_2) | instid1(VALU_DEP_3)
	v_cmp_gt_i32_e64 s13, 16, v148
	v_lshrrev_b32_e32 v149, 24, v149
	v_min_i32_e32 v151, 15, v148
	v_cndmask_b32_e64 v150, 7, v150, s13
	s_delay_alu instid0(VALU_DEP_3) | instskip(NEXT) | instid1(VALU_DEP_3)
	v_and_b32_e32 v149, 0x80, v149
	v_lshlrev_b32_e32 v151, 3, v151
	s_delay_alu instid0(VALU_DEP_3) | instskip(SKIP_1) | instid1(VALU_DEP_2)
	v_and_b32_e32 v160, 7, v150
	v_or_b32_e32 v148, v148, v150
	v_or3_b32 v149, v151, v149, v160
	s_delay_alu instid0(VALU_DEP_2) | instskip(NEXT) | instid1(VALU_DEP_1)
	v_cmp_ne_u32_e64 s13, 0, v148
	v_cndmask_b32_e64 v148, 0, v149, s13
.LBB2_830:                              ;   in Loop: Header=BB2_783 Depth=4
	s_or_b32 exec_lo, exec_lo, s24
.LBB2_831:                              ;   in Loop: Header=BB2_783 Depth=4
	s_delay_alu instid0(SALU_CYCLE_1) | instskip(SKIP_3) | instid1(VALU_DEP_1)
	s_or_b32 exec_lo, exec_lo, s3
	v_lshrrev_b32_e32 v150, 24, v12
	s_mov_b32 s3, 0
	s_mov_b32 s24, exec_lo
                                        ; implicit-def: $sgpr14
	v_cmpx_lt_i16_e64 0x7f, v150
	s_xor_b32 s24, exec_lo, s24
	s_cbranch_execnz .LBB2_1061
; %bb.832:                              ;   in Loop: Header=BB2_783 Depth=4
	s_or_saveexec_b32 s24, s24
	v_mov_b32_e32 v149, s14
	s_xor_b32 exec_lo, exec_lo, s24
	s_cbranch_execnz .LBB2_1064
.LBB2_833:                              ;   in Loop: Header=BB2_783 Depth=4
	s_or_b32 exec_lo, exec_lo, s24
	s_and_saveexec_b32 s14, s3
	s_cbranch_execz .LBB2_835
.LBB2_834:                              ;   in Loop: Header=BB2_783 Depth=4
	v_bfe_u32 v149, v12, 24, 3
	s_delay_alu instid0(VALU_DEP_1) | instskip(NEXT) | instid1(VALU_DEP_1)
	v_clz_i32_u32_e32 v151, v149
	v_min_u32_e32 v151, 32, v151
	s_delay_alu instid0(VALU_DEP_1) | instskip(SKIP_1) | instid1(VALU_DEP_2)
	v_subrev_nc_u32_e32 v160, 28, v151
	v_sub_nc_u32_e32 v151, 29, v151
	v_lshlrev_b32_e32 v150, v160, v150
	v_bfe_u32 v160, v12, 27, 4
	v_and_b32_e32 v12, 0x80000000, v12
	s_delay_alu instid0(VALU_DEP_3) | instskip(NEXT) | instid1(VALU_DEP_3)
	v_and_b32_e32 v150, 7, v150
	v_cmp_eq_u32_e64 s13, 0, v160
	s_delay_alu instid0(VALU_DEP_1) | instskip(NEXT) | instid1(VALU_DEP_3)
	v_cndmask_b32_e64 v151, v160, v151, s13
	v_cndmask_b32_e64 v149, v149, v150, s13
	s_delay_alu instid0(VALU_DEP_2) | instskip(NEXT) | instid1(VALU_DEP_2)
	v_lshl_add_u32 v150, v151, 23, 0x3b800000
	v_lshlrev_b32_e32 v149, 20, v149
	s_delay_alu instid0(VALU_DEP_1)
	v_or3_b32 v149, v12, v150, v149
.LBB2_835:                              ;   in Loop: Header=BB2_783 Depth=4
	s_or_b32 exec_lo, exec_lo, s14
	v_lshrrev_b32_e32 v12, 24, v8
	s_mov_b32 s3, 0
	s_mov_b32 s24, exec_lo
                                        ; implicit-def: $sgpr14
	s_delay_alu instid0(VALU_DEP_1)
	v_cmpx_lt_i16_e32 0x7f, v12
	s_xor_b32 s24, exec_lo, s24
	s_cbranch_execnz .LBB2_1065
; %bb.836:                              ;   in Loop: Header=BB2_783 Depth=4
	s_or_saveexec_b32 s24, s24
	v_mov_b32_e32 v150, s14
	s_xor_b32 exec_lo, exec_lo, s24
	s_cbranch_execnz .LBB2_1068
.LBB2_837:                              ;   in Loop: Header=BB2_783 Depth=4
	s_or_b32 exec_lo, exec_lo, s24
	s_and_saveexec_b32 s14, s3
	s_cbranch_execz .LBB2_839
.LBB2_838:                              ;   in Loop: Header=BB2_783 Depth=4
	v_bfe_u32 v150, v8, 24, 3
	s_delay_alu instid0(VALU_DEP_1) | instskip(NEXT) | instid1(VALU_DEP_1)
	v_clz_i32_u32_e32 v151, v150
	v_min_u32_e32 v151, 32, v151
	s_delay_alu instid0(VALU_DEP_1) | instskip(SKIP_1) | instid1(VALU_DEP_2)
	v_subrev_nc_u32_e32 v160, 28, v151
	v_sub_nc_u32_e32 v151, 29, v151
	v_lshlrev_b32_e32 v12, v160, v12
	v_bfe_u32 v160, v8, 27, 4
	v_and_b32_e32 v8, 0x80000000, v8
	s_delay_alu instid0(VALU_DEP_3) | instskip(NEXT) | instid1(VALU_DEP_3)
	v_and_b32_e32 v12, 7, v12
	v_cmp_eq_u32_e64 s13, 0, v160
	s_delay_alu instid0(VALU_DEP_1) | instskip(NEXT) | instid1(VALU_DEP_3)
	v_cndmask_b32_e64 v151, v160, v151, s13
	v_cndmask_b32_e64 v12, v150, v12, s13
	s_delay_alu instid0(VALU_DEP_2) | instskip(NEXT) | instid1(VALU_DEP_2)
	v_lshl_add_u32 v150, v151, 23, 0x3b800000
	v_lshlrev_b32_e32 v12, 20, v12
	s_delay_alu instid0(VALU_DEP_1)
	v_or3_b32 v150, v8, v150, v12
.LBB2_839:                              ;   in Loop: Header=BB2_783 Depth=4
	s_or_b32 exec_lo, exec_lo, s14
	s_delay_alu instid0(VALU_DEP_1) | instskip(NEXT) | instid1(VALU_DEP_1)
	v_add_f32_e32 v12, v149, v150
	v_and_b32_e32 v8, 0x7f800000, v12
	s_delay_alu instid0(VALU_DEP_1) | instskip(SKIP_1) | instid1(VALU_DEP_2)
	v_cmp_ne_u32_e64 s13, 0x7f800000, v8
	v_mov_b32_e32 v8, 0x80
	s_and_saveexec_b32 s3, s13
	s_cbranch_execz .LBB2_847
; %bb.840:                              ;   in Loop: Header=BB2_783 Depth=4
	v_mov_b32_e32 v8, 0
	s_mov_b32 s24, exec_lo
	v_cmpx_ne_u32_e32 0, v12
	s_cbranch_execz .LBB2_846
; %bb.841:                              ;   in Loop: Header=BB2_783 Depth=4
	v_bfe_u32 v8, v12, 23, 8
	v_and_b32_e32 v149, 0x7fffff, v12
	s_delay_alu instid0(VALU_DEP_2) | instskip(SKIP_1) | instid1(VALU_DEP_3)
	v_sub_nc_u32_e32 v150, 0x78, v8
	v_cmp_gt_u32_e64 s13, 0x79, v8
	v_or_b32_e32 v151, 0x800000, v149
	s_delay_alu instid0(VALU_DEP_2) | instskip(SKIP_2) | instid1(VALU_DEP_2)
	v_cndmask_b32_e64 v150, 0, v150, s13
	v_cmp_eq_u32_e64 s13, 0, v8
	v_add_nc_u32_e32 v8, 0xffffff89, v8
	v_cndmask_b32_e64 v150, v150, 0x77, s13
	v_cndmask_b32_e64 v149, v151, v149, s13
	s_delay_alu instid0(VALU_DEP_3) | instskip(NEXT) | instid1(VALU_DEP_3)
	v_cndmask_b32_e64 v8, v8, 0xffffff8a, s13
	v_lshl_add_u32 v151, 0x100000, v150, -1
	s_delay_alu instid0(VALU_DEP_3) | instskip(SKIP_1) | instid1(VALU_DEP_4)
	v_lshrrev_b32_e32 v160, v150, v149
	v_lshlrev_b32_e64 v162, v150, 0x80000
	v_add_nc_u32_e32 v150, v150, v8
	s_delay_alu instid0(VALU_DEP_4) | instskip(NEXT) | instid1(VALU_DEP_4)
	v_and_b32_e32 v149, v151, v149
	v_bfe_u32 v161, v160, 20, 1
	s_delay_alu instid0(VALU_DEP_2) | instskip(NEXT) | instid1(VALU_DEP_2)
	v_cmp_eq_u32_e64 s14, v149, v162
	v_add_nc_u32_e32 v151, -1, v161
	s_delay_alu instid0(VALU_DEP_1) | instskip(SKIP_2) | instid1(VALU_DEP_2)
	v_cndmask_b32_e64 v149, 0, v151, s14
	v_lshrrev_b32_e32 v151, 23, v160
	s_mov_b32 s14, exec_lo
	v_add_nc_u32_e32 v149, v149, v160
	s_delay_alu instid0(VALU_DEP_2) | instskip(NEXT) | instid1(VALU_DEP_2)
	v_xor_b32_e32 v151, 1, v151
	v_and_b32_e32 v8, 0xfffff, v149
	s_delay_alu instid0(VALU_DEP_1) | instskip(NEXT) | instid1(VALU_DEP_3)
	v_add_nc_u32_e32 v149, v8, v160
                                        ; implicit-def: $vgpr8
	v_cmpx_ne_u32_e64 v150, v151
	s_xor_b32 s14, exec_lo, s14
; %bb.842:                              ;   in Loop: Header=BB2_783 Depth=4
	s_delay_alu instid0(VALU_DEP_2) | instskip(SKIP_1) | instid1(VALU_DEP_2)
	v_cmp_lt_u32_e64 s13, 0xffffff, v149
	v_sub_nc_u32_e32 v8, v150, v151
	v_cndmask_b32_e64 v150, 0, 1, s13
	s_delay_alu instid0(VALU_DEP_2) | instskip(NEXT) | instid1(VALU_DEP_2)
	v_add_co_ci_u32_e64 v8, s13, 0, v8, s13
	v_lshrrev_b32_e32 v149, v150, v149
; %bb.843:                              ;   in Loop: Header=BB2_783 Depth=4
	s_and_not1_saveexec_b32 s13, s14
; %bb.844:                              ;   in Loop: Header=BB2_783 Depth=4
	s_delay_alu instid0(VALU_DEP_1)
	v_bfe_u32 v8, v149, 23, 1
; %bb.845:                              ;   in Loop: Header=BB2_783 Depth=4
	s_or_b32 exec_lo, exec_lo, s13
	v_lshrrev_b32_e32 v149, 20, v149
	s_delay_alu instid0(VALU_DEP_2) | instskip(SKIP_2) | instid1(VALU_DEP_3)
	v_cmp_gt_i32_e64 s13, 16, v8
	v_lshrrev_b32_e32 v12, 24, v12
	v_min_i32_e32 v150, 15, v8
	v_cndmask_b32_e64 v149, 7, v149, s13
	s_delay_alu instid0(VALU_DEP_3) | instskip(NEXT) | instid1(VALU_DEP_3)
	v_and_b32_e32 v12, 0x80, v12
	v_lshlrev_b32_e32 v150, 3, v150
	s_delay_alu instid0(VALU_DEP_3) | instskip(SKIP_1) | instid1(VALU_DEP_2)
	v_and_b32_e32 v151, 7, v149
	v_or_b32_e32 v8, v8, v149
	v_or3_b32 v12, v150, v12, v151
	s_delay_alu instid0(VALU_DEP_2) | instskip(NEXT) | instid1(VALU_DEP_1)
	v_cmp_ne_u32_e64 s13, 0, v8
	v_cndmask_b32_e64 v8, 0, v12, s13
.LBB2_846:                              ;   in Loop: Header=BB2_783 Depth=4
	s_or_b32 exec_lo, exec_lo, s24
.LBB2_847:                              ;   in Loop: Header=BB2_783 Depth=4
	s_delay_alu instid0(SALU_CYCLE_1) | instskip(SKIP_3) | instid1(VALU_DEP_1)
	s_or_b32 exec_lo, exec_lo, s3
	v_and_b32_e32 v149, 0xff, v13
	s_mov_b32 s3, 0
	s_mov_b32 s24, exec_lo
                                        ; implicit-def: $sgpr14
	v_cmpx_lt_i16_e64 0x7f, v149
	s_xor_b32 s24, exec_lo, s24
	s_cbranch_execnz .LBB2_1069
; %bb.848:                              ;   in Loop: Header=BB2_783 Depth=4
	s_or_saveexec_b32 s24, s24
	v_mov_b32_e32 v12, s14
	s_xor_b32 exec_lo, exec_lo, s24
	s_cbranch_execnz .LBB2_1072
.LBB2_849:                              ;   in Loop: Header=BB2_783 Depth=4
	s_or_b32 exec_lo, exec_lo, s24
	s_and_saveexec_b32 s14, s3
	s_cbranch_execz .LBB2_851
.LBB2_850:                              ;   in Loop: Header=BB2_783 Depth=4
	v_and_b32_e32 v12, 7, v13
	v_bfe_u32 v151, v13, 3, 4
	v_lshlrev_b32_e32 v160, 24, v13
	s_delay_alu instid0(VALU_DEP_3) | instskip(NEXT) | instid1(VALU_DEP_3)
	v_clz_i32_u32_e32 v149, v12
	v_cmp_eq_u32_e64 s13, 0, v151
	s_delay_alu instid0(VALU_DEP_2) | instskip(NEXT) | instid1(VALU_DEP_1)
	v_min_u32_e32 v149, 32, v149
	v_subrev_nc_u32_e32 v150, 28, v149
	v_sub_nc_u32_e32 v149, 29, v149
	s_delay_alu instid0(VALU_DEP_2) | instskip(NEXT) | instid1(VALU_DEP_2)
	v_lshlrev_b32_e32 v150, v150, v13
	v_cndmask_b32_e64 v149, v151, v149, s13
	s_delay_alu instid0(VALU_DEP_2) | instskip(NEXT) | instid1(VALU_DEP_2)
	v_and_b32_e32 v150, 7, v150
	v_lshl_add_u32 v149, v149, 23, 0x3b800000
	s_delay_alu instid0(VALU_DEP_2) | instskip(SKIP_1) | instid1(VALU_DEP_2)
	v_cndmask_b32_e64 v12, v12, v150, s13
	v_and_b32_e32 v150, 0x80000000, v160
	v_lshlrev_b32_e32 v12, 20, v12
	s_delay_alu instid0(VALU_DEP_1)
	v_or3_b32 v12, v150, v149, v12
.LBB2_851:                              ;   in Loop: Header=BB2_783 Depth=4
	s_or_b32 exec_lo, exec_lo, s14
	v_and_b32_e32 v150, 0xff, v9
	s_mov_b32 s3, 0
	s_mov_b32 s24, exec_lo
                                        ; implicit-def: $sgpr14
	s_delay_alu instid0(VALU_DEP_1)
	v_cmpx_lt_i16_e64 0x7f, v150
	s_xor_b32 s24, exec_lo, s24
	s_cbranch_execnz .LBB2_1073
; %bb.852:                              ;   in Loop: Header=BB2_783 Depth=4
	s_or_saveexec_b32 s24, s24
	v_mov_b32_e32 v149, s14
	s_xor_b32 exec_lo, exec_lo, s24
	s_cbranch_execnz .LBB2_1076
.LBB2_853:                              ;   in Loop: Header=BB2_783 Depth=4
	s_or_b32 exec_lo, exec_lo, s24
	s_and_saveexec_b32 s14, s3
	s_cbranch_execz .LBB2_855
.LBB2_854:                              ;   in Loop: Header=BB2_783 Depth=4
	v_and_b32_e32 v149, 7, v9
	v_bfe_u32 v160, v9, 3, 4
	v_lshlrev_b32_e32 v161, 24, v9
	s_delay_alu instid0(VALU_DEP_3) | instskip(NEXT) | instid1(VALU_DEP_3)
	v_clz_i32_u32_e32 v150, v149
	v_cmp_eq_u32_e64 s13, 0, v160
	s_delay_alu instid0(VALU_DEP_2) | instskip(NEXT) | instid1(VALU_DEP_1)
	v_min_u32_e32 v150, 32, v150
	v_subrev_nc_u32_e32 v151, 28, v150
	v_sub_nc_u32_e32 v150, 29, v150
	s_delay_alu instid0(VALU_DEP_2) | instskip(NEXT) | instid1(VALU_DEP_2)
	v_lshlrev_b32_e32 v151, v151, v9
	v_cndmask_b32_e64 v150, v160, v150, s13
	s_delay_alu instid0(VALU_DEP_2) | instskip(NEXT) | instid1(VALU_DEP_2)
	v_and_b32_e32 v151, 7, v151
	v_lshl_add_u32 v150, v150, 23, 0x3b800000
	s_delay_alu instid0(VALU_DEP_2) | instskip(SKIP_1) | instid1(VALU_DEP_2)
	v_cndmask_b32_e64 v149, v149, v151, s13
	v_and_b32_e32 v151, 0x80000000, v161
	v_lshlrev_b32_e32 v149, 20, v149
	s_delay_alu instid0(VALU_DEP_1)
	v_or3_b32 v149, v151, v150, v149
.LBB2_855:                              ;   in Loop: Header=BB2_783 Depth=4
	s_or_b32 exec_lo, exec_lo, s14
	s_delay_alu instid0(VALU_DEP_1) | instskip(NEXT) | instid1(VALU_DEP_1)
	v_add_f32_e32 v149, v12, v149
	v_and_b32_e32 v12, 0x7f800000, v149
	s_delay_alu instid0(VALU_DEP_1) | instskip(SKIP_1) | instid1(VALU_DEP_2)
	v_cmp_ne_u32_e64 s13, 0x7f800000, v12
	v_mov_b32_e32 v12, 0x80
	s_and_saveexec_b32 s3, s13
	s_cbranch_execz .LBB2_863
; %bb.856:                              ;   in Loop: Header=BB2_783 Depth=4
	v_mov_b32_e32 v12, 0
	s_mov_b32 s24, exec_lo
	v_cmpx_ne_u32_e32 0, v149
	s_cbranch_execz .LBB2_862
; %bb.857:                              ;   in Loop: Header=BB2_783 Depth=4
	v_bfe_u32 v12, v149, 23, 8
	v_and_b32_e32 v150, 0x7fffff, v149
	s_delay_alu instid0(VALU_DEP_2) | instskip(SKIP_1) | instid1(VALU_DEP_3)
	v_sub_nc_u32_e32 v151, 0x78, v12
	v_cmp_gt_u32_e64 s13, 0x79, v12
	v_or_b32_e32 v160, 0x800000, v150
	s_delay_alu instid0(VALU_DEP_2) | instskip(SKIP_2) | instid1(VALU_DEP_2)
	v_cndmask_b32_e64 v151, 0, v151, s13
	v_cmp_eq_u32_e64 s13, 0, v12
	v_add_nc_u32_e32 v12, 0xffffff89, v12
	v_cndmask_b32_e64 v151, v151, 0x77, s13
	v_cndmask_b32_e64 v150, v160, v150, s13
	s_delay_alu instid0(VALU_DEP_3) | instskip(NEXT) | instid1(VALU_DEP_3)
	v_cndmask_b32_e64 v12, v12, 0xffffff8a, s13
	v_lshl_add_u32 v160, 0x100000, v151, -1
	s_delay_alu instid0(VALU_DEP_3) | instskip(SKIP_1) | instid1(VALU_DEP_4)
	v_lshrrev_b32_e32 v161, v151, v150
	v_lshlrev_b32_e64 v163, v151, 0x80000
	v_add_nc_u32_e32 v151, v151, v12
	s_delay_alu instid0(VALU_DEP_4) | instskip(NEXT) | instid1(VALU_DEP_4)
	v_and_b32_e32 v150, v160, v150
	v_bfe_u32 v162, v161, 20, 1
	s_delay_alu instid0(VALU_DEP_2) | instskip(NEXT) | instid1(VALU_DEP_2)
	v_cmp_eq_u32_e64 s14, v150, v163
	v_add_nc_u32_e32 v160, -1, v162
	s_delay_alu instid0(VALU_DEP_1) | instskip(SKIP_2) | instid1(VALU_DEP_2)
	v_cndmask_b32_e64 v150, 0, v160, s14
	v_lshrrev_b32_e32 v160, 23, v161
	s_mov_b32 s14, exec_lo
	v_add_nc_u32_e32 v150, v150, v161
	s_delay_alu instid0(VALU_DEP_2) | instskip(NEXT) | instid1(VALU_DEP_2)
	v_xor_b32_e32 v160, 1, v160
	v_and_b32_e32 v12, 0xfffff, v150
	s_delay_alu instid0(VALU_DEP_1) | instskip(NEXT) | instid1(VALU_DEP_3)
	v_add_nc_u32_e32 v150, v12, v161
                                        ; implicit-def: $vgpr12
	v_cmpx_ne_u32_e64 v151, v160
	s_xor_b32 s14, exec_lo, s14
; %bb.858:                              ;   in Loop: Header=BB2_783 Depth=4
	s_delay_alu instid0(VALU_DEP_2) | instskip(SKIP_1) | instid1(VALU_DEP_2)
	v_cmp_lt_u32_e64 s13, 0xffffff, v150
	v_sub_nc_u32_e32 v12, v151, v160
	v_cndmask_b32_e64 v151, 0, 1, s13
	s_delay_alu instid0(VALU_DEP_2) | instskip(NEXT) | instid1(VALU_DEP_2)
	v_add_co_ci_u32_e64 v12, s13, 0, v12, s13
	v_lshrrev_b32_e32 v150, v151, v150
; %bb.859:                              ;   in Loop: Header=BB2_783 Depth=4
	s_and_not1_saveexec_b32 s13, s14
; %bb.860:                              ;   in Loop: Header=BB2_783 Depth=4
	s_delay_alu instid0(VALU_DEP_1)
	v_bfe_u32 v12, v150, 23, 1
; %bb.861:                              ;   in Loop: Header=BB2_783 Depth=4
	s_or_b32 exec_lo, exec_lo, s13
	v_lshrrev_b32_e32 v150, 20, v150
	s_delay_alu instid0(VALU_DEP_2) | instskip(SKIP_2) | instid1(VALU_DEP_3)
	v_cmp_gt_i32_e64 s13, 16, v12
	v_lshrrev_b32_e32 v149, 24, v149
	v_min_i32_e32 v151, 15, v12
	v_cndmask_b32_e64 v150, 7, v150, s13
	s_delay_alu instid0(VALU_DEP_3) | instskip(NEXT) | instid1(VALU_DEP_3)
	v_and_b32_e32 v149, 0x80, v149
	v_lshlrev_b32_e32 v151, 3, v151
	s_delay_alu instid0(VALU_DEP_3) | instskip(SKIP_1) | instid1(VALU_DEP_2)
	v_and_b32_e32 v160, 7, v150
	v_or_b32_e32 v12, v12, v150
	v_or3_b32 v149, v151, v149, v160
	s_delay_alu instid0(VALU_DEP_2) | instskip(NEXT) | instid1(VALU_DEP_1)
	v_cmp_ne_u32_e64 s13, 0, v12
	v_cndmask_b32_e64 v12, 0, v149, s13
.LBB2_862:                              ;   in Loop: Header=BB2_783 Depth=4
	s_or_b32 exec_lo, exec_lo, s24
.LBB2_863:                              ;   in Loop: Header=BB2_783 Depth=4
	s_delay_alu instid0(SALU_CYCLE_1) | instskip(SKIP_3) | instid1(VALU_DEP_1)
	s_or_b32 exec_lo, exec_lo, s3
	v_lshrrev_b16 v150, 8, v13
	s_mov_b32 s3, 0
	s_mov_b32 s24, exec_lo
                                        ; implicit-def: $sgpr14
	v_cmpx_lt_i16_e64 0x7f, v150
	s_xor_b32 s24, exec_lo, s24
	s_cbranch_execnz .LBB2_1077
; %bb.864:                              ;   in Loop: Header=BB2_783 Depth=4
	s_or_saveexec_b32 s24, s24
	v_mov_b32_e32 v149, s14
	s_xor_b32 exec_lo, exec_lo, s24
	s_cbranch_execnz .LBB2_1080
.LBB2_865:                              ;   in Loop: Header=BB2_783 Depth=4
	s_or_b32 exec_lo, exec_lo, s24
	s_and_saveexec_b32 s14, s3
	s_cbranch_execz .LBB2_867
.LBB2_866:                              ;   in Loop: Header=BB2_783 Depth=4
	v_and_b32_e32 v149, 0xffff, v150
	v_lshlrev_b32_e32 v150, 24, v150
	s_delay_alu instid0(VALU_DEP_2) | instskip(NEXT) | instid1(VALU_DEP_2)
	v_and_b32_e32 v151, 7, v149
	v_and_b32_e32 v150, 0x80000000, v150
	s_delay_alu instid0(VALU_DEP_2) | instskip(NEXT) | instid1(VALU_DEP_1)
	v_clz_i32_u32_e32 v160, v151
	v_min_u32_e32 v160, 32, v160
	s_delay_alu instid0(VALU_DEP_1) | instskip(SKIP_1) | instid1(VALU_DEP_2)
	v_subrev_nc_u32_e32 v161, 28, v160
	v_sub_nc_u32_e32 v160, 29, v160
	v_lshlrev_b32_e32 v161, v161, v149
	v_bfe_u32 v149, v149, 3, 4
	s_delay_alu instid0(VALU_DEP_2) | instskip(NEXT) | instid1(VALU_DEP_2)
	v_and_b32_e32 v161, 7, v161
	v_cmp_eq_u32_e64 s13, 0, v149
	s_delay_alu instid0(VALU_DEP_1) | instskip(NEXT) | instid1(VALU_DEP_3)
	v_cndmask_b32_e64 v149, v149, v160, s13
	v_cndmask_b32_e64 v151, v151, v161, s13
	s_delay_alu instid0(VALU_DEP_2) | instskip(NEXT) | instid1(VALU_DEP_2)
	v_lshl_add_u32 v149, v149, 23, 0x3b800000
	v_lshlrev_b32_e32 v151, 20, v151
	s_delay_alu instid0(VALU_DEP_1)
	v_or3_b32 v149, v150, v149, v151
.LBB2_867:                              ;   in Loop: Header=BB2_783 Depth=4
	s_or_b32 exec_lo, exec_lo, s14
	v_lshrrev_b16 v150, 8, v9
	s_mov_b32 s3, 0
	s_mov_b32 s24, exec_lo
                                        ; implicit-def: $sgpr14
	s_delay_alu instid0(VALU_DEP_1)
	v_cmpx_lt_i16_e64 0x7f, v150
	s_xor_b32 s24, exec_lo, s24
	s_cbranch_execnz .LBB2_1081
; %bb.868:                              ;   in Loop: Header=BB2_783 Depth=4
	s_or_saveexec_b32 s24, s24
	v_mov_b32_e32 v151, s14
	s_xor_b32 exec_lo, exec_lo, s24
	s_cbranch_execnz .LBB2_1084
.LBB2_869:                              ;   in Loop: Header=BB2_783 Depth=4
	s_or_b32 exec_lo, exec_lo, s24
	s_and_saveexec_b32 s14, s3
	s_cbranch_execz .LBB2_871
.LBB2_870:                              ;   in Loop: Header=BB2_783 Depth=4
	v_and_b32_e32 v151, 0xffff, v150
	v_lshlrev_b32_e32 v150, 24, v150
	s_delay_alu instid0(VALU_DEP_2) | instskip(NEXT) | instid1(VALU_DEP_2)
	v_and_b32_e32 v160, 7, v151
	v_and_b32_e32 v150, 0x80000000, v150
	s_delay_alu instid0(VALU_DEP_2) | instskip(NEXT) | instid1(VALU_DEP_1)
	v_clz_i32_u32_e32 v161, v160
	v_min_u32_e32 v161, 32, v161
	s_delay_alu instid0(VALU_DEP_1) | instskip(SKIP_1) | instid1(VALU_DEP_2)
	v_subrev_nc_u32_e32 v162, 28, v161
	v_sub_nc_u32_e32 v161, 29, v161
	v_lshlrev_b32_e32 v162, v162, v151
	v_bfe_u32 v151, v151, 3, 4
	s_delay_alu instid0(VALU_DEP_2) | instskip(NEXT) | instid1(VALU_DEP_2)
	v_and_b32_e32 v162, 7, v162
	v_cmp_eq_u32_e64 s13, 0, v151
	s_delay_alu instid0(VALU_DEP_1) | instskip(NEXT) | instid1(VALU_DEP_3)
	v_cndmask_b32_e64 v151, v151, v161, s13
	v_cndmask_b32_e64 v160, v160, v162, s13
	s_delay_alu instid0(VALU_DEP_2) | instskip(NEXT) | instid1(VALU_DEP_2)
	v_lshl_add_u32 v151, v151, 23, 0x3b800000
	v_lshlrev_b32_e32 v160, 20, v160
	s_delay_alu instid0(VALU_DEP_1)
	v_or3_b32 v151, v150, v151, v160
.LBB2_871:                              ;   in Loop: Header=BB2_783 Depth=4
	s_or_b32 exec_lo, exec_lo, s14
	s_delay_alu instid0(VALU_DEP_1) | instskip(NEXT) | instid1(VALU_DEP_1)
	v_add_f32_e32 v150, v149, v151
	v_and_b32_e32 v149, 0x7f800000, v150
	s_delay_alu instid0(VALU_DEP_1) | instskip(SKIP_1) | instid1(VALU_DEP_2)
	v_cmp_ne_u32_e64 s13, 0x7f800000, v149
	v_mov_b32_e32 v149, 0x8000
	s_and_saveexec_b32 s3, s13
	s_cbranch_execz .LBB2_879
; %bb.872:                              ;   in Loop: Header=BB2_783 Depth=4
	v_mov_b32_e32 v149, 0
	s_mov_b32 s24, exec_lo
	v_cmpx_ne_u32_e32 0, v150
	s_cbranch_execz .LBB2_878
; %bb.873:                              ;   in Loop: Header=BB2_783 Depth=4
	v_bfe_u32 v149, v150, 23, 8
	v_and_b32_e32 v151, 0x7fffff, v150
	s_delay_alu instid0(VALU_DEP_2) | instskip(SKIP_1) | instid1(VALU_DEP_3)
	v_sub_nc_u32_e32 v160, 0x78, v149
	v_cmp_gt_u32_e64 s13, 0x79, v149
	v_or_b32_e32 v161, 0x800000, v151
	s_delay_alu instid0(VALU_DEP_2) | instskip(SKIP_2) | instid1(VALU_DEP_2)
	v_cndmask_b32_e64 v160, 0, v160, s13
	v_cmp_eq_u32_e64 s13, 0, v149
	v_add_nc_u32_e32 v149, 0xffffff89, v149
	v_cndmask_b32_e64 v160, v160, 0x77, s13
	v_cndmask_b32_e64 v151, v161, v151, s13
	s_delay_alu instid0(VALU_DEP_3) | instskip(NEXT) | instid1(VALU_DEP_3)
	v_cndmask_b32_e64 v149, v149, 0xffffff8a, s13
	v_lshl_add_u32 v161, 0x100000, v160, -1
	s_delay_alu instid0(VALU_DEP_3) | instskip(SKIP_1) | instid1(VALU_DEP_4)
	v_lshrrev_b32_e32 v162, v160, v151
	v_lshlrev_b32_e64 v164, v160, 0x80000
	v_add_nc_u32_e32 v160, v160, v149
	s_delay_alu instid0(VALU_DEP_4) | instskip(NEXT) | instid1(VALU_DEP_4)
	v_and_b32_e32 v151, v161, v151
	v_bfe_u32 v163, v162, 20, 1
	s_delay_alu instid0(VALU_DEP_2) | instskip(NEXT) | instid1(VALU_DEP_2)
	v_cmp_eq_u32_e64 s14, v151, v164
	v_add_nc_u32_e32 v161, -1, v163
	s_delay_alu instid0(VALU_DEP_1) | instskip(SKIP_2) | instid1(VALU_DEP_2)
	v_cndmask_b32_e64 v151, 0, v161, s14
	v_lshrrev_b32_e32 v161, 23, v162
	s_mov_b32 s14, exec_lo
	v_add_nc_u32_e32 v151, v151, v162
	s_delay_alu instid0(VALU_DEP_2) | instskip(NEXT) | instid1(VALU_DEP_2)
	v_xor_b32_e32 v161, 1, v161
	v_and_b32_e32 v149, 0xfffff, v151
	s_delay_alu instid0(VALU_DEP_1) | instskip(NEXT) | instid1(VALU_DEP_3)
	v_add_nc_u32_e32 v151, v149, v162
                                        ; implicit-def: $vgpr149
	v_cmpx_ne_u32_e64 v160, v161
	s_xor_b32 s14, exec_lo, s14
; %bb.874:                              ;   in Loop: Header=BB2_783 Depth=4
	s_delay_alu instid0(VALU_DEP_2) | instskip(SKIP_1) | instid1(VALU_DEP_2)
	v_cmp_lt_u32_e64 s13, 0xffffff, v151
	v_sub_nc_u32_e32 v149, v160, v161
	v_cndmask_b32_e64 v160, 0, 1, s13
	s_delay_alu instid0(VALU_DEP_2) | instskip(NEXT) | instid1(VALU_DEP_2)
	v_add_co_ci_u32_e64 v149, s13, 0, v149, s13
	v_lshrrev_b32_e32 v151, v160, v151
; %bb.875:                              ;   in Loop: Header=BB2_783 Depth=4
	s_and_not1_saveexec_b32 s13, s14
; %bb.876:                              ;   in Loop: Header=BB2_783 Depth=4
	s_delay_alu instid0(VALU_DEP_1)
	v_bfe_u32 v149, v151, 23, 1
; %bb.877:                              ;   in Loop: Header=BB2_783 Depth=4
	s_or_b32 exec_lo, exec_lo, s13
	v_lshrrev_b32_e32 v151, 20, v151
	s_delay_alu instid0(VALU_DEP_2) | instskip(SKIP_2) | instid1(VALU_DEP_3)
	v_min_i32_e32 v160, 15, v149
	v_cmp_gt_i32_e64 s13, 16, v149
	v_lshrrev_b32_e32 v150, 24, v150
	v_lshlrev_b32_e32 v160, 3, v160
	s_delay_alu instid0(VALU_DEP_3) | instskip(NEXT) | instid1(VALU_DEP_3)
	v_cndmask_b32_e64 v151, 7, v151, s13
	v_and_b32_e32 v150, 0x80, v150
	s_delay_alu instid0(VALU_DEP_3) | instskip(NEXT) | instid1(VALU_DEP_3)
	v_and_b32_e32 v160, 0xf8, v160
	v_and_b32_e32 v161, 7, v151
	v_or_b32_e32 v149, v149, v151
	s_delay_alu instid0(VALU_DEP_2) | instskip(NEXT) | instid1(VALU_DEP_2)
	v_or3_b32 v150, v150, v160, v161
	v_cmp_ne_u32_e64 s13, 0, v149
	s_delay_alu instid0(VALU_DEP_2) | instskip(NEXT) | instid1(VALU_DEP_1)
	v_lshlrev_b32_e32 v150, 8, v150
	v_cndmask_b32_e64 v149, 0, v150, s13
.LBB2_878:                              ;   in Loop: Header=BB2_783 Depth=4
	s_or_b32 exec_lo, exec_lo, s24
.LBB2_879:                              ;   in Loop: Header=BB2_783 Depth=4
	s_delay_alu instid0(SALU_CYCLE_1) | instskip(SKIP_3) | instid1(VALU_DEP_1)
	s_or_b32 exec_lo, exec_lo, s3
	v_lshrrev_b32_e32 v151, 16, v13
	s_mov_b32 s3, 0
	s_mov_b32 s24, exec_lo
                                        ; implicit-def: $sgpr14
	v_and_b32_e32 v160, 0xff, v151
	s_delay_alu instid0(VALU_DEP_1)
	v_cmpx_lt_i16_e64 0x7f, v160
	s_xor_b32 s24, exec_lo, s24
	s_cbranch_execnz .LBB2_1085
; %bb.880:                              ;   in Loop: Header=BB2_783 Depth=4
	s_or_saveexec_b32 s24, s24
	v_mov_b32_e32 v150, s14
	s_xor_b32 exec_lo, exec_lo, s24
	s_cbranch_execnz .LBB2_1088
.LBB2_881:                              ;   in Loop: Header=BB2_783 Depth=4
	s_or_b32 exec_lo, exec_lo, s24
	s_and_saveexec_b32 s14, s3
	s_cbranch_execz .LBB2_883
.LBB2_882:                              ;   in Loop: Header=BB2_783 Depth=4
	v_bfe_u32 v150, v13, 16, 3
	v_lshlrev_b32_e32 v162, 8, v13
	s_delay_alu instid0(VALU_DEP_2) | instskip(NEXT) | instid1(VALU_DEP_1)
	v_clz_i32_u32_e32 v160, v150
	v_min_u32_e32 v160, 32, v160
	s_delay_alu instid0(VALU_DEP_1) | instskip(SKIP_1) | instid1(VALU_DEP_2)
	v_subrev_nc_u32_e32 v161, 28, v160
	v_sub_nc_u32_e32 v160, 29, v160
	v_lshlrev_b32_e32 v151, v161, v151
	v_bfe_u32 v161, v13, 19, 4
	s_delay_alu instid0(VALU_DEP_2) | instskip(NEXT) | instid1(VALU_DEP_2)
	v_and_b32_e32 v151, 7, v151
	v_cmp_eq_u32_e64 s13, 0, v161
	s_delay_alu instid0(VALU_DEP_1) | instskip(NEXT) | instid1(VALU_DEP_3)
	v_cndmask_b32_e64 v160, v161, v160, s13
	v_cndmask_b32_e64 v150, v150, v151, s13
	v_and_b32_e32 v151, 0x80000000, v162
	s_delay_alu instid0(VALU_DEP_3) | instskip(NEXT) | instid1(VALU_DEP_3)
	v_lshl_add_u32 v160, v160, 23, 0x3b800000
	v_lshlrev_b32_e32 v150, 20, v150
	s_delay_alu instid0(VALU_DEP_1)
	v_or3_b32 v150, v151, v160, v150
.LBB2_883:                              ;   in Loop: Header=BB2_783 Depth=4
	s_or_b32 exec_lo, exec_lo, s14
	v_lshrrev_b32_e32 v151, 16, v9
	s_mov_b32 s3, 0
	s_mov_b32 s24, exec_lo
                                        ; implicit-def: $sgpr14
	s_delay_alu instid0(VALU_DEP_1) | instskip(NEXT) | instid1(VALU_DEP_1)
	v_and_b32_e32 v161, 0xff, v151
	v_cmpx_lt_i16_e64 0x7f, v161
	s_xor_b32 s24, exec_lo, s24
	s_cbranch_execnz .LBB2_1089
; %bb.884:                              ;   in Loop: Header=BB2_783 Depth=4
	s_or_saveexec_b32 s24, s24
	v_mov_b32_e32 v160, s14
	s_xor_b32 exec_lo, exec_lo, s24
	s_cbranch_execnz .LBB2_1092
.LBB2_885:                              ;   in Loop: Header=BB2_783 Depth=4
	s_or_b32 exec_lo, exec_lo, s24
	s_and_saveexec_b32 s14, s3
	s_cbranch_execz .LBB2_887
.LBB2_886:                              ;   in Loop: Header=BB2_783 Depth=4
	v_bfe_u32 v160, v9, 16, 3
	v_lshlrev_b32_e32 v163, 8, v9
	s_delay_alu instid0(VALU_DEP_2) | instskip(NEXT) | instid1(VALU_DEP_1)
	v_clz_i32_u32_e32 v161, v160
	v_min_u32_e32 v161, 32, v161
	s_delay_alu instid0(VALU_DEP_1) | instskip(SKIP_1) | instid1(VALU_DEP_2)
	v_subrev_nc_u32_e32 v162, 28, v161
	v_sub_nc_u32_e32 v161, 29, v161
	v_lshlrev_b32_e32 v151, v162, v151
	v_bfe_u32 v162, v9, 19, 4
	s_delay_alu instid0(VALU_DEP_2) | instskip(NEXT) | instid1(VALU_DEP_2)
	v_and_b32_e32 v151, 7, v151
	v_cmp_eq_u32_e64 s13, 0, v162
	s_delay_alu instid0(VALU_DEP_1) | instskip(NEXT) | instid1(VALU_DEP_3)
	v_cndmask_b32_e64 v161, v162, v161, s13
	v_cndmask_b32_e64 v151, v160, v151, s13
	v_and_b32_e32 v160, 0x80000000, v163
	s_delay_alu instid0(VALU_DEP_3) | instskip(NEXT) | instid1(VALU_DEP_3)
	v_lshl_add_u32 v161, v161, 23, 0x3b800000
	v_lshlrev_b32_e32 v151, 20, v151
	s_delay_alu instid0(VALU_DEP_1)
	v_or3_b32 v160, v160, v161, v151
.LBB2_887:                              ;   in Loop: Header=BB2_783 Depth=4
	s_or_b32 exec_lo, exec_lo, s14
	s_delay_alu instid0(VALU_DEP_1) | instskip(NEXT) | instid1(VALU_DEP_1)
	v_add_f32_e32 v151, v150, v160
	v_and_b32_e32 v150, 0x7f800000, v151
	s_delay_alu instid0(VALU_DEP_1) | instskip(SKIP_1) | instid1(VALU_DEP_2)
	v_cmp_ne_u32_e64 s13, 0x7f800000, v150
	v_mov_b32_e32 v150, 0x80
	s_and_saveexec_b32 s3, s13
	s_cbranch_execz .LBB2_895
; %bb.888:                              ;   in Loop: Header=BB2_783 Depth=4
	v_mov_b32_e32 v150, 0
	s_mov_b32 s24, exec_lo
	v_cmpx_ne_u32_e32 0, v151
	s_cbranch_execz .LBB2_894
; %bb.889:                              ;   in Loop: Header=BB2_783 Depth=4
	v_bfe_u32 v150, v151, 23, 8
	v_and_b32_e32 v160, 0x7fffff, v151
	s_delay_alu instid0(VALU_DEP_2) | instskip(SKIP_1) | instid1(VALU_DEP_3)
	v_sub_nc_u32_e32 v161, 0x78, v150
	v_cmp_gt_u32_e64 s13, 0x79, v150
	v_or_b32_e32 v162, 0x800000, v160
	s_delay_alu instid0(VALU_DEP_2) | instskip(SKIP_2) | instid1(VALU_DEP_2)
	v_cndmask_b32_e64 v161, 0, v161, s13
	v_cmp_eq_u32_e64 s13, 0, v150
	v_add_nc_u32_e32 v150, 0xffffff89, v150
	v_cndmask_b32_e64 v161, v161, 0x77, s13
	v_cndmask_b32_e64 v160, v162, v160, s13
	s_delay_alu instid0(VALU_DEP_3) | instskip(NEXT) | instid1(VALU_DEP_3)
	v_cndmask_b32_e64 v150, v150, 0xffffff8a, s13
	v_lshl_add_u32 v162, 0x100000, v161, -1
	s_delay_alu instid0(VALU_DEP_3) | instskip(SKIP_1) | instid1(VALU_DEP_4)
	v_lshrrev_b32_e32 v163, v161, v160
	v_lshlrev_b32_e64 v165, v161, 0x80000
	v_add_nc_u32_e32 v161, v161, v150
	s_delay_alu instid0(VALU_DEP_4) | instskip(NEXT) | instid1(VALU_DEP_4)
	v_and_b32_e32 v160, v162, v160
	v_bfe_u32 v164, v163, 20, 1
	s_delay_alu instid0(VALU_DEP_2) | instskip(NEXT) | instid1(VALU_DEP_2)
	v_cmp_eq_u32_e64 s14, v160, v165
	v_add_nc_u32_e32 v162, -1, v164
	s_delay_alu instid0(VALU_DEP_1) | instskip(SKIP_2) | instid1(VALU_DEP_2)
	v_cndmask_b32_e64 v160, 0, v162, s14
	v_lshrrev_b32_e32 v162, 23, v163
	s_mov_b32 s14, exec_lo
	v_add_nc_u32_e32 v160, v160, v163
	s_delay_alu instid0(VALU_DEP_2) | instskip(NEXT) | instid1(VALU_DEP_2)
	v_xor_b32_e32 v162, 1, v162
	v_and_b32_e32 v150, 0xfffff, v160
	s_delay_alu instid0(VALU_DEP_1) | instskip(NEXT) | instid1(VALU_DEP_3)
	v_add_nc_u32_e32 v160, v150, v163
                                        ; implicit-def: $vgpr150
	v_cmpx_ne_u32_e64 v161, v162
	s_xor_b32 s14, exec_lo, s14
; %bb.890:                              ;   in Loop: Header=BB2_783 Depth=4
	s_delay_alu instid0(VALU_DEP_2) | instskip(SKIP_1) | instid1(VALU_DEP_2)
	v_cmp_lt_u32_e64 s13, 0xffffff, v160
	v_sub_nc_u32_e32 v150, v161, v162
	v_cndmask_b32_e64 v161, 0, 1, s13
	s_delay_alu instid0(VALU_DEP_2) | instskip(NEXT) | instid1(VALU_DEP_2)
	v_add_co_ci_u32_e64 v150, s13, 0, v150, s13
	v_lshrrev_b32_e32 v160, v161, v160
; %bb.891:                              ;   in Loop: Header=BB2_783 Depth=4
	s_and_not1_saveexec_b32 s13, s14
; %bb.892:                              ;   in Loop: Header=BB2_783 Depth=4
	s_delay_alu instid0(VALU_DEP_1)
	v_bfe_u32 v150, v160, 23, 1
; %bb.893:                              ;   in Loop: Header=BB2_783 Depth=4
	s_or_b32 exec_lo, exec_lo, s13
	v_lshrrev_b32_e32 v160, 20, v160
	s_delay_alu instid0(VALU_DEP_2) | instskip(SKIP_2) | instid1(VALU_DEP_3)
	v_min_i32_e32 v161, 15, v150
	v_cmp_gt_i32_e64 s13, 16, v150
	v_lshrrev_b32_e32 v151, 24, v151
	v_lshlrev_b32_e32 v161, 3, v161
	s_delay_alu instid0(VALU_DEP_3) | instskip(NEXT) | instid1(VALU_DEP_3)
	v_cndmask_b32_e64 v160, 7, v160, s13
	v_and_b32_e32 v151, 0x80, v151
	s_delay_alu instid0(VALU_DEP_3) | instskip(NEXT) | instid1(VALU_DEP_3)
	v_and_b32_e32 v161, 0xf8, v161
	v_and_b32_e32 v162, 7, v160
	v_or_b32_e32 v150, v150, v160
	s_delay_alu instid0(VALU_DEP_2) | instskip(NEXT) | instid1(VALU_DEP_2)
	v_or3_b32 v151, v161, v151, v162
	v_cmp_ne_u32_e64 s13, 0, v150
	s_delay_alu instid0(VALU_DEP_1)
	v_cndmask_b32_e64 v150, 0, v151, s13
.LBB2_894:                              ;   in Loop: Header=BB2_783 Depth=4
	s_or_b32 exec_lo, exec_lo, s24
.LBB2_895:                              ;   in Loop: Header=BB2_783 Depth=4
	s_delay_alu instid0(SALU_CYCLE_1) | instskip(SKIP_3) | instid1(VALU_DEP_1)
	s_or_b32 exec_lo, exec_lo, s3
	v_lshrrev_b32_e32 v160, 24, v13
	s_mov_b32 s3, 0
	s_mov_b32 s24, exec_lo
                                        ; implicit-def: $sgpr14
	v_cmpx_lt_i16_e64 0x7f, v160
	s_xor_b32 s24, exec_lo, s24
	s_cbranch_execnz .LBB2_1093
; %bb.896:                              ;   in Loop: Header=BB2_783 Depth=4
	s_or_saveexec_b32 s24, s24
	v_mov_b32_e32 v151, s14
	s_xor_b32 exec_lo, exec_lo, s24
	s_cbranch_execnz .LBB2_1096
.LBB2_897:                              ;   in Loop: Header=BB2_783 Depth=4
	s_or_b32 exec_lo, exec_lo, s24
	s_and_saveexec_b32 s14, s3
	s_cbranch_execz .LBB2_899
.LBB2_898:                              ;   in Loop: Header=BB2_783 Depth=4
	v_bfe_u32 v151, v13, 24, 3
	s_delay_alu instid0(VALU_DEP_1) | instskip(NEXT) | instid1(VALU_DEP_1)
	v_clz_i32_u32_e32 v161, v151
	v_min_u32_e32 v161, 32, v161
	s_delay_alu instid0(VALU_DEP_1) | instskip(SKIP_1) | instid1(VALU_DEP_2)
	v_subrev_nc_u32_e32 v162, 28, v161
	v_sub_nc_u32_e32 v161, 29, v161
	v_lshlrev_b32_e32 v160, v162, v160
	v_bfe_u32 v162, v13, 27, 4
	v_and_b32_e32 v13, 0x80000000, v13
	s_delay_alu instid0(VALU_DEP_3) | instskip(NEXT) | instid1(VALU_DEP_3)
	v_and_b32_e32 v160, 7, v160
	v_cmp_eq_u32_e64 s13, 0, v162
	s_delay_alu instid0(VALU_DEP_1) | instskip(NEXT) | instid1(VALU_DEP_3)
	v_cndmask_b32_e64 v161, v162, v161, s13
	v_cndmask_b32_e64 v151, v151, v160, s13
	s_delay_alu instid0(VALU_DEP_2) | instskip(NEXT) | instid1(VALU_DEP_2)
	v_lshl_add_u32 v160, v161, 23, 0x3b800000
	v_lshlrev_b32_e32 v151, 20, v151
	s_delay_alu instid0(VALU_DEP_1)
	v_or3_b32 v151, v13, v160, v151
.LBB2_899:                              ;   in Loop: Header=BB2_783 Depth=4
	s_or_b32 exec_lo, exec_lo, s14
	v_lshrrev_b32_e32 v13, 24, v9
	s_mov_b32 s3, 0
	s_mov_b32 s24, exec_lo
                                        ; implicit-def: $sgpr14
	s_delay_alu instid0(VALU_DEP_1)
	v_cmpx_lt_i16_e32 0x7f, v13
	s_xor_b32 s24, exec_lo, s24
	s_cbranch_execnz .LBB2_1097
; %bb.900:                              ;   in Loop: Header=BB2_783 Depth=4
	s_or_saveexec_b32 s24, s24
	v_mov_b32_e32 v160, s14
	s_xor_b32 exec_lo, exec_lo, s24
	s_cbranch_execnz .LBB2_1100
.LBB2_901:                              ;   in Loop: Header=BB2_783 Depth=4
	s_or_b32 exec_lo, exec_lo, s24
	s_and_saveexec_b32 s14, s3
	s_cbranch_execz .LBB2_903
.LBB2_902:                              ;   in Loop: Header=BB2_783 Depth=4
	v_bfe_u32 v160, v9, 24, 3
	s_delay_alu instid0(VALU_DEP_1) | instskip(NEXT) | instid1(VALU_DEP_1)
	v_clz_i32_u32_e32 v161, v160
	v_min_u32_e32 v161, 32, v161
	s_delay_alu instid0(VALU_DEP_1) | instskip(SKIP_1) | instid1(VALU_DEP_2)
	v_subrev_nc_u32_e32 v162, 28, v161
	v_sub_nc_u32_e32 v161, 29, v161
	v_lshlrev_b32_e32 v13, v162, v13
	v_bfe_u32 v162, v9, 27, 4
	v_and_b32_e32 v9, 0x80000000, v9
	s_delay_alu instid0(VALU_DEP_3) | instskip(NEXT) | instid1(VALU_DEP_3)
	v_and_b32_e32 v13, 7, v13
	v_cmp_eq_u32_e64 s13, 0, v162
	s_delay_alu instid0(VALU_DEP_1) | instskip(NEXT) | instid1(VALU_DEP_3)
	v_cndmask_b32_e64 v161, v162, v161, s13
	v_cndmask_b32_e64 v13, v160, v13, s13
	s_delay_alu instid0(VALU_DEP_2) | instskip(NEXT) | instid1(VALU_DEP_2)
	v_lshl_add_u32 v160, v161, 23, 0x3b800000
	v_lshlrev_b32_e32 v13, 20, v13
	s_delay_alu instid0(VALU_DEP_1)
	v_or3_b32 v160, v9, v160, v13
.LBB2_903:                              ;   in Loop: Header=BB2_783 Depth=4
	s_or_b32 exec_lo, exec_lo, s14
	s_delay_alu instid0(VALU_DEP_1) | instskip(NEXT) | instid1(VALU_DEP_1)
	v_add_f32_e32 v13, v151, v160
	v_and_b32_e32 v9, 0x7f800000, v13
	s_delay_alu instid0(VALU_DEP_1) | instskip(SKIP_1) | instid1(VALU_DEP_2)
	v_cmp_ne_u32_e64 s13, 0x7f800000, v9
	v_mov_b32_e32 v9, 0x8000
	s_and_saveexec_b32 s3, s13
	s_cbranch_execz .LBB2_911
; %bb.904:                              ;   in Loop: Header=BB2_783 Depth=4
	v_mov_b32_e32 v9, 0
	s_mov_b32 s24, exec_lo
	v_cmpx_ne_u32_e32 0, v13
	s_cbranch_execz .LBB2_910
; %bb.905:                              ;   in Loop: Header=BB2_783 Depth=4
	v_bfe_u32 v9, v13, 23, 8
	v_and_b32_e32 v151, 0x7fffff, v13
	s_delay_alu instid0(VALU_DEP_2) | instskip(SKIP_1) | instid1(VALU_DEP_3)
	v_sub_nc_u32_e32 v160, 0x78, v9
	v_cmp_gt_u32_e64 s13, 0x79, v9
	v_or_b32_e32 v161, 0x800000, v151
	s_delay_alu instid0(VALU_DEP_2) | instskip(SKIP_2) | instid1(VALU_DEP_2)
	v_cndmask_b32_e64 v160, 0, v160, s13
	v_cmp_eq_u32_e64 s13, 0, v9
	v_add_nc_u32_e32 v9, 0xffffff89, v9
	v_cndmask_b32_e64 v160, v160, 0x77, s13
	v_cndmask_b32_e64 v151, v161, v151, s13
	s_delay_alu instid0(VALU_DEP_3) | instskip(NEXT) | instid1(VALU_DEP_3)
	v_cndmask_b32_e64 v9, v9, 0xffffff8a, s13
	v_lshl_add_u32 v161, 0x100000, v160, -1
	s_delay_alu instid0(VALU_DEP_3) | instskip(SKIP_1) | instid1(VALU_DEP_4)
	v_lshrrev_b32_e32 v162, v160, v151
	v_lshlrev_b32_e64 v164, v160, 0x80000
	v_add_nc_u32_e32 v160, v160, v9
	s_delay_alu instid0(VALU_DEP_4) | instskip(NEXT) | instid1(VALU_DEP_4)
	v_and_b32_e32 v151, v161, v151
	v_bfe_u32 v163, v162, 20, 1
	s_delay_alu instid0(VALU_DEP_2) | instskip(NEXT) | instid1(VALU_DEP_2)
	v_cmp_eq_u32_e64 s14, v151, v164
	v_add_nc_u32_e32 v161, -1, v163
	s_delay_alu instid0(VALU_DEP_1) | instskip(SKIP_2) | instid1(VALU_DEP_2)
	v_cndmask_b32_e64 v151, 0, v161, s14
	v_lshrrev_b32_e32 v161, 23, v162
	s_mov_b32 s14, exec_lo
	v_add_nc_u32_e32 v151, v151, v162
	s_delay_alu instid0(VALU_DEP_2) | instskip(NEXT) | instid1(VALU_DEP_2)
	v_xor_b32_e32 v161, 1, v161
	v_and_b32_e32 v9, 0xfffff, v151
	s_delay_alu instid0(VALU_DEP_1) | instskip(NEXT) | instid1(VALU_DEP_3)
	v_add_nc_u32_e32 v151, v9, v162
                                        ; implicit-def: $vgpr9
	v_cmpx_ne_u32_e64 v160, v161
	s_xor_b32 s14, exec_lo, s14
; %bb.906:                              ;   in Loop: Header=BB2_783 Depth=4
	s_delay_alu instid0(VALU_DEP_2) | instskip(SKIP_1) | instid1(VALU_DEP_2)
	v_cmp_lt_u32_e64 s13, 0xffffff, v151
	v_sub_nc_u32_e32 v9, v160, v161
	v_cndmask_b32_e64 v160, 0, 1, s13
	s_delay_alu instid0(VALU_DEP_2) | instskip(NEXT) | instid1(VALU_DEP_2)
	v_add_co_ci_u32_e64 v9, s13, 0, v9, s13
	v_lshrrev_b32_e32 v151, v160, v151
; %bb.907:                              ;   in Loop: Header=BB2_783 Depth=4
	s_and_not1_saveexec_b32 s13, s14
; %bb.908:                              ;   in Loop: Header=BB2_783 Depth=4
	s_delay_alu instid0(VALU_DEP_1)
	v_bfe_u32 v9, v151, 23, 1
; %bb.909:                              ;   in Loop: Header=BB2_783 Depth=4
	s_or_b32 exec_lo, exec_lo, s13
	v_lshrrev_b32_e32 v151, 20, v151
	s_delay_alu instid0(VALU_DEP_2) | instskip(SKIP_2) | instid1(VALU_DEP_3)
	v_min_i32_e32 v160, 15, v9
	v_cmp_gt_i32_e64 s13, 16, v9
	v_lshrrev_b32_e32 v13, 24, v13
	v_lshlrev_b32_e32 v160, 3, v160
	s_delay_alu instid0(VALU_DEP_3) | instskip(NEXT) | instid1(VALU_DEP_3)
	v_cndmask_b32_e64 v151, 7, v151, s13
	v_and_b32_e32 v13, 0x80, v13
	s_delay_alu instid0(VALU_DEP_3) | instskip(NEXT) | instid1(VALU_DEP_3)
	v_and_b32_e32 v160, 0xf8, v160
	v_and_b32_e32 v161, 7, v151
	v_or_b32_e32 v9, v9, v151
	s_delay_alu instid0(VALU_DEP_2) | instskip(NEXT) | instid1(VALU_DEP_2)
	v_or3_b32 v13, v13, v160, v161
	v_cmp_ne_u32_e64 s13, 0, v9
	s_delay_alu instid0(VALU_DEP_2) | instskip(NEXT) | instid1(VALU_DEP_1)
	v_lshlrev_b32_e32 v13, 8, v13
	v_cndmask_b32_e64 v9, 0, v13, s13
.LBB2_910:                              ;   in Loop: Header=BB2_783 Depth=4
	s_or_b32 exec_lo, exec_lo, s24
.LBB2_911:                              ;   in Loop: Header=BB2_783 Depth=4
	s_delay_alu instid0(SALU_CYCLE_1) | instskip(SKIP_3) | instid1(VALU_DEP_1)
	s_or_b32 exec_lo, exec_lo, s3
	v_and_b32_e32 v151, 0xff, v14
	s_mov_b32 s3, 0
	s_mov_b32 s24, exec_lo
                                        ; implicit-def: $sgpr14
	v_cmpx_lt_i16_e64 0x7f, v151
	s_xor_b32 s24, exec_lo, s24
	s_cbranch_execnz .LBB2_1101
; %bb.912:                              ;   in Loop: Header=BB2_783 Depth=4
	s_or_saveexec_b32 s24, s24
	v_mov_b32_e32 v13, s14
	s_xor_b32 exec_lo, exec_lo, s24
	s_cbranch_execnz .LBB2_1104
.LBB2_913:                              ;   in Loop: Header=BB2_783 Depth=4
	s_or_b32 exec_lo, exec_lo, s24
	s_and_saveexec_b32 s14, s3
	s_cbranch_execz .LBB2_915
.LBB2_914:                              ;   in Loop: Header=BB2_783 Depth=4
	v_and_b32_e32 v13, 7, v14
	v_bfe_u32 v161, v14, 3, 4
	v_lshlrev_b32_e32 v162, 24, v14
	s_delay_alu instid0(VALU_DEP_3) | instskip(NEXT) | instid1(VALU_DEP_3)
	v_clz_i32_u32_e32 v151, v13
	v_cmp_eq_u32_e64 s13, 0, v161
	s_delay_alu instid0(VALU_DEP_2) | instskip(NEXT) | instid1(VALU_DEP_1)
	v_min_u32_e32 v151, 32, v151
	v_subrev_nc_u32_e32 v160, 28, v151
	v_sub_nc_u32_e32 v151, 29, v151
	s_delay_alu instid0(VALU_DEP_2) | instskip(NEXT) | instid1(VALU_DEP_2)
	v_lshlrev_b32_e32 v160, v160, v14
	v_cndmask_b32_e64 v151, v161, v151, s13
	s_delay_alu instid0(VALU_DEP_2) | instskip(NEXT) | instid1(VALU_DEP_2)
	v_and_b32_e32 v160, 7, v160
	v_lshl_add_u32 v151, v151, 23, 0x3b800000
	s_delay_alu instid0(VALU_DEP_2) | instskip(SKIP_1) | instid1(VALU_DEP_2)
	v_cndmask_b32_e64 v13, v13, v160, s13
	v_and_b32_e32 v160, 0x80000000, v162
	v_lshlrev_b32_e32 v13, 20, v13
	s_delay_alu instid0(VALU_DEP_1)
	v_or3_b32 v13, v160, v151, v13
.LBB2_915:                              ;   in Loop: Header=BB2_783 Depth=4
	s_or_b32 exec_lo, exec_lo, s14
	v_and_b32_e32 v160, 0xff, v10
	s_mov_b32 s3, 0
	s_mov_b32 s24, exec_lo
                                        ; implicit-def: $sgpr14
	s_delay_alu instid0(VALU_DEP_1)
	v_cmpx_lt_i16_e64 0x7f, v160
	s_xor_b32 s24, exec_lo, s24
	s_cbranch_execnz .LBB2_1105
; %bb.916:                              ;   in Loop: Header=BB2_783 Depth=4
	s_or_saveexec_b32 s24, s24
	v_mov_b32_e32 v151, s14
	s_xor_b32 exec_lo, exec_lo, s24
	s_cbranch_execnz .LBB2_1108
.LBB2_917:                              ;   in Loop: Header=BB2_783 Depth=4
	s_or_b32 exec_lo, exec_lo, s24
	s_and_saveexec_b32 s14, s3
	s_cbranch_execz .LBB2_919
.LBB2_918:                              ;   in Loop: Header=BB2_783 Depth=4
	v_and_b32_e32 v151, 7, v10
	v_bfe_u32 v162, v10, 3, 4
	v_lshlrev_b32_e32 v163, 24, v10
	s_delay_alu instid0(VALU_DEP_3) | instskip(NEXT) | instid1(VALU_DEP_3)
	v_clz_i32_u32_e32 v160, v151
	v_cmp_eq_u32_e64 s13, 0, v162
	s_delay_alu instid0(VALU_DEP_2) | instskip(NEXT) | instid1(VALU_DEP_1)
	v_min_u32_e32 v160, 32, v160
	v_subrev_nc_u32_e32 v161, 28, v160
	v_sub_nc_u32_e32 v160, 29, v160
	s_delay_alu instid0(VALU_DEP_2) | instskip(NEXT) | instid1(VALU_DEP_2)
	v_lshlrev_b32_e32 v161, v161, v10
	v_cndmask_b32_e64 v160, v162, v160, s13
	s_delay_alu instid0(VALU_DEP_2) | instskip(NEXT) | instid1(VALU_DEP_2)
	v_and_b32_e32 v161, 7, v161
	v_lshl_add_u32 v160, v160, 23, 0x3b800000
	s_delay_alu instid0(VALU_DEP_2) | instskip(SKIP_1) | instid1(VALU_DEP_2)
	v_cndmask_b32_e64 v151, v151, v161, s13
	v_and_b32_e32 v161, 0x80000000, v163
	v_lshlrev_b32_e32 v151, 20, v151
	s_delay_alu instid0(VALU_DEP_1)
	v_or3_b32 v151, v161, v160, v151
.LBB2_919:                              ;   in Loop: Header=BB2_783 Depth=4
	s_or_b32 exec_lo, exec_lo, s14
	s_delay_alu instid0(VALU_DEP_1) | instskip(NEXT) | instid1(VALU_DEP_1)
	v_add_f32_e32 v151, v13, v151
	v_and_b32_e32 v13, 0x7f800000, v151
	s_delay_alu instid0(VALU_DEP_1) | instskip(SKIP_1) | instid1(VALU_DEP_2)
	v_cmp_ne_u32_e64 s13, 0x7f800000, v13
	v_mov_b32_e32 v13, 0x80
	s_and_saveexec_b32 s3, s13
	s_cbranch_execz .LBB2_927
; %bb.920:                              ;   in Loop: Header=BB2_783 Depth=4
	v_mov_b32_e32 v13, 0
	s_mov_b32 s24, exec_lo
	v_cmpx_ne_u32_e32 0, v151
	s_cbranch_execz .LBB2_926
; %bb.921:                              ;   in Loop: Header=BB2_783 Depth=4
	v_bfe_u32 v13, v151, 23, 8
	v_and_b32_e32 v160, 0x7fffff, v151
	s_delay_alu instid0(VALU_DEP_2) | instskip(SKIP_1) | instid1(VALU_DEP_3)
	v_sub_nc_u32_e32 v161, 0x78, v13
	v_cmp_gt_u32_e64 s13, 0x79, v13
	v_or_b32_e32 v162, 0x800000, v160
	s_delay_alu instid0(VALU_DEP_2) | instskip(SKIP_2) | instid1(VALU_DEP_2)
	v_cndmask_b32_e64 v161, 0, v161, s13
	v_cmp_eq_u32_e64 s13, 0, v13
	v_add_nc_u32_e32 v13, 0xffffff89, v13
	v_cndmask_b32_e64 v161, v161, 0x77, s13
	v_cndmask_b32_e64 v160, v162, v160, s13
	s_delay_alu instid0(VALU_DEP_3) | instskip(NEXT) | instid1(VALU_DEP_3)
	v_cndmask_b32_e64 v13, v13, 0xffffff8a, s13
	v_lshl_add_u32 v162, 0x100000, v161, -1
	s_delay_alu instid0(VALU_DEP_3) | instskip(SKIP_1) | instid1(VALU_DEP_4)
	v_lshrrev_b32_e32 v163, v161, v160
	v_lshlrev_b32_e64 v165, v161, 0x80000
	v_add_nc_u32_e32 v161, v161, v13
	s_delay_alu instid0(VALU_DEP_4) | instskip(NEXT) | instid1(VALU_DEP_4)
	v_and_b32_e32 v160, v162, v160
	v_bfe_u32 v164, v163, 20, 1
	s_delay_alu instid0(VALU_DEP_2) | instskip(NEXT) | instid1(VALU_DEP_2)
	v_cmp_eq_u32_e64 s14, v160, v165
	v_add_nc_u32_e32 v162, -1, v164
	s_delay_alu instid0(VALU_DEP_1) | instskip(SKIP_2) | instid1(VALU_DEP_2)
	v_cndmask_b32_e64 v160, 0, v162, s14
	v_lshrrev_b32_e32 v162, 23, v163
	s_mov_b32 s14, exec_lo
	v_add_nc_u32_e32 v160, v160, v163
	s_delay_alu instid0(VALU_DEP_2) | instskip(NEXT) | instid1(VALU_DEP_2)
	v_xor_b32_e32 v162, 1, v162
	v_and_b32_e32 v13, 0xfffff, v160
	s_delay_alu instid0(VALU_DEP_1) | instskip(NEXT) | instid1(VALU_DEP_3)
	v_add_nc_u32_e32 v160, v13, v163
                                        ; implicit-def: $vgpr13
	v_cmpx_ne_u32_e64 v161, v162
	s_xor_b32 s14, exec_lo, s14
; %bb.922:                              ;   in Loop: Header=BB2_783 Depth=4
	s_delay_alu instid0(VALU_DEP_2) | instskip(SKIP_1) | instid1(VALU_DEP_2)
	v_cmp_lt_u32_e64 s13, 0xffffff, v160
	v_sub_nc_u32_e32 v13, v161, v162
	v_cndmask_b32_e64 v161, 0, 1, s13
	s_delay_alu instid0(VALU_DEP_2) | instskip(NEXT) | instid1(VALU_DEP_2)
	v_add_co_ci_u32_e64 v13, s13, 0, v13, s13
	v_lshrrev_b32_e32 v160, v161, v160
; %bb.923:                              ;   in Loop: Header=BB2_783 Depth=4
	s_and_not1_saveexec_b32 s13, s14
; %bb.924:                              ;   in Loop: Header=BB2_783 Depth=4
	s_delay_alu instid0(VALU_DEP_1)
	v_bfe_u32 v13, v160, 23, 1
; %bb.925:                              ;   in Loop: Header=BB2_783 Depth=4
	s_or_b32 exec_lo, exec_lo, s13
	v_lshrrev_b32_e32 v160, 20, v160
	s_delay_alu instid0(VALU_DEP_2) | instskip(SKIP_2) | instid1(VALU_DEP_3)
	v_cmp_gt_i32_e64 s13, 16, v13
	v_lshrrev_b32_e32 v151, 24, v151
	v_min_i32_e32 v161, 15, v13
	v_cndmask_b32_e64 v160, 7, v160, s13
	s_delay_alu instid0(VALU_DEP_3) | instskip(NEXT) | instid1(VALU_DEP_3)
	v_and_b32_e32 v151, 0x80, v151
	v_lshlrev_b32_e32 v161, 3, v161
	s_delay_alu instid0(VALU_DEP_3) | instskip(SKIP_1) | instid1(VALU_DEP_2)
	v_and_b32_e32 v162, 7, v160
	v_or_b32_e32 v13, v13, v160
	v_or3_b32 v151, v161, v151, v162
	s_delay_alu instid0(VALU_DEP_2) | instskip(NEXT) | instid1(VALU_DEP_1)
	v_cmp_ne_u32_e64 s13, 0, v13
	v_cndmask_b32_e64 v13, 0, v151, s13
.LBB2_926:                              ;   in Loop: Header=BB2_783 Depth=4
	s_or_b32 exec_lo, exec_lo, s24
.LBB2_927:                              ;   in Loop: Header=BB2_783 Depth=4
	s_delay_alu instid0(SALU_CYCLE_1) | instskip(SKIP_3) | instid1(VALU_DEP_1)
	s_or_b32 exec_lo, exec_lo, s3
	v_lshrrev_b16 v160, 8, v14
	s_mov_b32 s3, 0
	s_mov_b32 s24, exec_lo
                                        ; implicit-def: $sgpr14
	v_cmpx_lt_i16_e64 0x7f, v160
	s_xor_b32 s24, exec_lo, s24
	s_cbranch_execnz .LBB2_1109
; %bb.928:                              ;   in Loop: Header=BB2_783 Depth=4
	s_or_saveexec_b32 s24, s24
	v_mov_b32_e32 v151, s14
	s_xor_b32 exec_lo, exec_lo, s24
	s_cbranch_execnz .LBB2_1112
.LBB2_929:                              ;   in Loop: Header=BB2_783 Depth=4
	s_or_b32 exec_lo, exec_lo, s24
	s_and_saveexec_b32 s14, s3
	s_cbranch_execz .LBB2_931
.LBB2_930:                              ;   in Loop: Header=BB2_783 Depth=4
	v_and_b32_e32 v151, 0xffff, v160
	v_lshlrev_b32_e32 v160, 24, v160
	s_delay_alu instid0(VALU_DEP_2) | instskip(NEXT) | instid1(VALU_DEP_2)
	v_and_b32_e32 v161, 7, v151
	v_and_b32_e32 v160, 0x80000000, v160
	s_delay_alu instid0(VALU_DEP_2) | instskip(NEXT) | instid1(VALU_DEP_1)
	v_clz_i32_u32_e32 v162, v161
	v_min_u32_e32 v162, 32, v162
	s_delay_alu instid0(VALU_DEP_1) | instskip(SKIP_1) | instid1(VALU_DEP_2)
	v_subrev_nc_u32_e32 v163, 28, v162
	v_sub_nc_u32_e32 v162, 29, v162
	v_lshlrev_b32_e32 v163, v163, v151
	v_bfe_u32 v151, v151, 3, 4
	s_delay_alu instid0(VALU_DEP_2) | instskip(NEXT) | instid1(VALU_DEP_2)
	v_and_b32_e32 v163, 7, v163
	v_cmp_eq_u32_e64 s13, 0, v151
	s_delay_alu instid0(VALU_DEP_1) | instskip(NEXT) | instid1(VALU_DEP_3)
	v_cndmask_b32_e64 v151, v151, v162, s13
	v_cndmask_b32_e64 v161, v161, v163, s13
	s_delay_alu instid0(VALU_DEP_2) | instskip(NEXT) | instid1(VALU_DEP_2)
	v_lshl_add_u32 v151, v151, 23, 0x3b800000
	v_lshlrev_b32_e32 v161, 20, v161
	s_delay_alu instid0(VALU_DEP_1)
	v_or3_b32 v151, v160, v151, v161
.LBB2_931:                              ;   in Loop: Header=BB2_783 Depth=4
	s_or_b32 exec_lo, exec_lo, s14
	v_lshrrev_b16 v160, 8, v10
	s_mov_b32 s3, 0
	s_mov_b32 s24, exec_lo
                                        ; implicit-def: $sgpr14
	s_delay_alu instid0(VALU_DEP_1)
	v_cmpx_lt_i16_e64 0x7f, v160
	s_xor_b32 s24, exec_lo, s24
	s_cbranch_execnz .LBB2_1113
; %bb.932:                              ;   in Loop: Header=BB2_783 Depth=4
	s_or_saveexec_b32 s24, s24
	v_mov_b32_e32 v161, s14
	s_xor_b32 exec_lo, exec_lo, s24
	s_cbranch_execnz .LBB2_1116
.LBB2_933:                              ;   in Loop: Header=BB2_783 Depth=4
	s_or_b32 exec_lo, exec_lo, s24
	s_and_saveexec_b32 s14, s3
	s_cbranch_execz .LBB2_935
.LBB2_934:                              ;   in Loop: Header=BB2_783 Depth=4
	v_and_b32_e32 v161, 0xffff, v160
	v_lshlrev_b32_e32 v160, 24, v160
	s_delay_alu instid0(VALU_DEP_2) | instskip(NEXT) | instid1(VALU_DEP_2)
	v_and_b32_e32 v162, 7, v161
	v_and_b32_e32 v160, 0x80000000, v160
	s_delay_alu instid0(VALU_DEP_2) | instskip(NEXT) | instid1(VALU_DEP_1)
	v_clz_i32_u32_e32 v163, v162
	v_min_u32_e32 v163, 32, v163
	s_delay_alu instid0(VALU_DEP_1) | instskip(SKIP_1) | instid1(VALU_DEP_2)
	v_subrev_nc_u32_e32 v164, 28, v163
	v_sub_nc_u32_e32 v163, 29, v163
	v_lshlrev_b32_e32 v164, v164, v161
	v_bfe_u32 v161, v161, 3, 4
	s_delay_alu instid0(VALU_DEP_2) | instskip(NEXT) | instid1(VALU_DEP_2)
	v_and_b32_e32 v164, 7, v164
	v_cmp_eq_u32_e64 s13, 0, v161
	s_delay_alu instid0(VALU_DEP_1) | instskip(NEXT) | instid1(VALU_DEP_3)
	v_cndmask_b32_e64 v161, v161, v163, s13
	v_cndmask_b32_e64 v162, v162, v164, s13
	s_delay_alu instid0(VALU_DEP_2) | instskip(NEXT) | instid1(VALU_DEP_2)
	v_lshl_add_u32 v161, v161, 23, 0x3b800000
	v_lshlrev_b32_e32 v162, 20, v162
	s_delay_alu instid0(VALU_DEP_1)
	v_or3_b32 v161, v160, v161, v162
.LBB2_935:                              ;   in Loop: Header=BB2_783 Depth=4
	s_or_b32 exec_lo, exec_lo, s14
	s_delay_alu instid0(VALU_DEP_1) | instskip(NEXT) | instid1(VALU_DEP_1)
	v_add_f32_e32 v160, v151, v161
	v_and_b32_e32 v151, 0x7f800000, v160
	s_delay_alu instid0(VALU_DEP_1) | instskip(SKIP_1) | instid1(VALU_DEP_2)
	v_cmp_ne_u32_e64 s13, 0x7f800000, v151
	v_mov_b32_e32 v151, 0x80
	s_and_saveexec_b32 s3, s13
	s_cbranch_execz .LBB2_943
; %bb.936:                              ;   in Loop: Header=BB2_783 Depth=4
	v_mov_b32_e32 v151, 0
	s_mov_b32 s24, exec_lo
	v_cmpx_ne_u32_e32 0, v160
	s_cbranch_execz .LBB2_942
; %bb.937:                              ;   in Loop: Header=BB2_783 Depth=4
	v_bfe_u32 v151, v160, 23, 8
	v_and_b32_e32 v161, 0x7fffff, v160
	s_delay_alu instid0(VALU_DEP_2) | instskip(SKIP_1) | instid1(VALU_DEP_3)
	v_sub_nc_u32_e32 v162, 0x78, v151
	v_cmp_gt_u32_e64 s13, 0x79, v151
	v_or_b32_e32 v163, 0x800000, v161
	s_delay_alu instid0(VALU_DEP_2) | instskip(SKIP_2) | instid1(VALU_DEP_2)
	v_cndmask_b32_e64 v162, 0, v162, s13
	v_cmp_eq_u32_e64 s13, 0, v151
	v_add_nc_u32_e32 v151, 0xffffff89, v151
	v_cndmask_b32_e64 v162, v162, 0x77, s13
	v_cndmask_b32_e64 v161, v163, v161, s13
	s_delay_alu instid0(VALU_DEP_3) | instskip(NEXT) | instid1(VALU_DEP_3)
	v_cndmask_b32_e64 v151, v151, 0xffffff8a, s13
	v_lshl_add_u32 v163, 0x100000, v162, -1
	s_delay_alu instid0(VALU_DEP_3) | instskip(SKIP_1) | instid1(VALU_DEP_4)
	v_lshrrev_b32_e32 v164, v162, v161
	v_lshlrev_b32_e64 v166, v162, 0x80000
	v_add_nc_u32_e32 v162, v162, v151
	s_delay_alu instid0(VALU_DEP_4) | instskip(NEXT) | instid1(VALU_DEP_4)
	v_and_b32_e32 v161, v163, v161
	v_bfe_u32 v165, v164, 20, 1
	s_delay_alu instid0(VALU_DEP_2) | instskip(NEXT) | instid1(VALU_DEP_2)
	v_cmp_eq_u32_e64 s14, v161, v166
	v_add_nc_u32_e32 v163, -1, v165
	s_delay_alu instid0(VALU_DEP_1) | instskip(SKIP_2) | instid1(VALU_DEP_2)
	v_cndmask_b32_e64 v161, 0, v163, s14
	v_lshrrev_b32_e32 v163, 23, v164
	s_mov_b32 s14, exec_lo
	v_add_nc_u32_e32 v161, v161, v164
	s_delay_alu instid0(VALU_DEP_2) | instskip(NEXT) | instid1(VALU_DEP_2)
	v_xor_b32_e32 v163, 1, v163
	v_and_b32_e32 v151, 0xfffff, v161
	s_delay_alu instid0(VALU_DEP_1) | instskip(NEXT) | instid1(VALU_DEP_3)
	v_add_nc_u32_e32 v161, v151, v164
                                        ; implicit-def: $vgpr151
	v_cmpx_ne_u32_e64 v162, v163
	s_xor_b32 s14, exec_lo, s14
; %bb.938:                              ;   in Loop: Header=BB2_783 Depth=4
	s_delay_alu instid0(VALU_DEP_2) | instskip(SKIP_1) | instid1(VALU_DEP_2)
	v_cmp_lt_u32_e64 s13, 0xffffff, v161
	v_sub_nc_u32_e32 v151, v162, v163
	v_cndmask_b32_e64 v162, 0, 1, s13
	s_delay_alu instid0(VALU_DEP_2) | instskip(NEXT) | instid1(VALU_DEP_2)
	v_add_co_ci_u32_e64 v151, s13, 0, v151, s13
	v_lshrrev_b32_e32 v161, v162, v161
; %bb.939:                              ;   in Loop: Header=BB2_783 Depth=4
	s_and_not1_saveexec_b32 s13, s14
; %bb.940:                              ;   in Loop: Header=BB2_783 Depth=4
	s_delay_alu instid0(VALU_DEP_1)
	v_bfe_u32 v151, v161, 23, 1
; %bb.941:                              ;   in Loop: Header=BB2_783 Depth=4
	s_or_b32 exec_lo, exec_lo, s13
	v_lshrrev_b32_e32 v161, 20, v161
	s_delay_alu instid0(VALU_DEP_2) | instskip(SKIP_2) | instid1(VALU_DEP_3)
	v_cmp_gt_i32_e64 s13, 16, v151
	v_lshrrev_b32_e32 v160, 24, v160
	v_min_i32_e32 v162, 15, v151
	v_cndmask_b32_e64 v161, 7, v161, s13
	s_delay_alu instid0(VALU_DEP_3) | instskip(NEXT) | instid1(VALU_DEP_3)
	v_and_b32_e32 v160, 0x80, v160
	v_lshlrev_b32_e32 v162, 3, v162
	s_delay_alu instid0(VALU_DEP_3) | instskip(SKIP_1) | instid1(VALU_DEP_2)
	v_and_b32_e32 v163, 7, v161
	v_or_b32_e32 v151, v151, v161
	v_or3_b32 v160, v162, v160, v163
	s_delay_alu instid0(VALU_DEP_2) | instskip(NEXT) | instid1(VALU_DEP_1)
	v_cmp_ne_u32_e64 s13, 0, v151
	v_cndmask_b32_e64 v151, 0, v160, s13
.LBB2_942:                              ;   in Loop: Header=BB2_783 Depth=4
	s_or_b32 exec_lo, exec_lo, s24
.LBB2_943:                              ;   in Loop: Header=BB2_783 Depth=4
	s_delay_alu instid0(SALU_CYCLE_1) | instskip(SKIP_3) | instid1(VALU_DEP_1)
	s_or_b32 exec_lo, exec_lo, s3
	v_lshrrev_b32_e32 v161, 16, v14
	s_mov_b32 s3, 0
	s_mov_b32 s24, exec_lo
                                        ; implicit-def: $sgpr14
	v_and_b32_e32 v162, 0xff, v161
	s_delay_alu instid0(VALU_DEP_1)
	v_cmpx_lt_i16_e64 0x7f, v162
	s_xor_b32 s24, exec_lo, s24
	s_cbranch_execnz .LBB2_1117
; %bb.944:                              ;   in Loop: Header=BB2_783 Depth=4
	s_or_saveexec_b32 s24, s24
	v_mov_b32_e32 v160, s14
	s_xor_b32 exec_lo, exec_lo, s24
	s_cbranch_execnz .LBB2_1120
.LBB2_945:                              ;   in Loop: Header=BB2_783 Depth=4
	s_or_b32 exec_lo, exec_lo, s24
	s_and_saveexec_b32 s14, s3
	s_cbranch_execz .LBB2_947
.LBB2_946:                              ;   in Loop: Header=BB2_783 Depth=4
	v_bfe_u32 v160, v14, 16, 3
	v_lshlrev_b32_e32 v164, 8, v14
	s_delay_alu instid0(VALU_DEP_2) | instskip(NEXT) | instid1(VALU_DEP_1)
	v_clz_i32_u32_e32 v162, v160
	v_min_u32_e32 v162, 32, v162
	s_delay_alu instid0(VALU_DEP_1) | instskip(SKIP_1) | instid1(VALU_DEP_2)
	v_subrev_nc_u32_e32 v163, 28, v162
	v_sub_nc_u32_e32 v162, 29, v162
	v_lshlrev_b32_e32 v161, v163, v161
	v_bfe_u32 v163, v14, 19, 4
	s_delay_alu instid0(VALU_DEP_2) | instskip(NEXT) | instid1(VALU_DEP_2)
	v_and_b32_e32 v161, 7, v161
	v_cmp_eq_u32_e64 s13, 0, v163
	s_delay_alu instid0(VALU_DEP_1) | instskip(NEXT) | instid1(VALU_DEP_3)
	v_cndmask_b32_e64 v162, v163, v162, s13
	v_cndmask_b32_e64 v160, v160, v161, s13
	v_and_b32_e32 v161, 0x80000000, v164
	s_delay_alu instid0(VALU_DEP_3) | instskip(NEXT) | instid1(VALU_DEP_3)
	v_lshl_add_u32 v162, v162, 23, 0x3b800000
	v_lshlrev_b32_e32 v160, 20, v160
	s_delay_alu instid0(VALU_DEP_1)
	v_or3_b32 v160, v161, v162, v160
.LBB2_947:                              ;   in Loop: Header=BB2_783 Depth=4
	s_or_b32 exec_lo, exec_lo, s14
	v_lshrrev_b32_e32 v161, 16, v10
	s_mov_b32 s3, 0
	s_mov_b32 s24, exec_lo
                                        ; implicit-def: $sgpr14
	s_delay_alu instid0(VALU_DEP_1) | instskip(NEXT) | instid1(VALU_DEP_1)
	v_and_b32_e32 v163, 0xff, v161
	v_cmpx_lt_i16_e64 0x7f, v163
	s_xor_b32 s24, exec_lo, s24
	s_cbranch_execnz .LBB2_1121
; %bb.948:                              ;   in Loop: Header=BB2_783 Depth=4
	s_or_saveexec_b32 s24, s24
	v_mov_b32_e32 v162, s14
	s_xor_b32 exec_lo, exec_lo, s24
	s_cbranch_execnz .LBB2_1124
.LBB2_949:                              ;   in Loop: Header=BB2_783 Depth=4
	s_or_b32 exec_lo, exec_lo, s24
	s_and_saveexec_b32 s14, s3
	s_cbranch_execz .LBB2_951
.LBB2_950:                              ;   in Loop: Header=BB2_783 Depth=4
	v_bfe_u32 v162, v10, 16, 3
	v_lshlrev_b32_e32 v165, 8, v10
	s_delay_alu instid0(VALU_DEP_2) | instskip(NEXT) | instid1(VALU_DEP_1)
	v_clz_i32_u32_e32 v163, v162
	v_min_u32_e32 v163, 32, v163
	s_delay_alu instid0(VALU_DEP_1) | instskip(SKIP_1) | instid1(VALU_DEP_2)
	v_subrev_nc_u32_e32 v164, 28, v163
	v_sub_nc_u32_e32 v163, 29, v163
	v_lshlrev_b32_e32 v161, v164, v161
	v_bfe_u32 v164, v10, 19, 4
	s_delay_alu instid0(VALU_DEP_2) | instskip(NEXT) | instid1(VALU_DEP_2)
	v_and_b32_e32 v161, 7, v161
	v_cmp_eq_u32_e64 s13, 0, v164
	s_delay_alu instid0(VALU_DEP_1) | instskip(NEXT) | instid1(VALU_DEP_3)
	v_cndmask_b32_e64 v163, v164, v163, s13
	v_cndmask_b32_e64 v161, v162, v161, s13
	v_and_b32_e32 v162, 0x80000000, v165
	s_delay_alu instid0(VALU_DEP_3) | instskip(NEXT) | instid1(VALU_DEP_3)
	v_lshl_add_u32 v163, v163, 23, 0x3b800000
	v_lshlrev_b32_e32 v161, 20, v161
	s_delay_alu instid0(VALU_DEP_1)
	v_or3_b32 v162, v162, v163, v161
.LBB2_951:                              ;   in Loop: Header=BB2_783 Depth=4
	s_or_b32 exec_lo, exec_lo, s14
	s_delay_alu instid0(VALU_DEP_1) | instskip(NEXT) | instid1(VALU_DEP_1)
	v_add_f32_e32 v161, v160, v162
	v_and_b32_e32 v160, 0x7f800000, v161
	s_delay_alu instid0(VALU_DEP_1) | instskip(SKIP_1) | instid1(VALU_DEP_2)
	v_cmp_ne_u32_e64 s13, 0x7f800000, v160
	v_mov_b32_e32 v160, 0x80
	s_and_saveexec_b32 s3, s13
	s_cbranch_execz .LBB2_959
; %bb.952:                              ;   in Loop: Header=BB2_783 Depth=4
	v_mov_b32_e32 v160, 0
	s_mov_b32 s24, exec_lo
	v_cmpx_ne_u32_e32 0, v161
	s_cbranch_execz .LBB2_958
; %bb.953:                              ;   in Loop: Header=BB2_783 Depth=4
	v_bfe_u32 v160, v161, 23, 8
	v_and_b32_e32 v162, 0x7fffff, v161
	s_delay_alu instid0(VALU_DEP_2) | instskip(SKIP_1) | instid1(VALU_DEP_3)
	v_sub_nc_u32_e32 v163, 0x78, v160
	v_cmp_gt_u32_e64 s13, 0x79, v160
	v_or_b32_e32 v164, 0x800000, v162
	s_delay_alu instid0(VALU_DEP_2) | instskip(SKIP_2) | instid1(VALU_DEP_2)
	v_cndmask_b32_e64 v163, 0, v163, s13
	v_cmp_eq_u32_e64 s13, 0, v160
	v_add_nc_u32_e32 v160, 0xffffff89, v160
	v_cndmask_b32_e64 v163, v163, 0x77, s13
	v_cndmask_b32_e64 v162, v164, v162, s13
	s_delay_alu instid0(VALU_DEP_3) | instskip(NEXT) | instid1(VALU_DEP_3)
	v_cndmask_b32_e64 v160, v160, 0xffffff8a, s13
	v_lshl_add_u32 v164, 0x100000, v163, -1
	s_delay_alu instid0(VALU_DEP_3) | instskip(SKIP_1) | instid1(VALU_DEP_4)
	v_lshrrev_b32_e32 v165, v163, v162
	v_lshlrev_b32_e64 v167, v163, 0x80000
	v_add_nc_u32_e32 v163, v163, v160
	s_delay_alu instid0(VALU_DEP_4) | instskip(NEXT) | instid1(VALU_DEP_4)
	v_and_b32_e32 v162, v164, v162
	v_bfe_u32 v166, v165, 20, 1
	s_delay_alu instid0(VALU_DEP_2) | instskip(NEXT) | instid1(VALU_DEP_2)
	v_cmp_eq_u32_e64 s14, v162, v167
	v_add_nc_u32_e32 v164, -1, v166
	s_delay_alu instid0(VALU_DEP_1) | instskip(SKIP_2) | instid1(VALU_DEP_2)
	v_cndmask_b32_e64 v162, 0, v164, s14
	v_lshrrev_b32_e32 v164, 23, v165
	s_mov_b32 s14, exec_lo
	v_add_nc_u32_e32 v162, v162, v165
	s_delay_alu instid0(VALU_DEP_2) | instskip(NEXT) | instid1(VALU_DEP_2)
	v_xor_b32_e32 v164, 1, v164
	v_and_b32_e32 v160, 0xfffff, v162
	s_delay_alu instid0(VALU_DEP_1) | instskip(NEXT) | instid1(VALU_DEP_3)
	v_add_nc_u32_e32 v162, v160, v165
                                        ; implicit-def: $vgpr160
	v_cmpx_ne_u32_e64 v163, v164
	s_xor_b32 s14, exec_lo, s14
; %bb.954:                              ;   in Loop: Header=BB2_783 Depth=4
	s_delay_alu instid0(VALU_DEP_2) | instskip(SKIP_1) | instid1(VALU_DEP_2)
	v_cmp_lt_u32_e64 s13, 0xffffff, v162
	v_sub_nc_u32_e32 v160, v163, v164
	v_cndmask_b32_e64 v163, 0, 1, s13
	s_delay_alu instid0(VALU_DEP_2) | instskip(NEXT) | instid1(VALU_DEP_2)
	v_add_co_ci_u32_e64 v160, s13, 0, v160, s13
	v_lshrrev_b32_e32 v162, v163, v162
; %bb.955:                              ;   in Loop: Header=BB2_783 Depth=4
	s_and_not1_saveexec_b32 s13, s14
; %bb.956:                              ;   in Loop: Header=BB2_783 Depth=4
	s_delay_alu instid0(VALU_DEP_1)
	v_bfe_u32 v160, v162, 23, 1
; %bb.957:                              ;   in Loop: Header=BB2_783 Depth=4
	s_or_b32 exec_lo, exec_lo, s13
	v_lshrrev_b32_e32 v162, 20, v162
	s_delay_alu instid0(VALU_DEP_2) | instskip(SKIP_2) | instid1(VALU_DEP_3)
	v_cmp_gt_i32_e64 s13, 16, v160
	v_lshrrev_b32_e32 v161, 24, v161
	v_min_i32_e32 v163, 15, v160
	v_cndmask_b32_e64 v162, 7, v162, s13
	s_delay_alu instid0(VALU_DEP_3) | instskip(NEXT) | instid1(VALU_DEP_3)
	v_and_b32_e32 v161, 0x80, v161
	v_lshlrev_b32_e32 v163, 3, v163
	s_delay_alu instid0(VALU_DEP_3) | instskip(SKIP_1) | instid1(VALU_DEP_2)
	v_and_b32_e32 v164, 7, v162
	v_or_b32_e32 v160, v160, v162
	v_or3_b32 v161, v163, v161, v164
	s_delay_alu instid0(VALU_DEP_2) | instskip(NEXT) | instid1(VALU_DEP_1)
	v_cmp_ne_u32_e64 s13, 0, v160
	v_cndmask_b32_e64 v160, 0, v161, s13
.LBB2_958:                              ;   in Loop: Header=BB2_783 Depth=4
	s_or_b32 exec_lo, exec_lo, s24
.LBB2_959:                              ;   in Loop: Header=BB2_783 Depth=4
	s_delay_alu instid0(SALU_CYCLE_1) | instskip(SKIP_3) | instid1(VALU_DEP_1)
	s_or_b32 exec_lo, exec_lo, s3
	v_lshrrev_b32_e32 v162, 24, v14
	s_mov_b32 s3, 0
	s_mov_b32 s24, exec_lo
                                        ; implicit-def: $sgpr14
	v_cmpx_lt_i16_e64 0x7f, v162
	s_xor_b32 s24, exec_lo, s24
	s_cbranch_execnz .LBB2_1125
; %bb.960:                              ;   in Loop: Header=BB2_783 Depth=4
	s_or_saveexec_b32 s24, s24
	v_mov_b32_e32 v161, s14
	s_xor_b32 exec_lo, exec_lo, s24
	s_cbranch_execnz .LBB2_1128
.LBB2_961:                              ;   in Loop: Header=BB2_783 Depth=4
	s_or_b32 exec_lo, exec_lo, s24
	s_and_saveexec_b32 s14, s3
	s_cbranch_execz .LBB2_963
.LBB2_962:                              ;   in Loop: Header=BB2_783 Depth=4
	v_bfe_u32 v161, v14, 24, 3
	s_delay_alu instid0(VALU_DEP_1) | instskip(NEXT) | instid1(VALU_DEP_1)
	v_clz_i32_u32_e32 v163, v161
	v_min_u32_e32 v163, 32, v163
	s_delay_alu instid0(VALU_DEP_1) | instskip(SKIP_1) | instid1(VALU_DEP_2)
	v_subrev_nc_u32_e32 v164, 28, v163
	v_sub_nc_u32_e32 v163, 29, v163
	v_lshlrev_b32_e32 v162, v164, v162
	v_bfe_u32 v164, v14, 27, 4
	v_and_b32_e32 v14, 0x80000000, v14
	s_delay_alu instid0(VALU_DEP_3) | instskip(NEXT) | instid1(VALU_DEP_3)
	v_and_b32_e32 v162, 7, v162
	v_cmp_eq_u32_e64 s13, 0, v164
	s_delay_alu instid0(VALU_DEP_1) | instskip(NEXT) | instid1(VALU_DEP_3)
	v_cndmask_b32_e64 v163, v164, v163, s13
	v_cndmask_b32_e64 v161, v161, v162, s13
	s_delay_alu instid0(VALU_DEP_2) | instskip(NEXT) | instid1(VALU_DEP_2)
	v_lshl_add_u32 v162, v163, 23, 0x3b800000
	v_lshlrev_b32_e32 v161, 20, v161
	s_delay_alu instid0(VALU_DEP_1)
	v_or3_b32 v161, v14, v162, v161
.LBB2_963:                              ;   in Loop: Header=BB2_783 Depth=4
	s_or_b32 exec_lo, exec_lo, s14
	v_lshrrev_b32_e32 v14, 24, v10
	s_mov_b32 s3, 0
	s_mov_b32 s24, exec_lo
                                        ; implicit-def: $sgpr14
	s_delay_alu instid0(VALU_DEP_1)
	v_cmpx_lt_i16_e32 0x7f, v14
	s_xor_b32 s24, exec_lo, s24
	s_cbranch_execnz .LBB2_1129
; %bb.964:                              ;   in Loop: Header=BB2_783 Depth=4
	s_or_saveexec_b32 s24, s24
	v_mov_b32_e32 v162, s14
	s_xor_b32 exec_lo, exec_lo, s24
	s_cbranch_execnz .LBB2_1132
.LBB2_965:                              ;   in Loop: Header=BB2_783 Depth=4
	s_or_b32 exec_lo, exec_lo, s24
	s_and_saveexec_b32 s14, s3
	s_cbranch_execz .LBB2_967
.LBB2_966:                              ;   in Loop: Header=BB2_783 Depth=4
	v_bfe_u32 v162, v10, 24, 3
	s_delay_alu instid0(VALU_DEP_1) | instskip(NEXT) | instid1(VALU_DEP_1)
	v_clz_i32_u32_e32 v163, v162
	v_min_u32_e32 v163, 32, v163
	s_delay_alu instid0(VALU_DEP_1) | instskip(SKIP_1) | instid1(VALU_DEP_2)
	v_subrev_nc_u32_e32 v164, 28, v163
	v_sub_nc_u32_e32 v163, 29, v163
	v_lshlrev_b32_e32 v14, v164, v14
	v_bfe_u32 v164, v10, 27, 4
	v_and_b32_e32 v10, 0x80000000, v10
	s_delay_alu instid0(VALU_DEP_3) | instskip(NEXT) | instid1(VALU_DEP_3)
	v_and_b32_e32 v14, 7, v14
	v_cmp_eq_u32_e64 s13, 0, v164
	s_delay_alu instid0(VALU_DEP_1) | instskip(NEXT) | instid1(VALU_DEP_3)
	v_cndmask_b32_e64 v163, v164, v163, s13
	v_cndmask_b32_e64 v14, v162, v14, s13
	s_delay_alu instid0(VALU_DEP_2) | instskip(NEXT) | instid1(VALU_DEP_2)
	v_lshl_add_u32 v162, v163, 23, 0x3b800000
	v_lshlrev_b32_e32 v14, 20, v14
	s_delay_alu instid0(VALU_DEP_1)
	v_or3_b32 v162, v10, v162, v14
.LBB2_967:                              ;   in Loop: Header=BB2_783 Depth=4
	s_or_b32 exec_lo, exec_lo, s14
	s_delay_alu instid0(VALU_DEP_1) | instskip(NEXT) | instid1(VALU_DEP_1)
	v_add_f32_e32 v14, v161, v162
	v_and_b32_e32 v10, 0x7f800000, v14
	s_delay_alu instid0(VALU_DEP_1) | instskip(SKIP_1) | instid1(VALU_DEP_2)
	v_cmp_ne_u32_e64 s13, 0x7f800000, v10
	v_mov_b32_e32 v10, 0x80
	s_and_saveexec_b32 s3, s13
	s_cbranch_execz .LBB2_975
; %bb.968:                              ;   in Loop: Header=BB2_783 Depth=4
	v_mov_b32_e32 v10, 0
	s_mov_b32 s24, exec_lo
	v_cmpx_ne_u32_e32 0, v14
	s_cbranch_execz .LBB2_974
; %bb.969:                              ;   in Loop: Header=BB2_783 Depth=4
	v_bfe_u32 v10, v14, 23, 8
	v_and_b32_e32 v161, 0x7fffff, v14
	s_delay_alu instid0(VALU_DEP_2) | instskip(SKIP_1) | instid1(VALU_DEP_3)
	v_sub_nc_u32_e32 v162, 0x78, v10
	v_cmp_gt_u32_e64 s13, 0x79, v10
	v_or_b32_e32 v163, 0x800000, v161
	s_delay_alu instid0(VALU_DEP_2) | instskip(SKIP_2) | instid1(VALU_DEP_2)
	v_cndmask_b32_e64 v162, 0, v162, s13
	v_cmp_eq_u32_e64 s13, 0, v10
	v_add_nc_u32_e32 v10, 0xffffff89, v10
	v_cndmask_b32_e64 v162, v162, 0x77, s13
	v_cndmask_b32_e64 v161, v163, v161, s13
	s_delay_alu instid0(VALU_DEP_3) | instskip(NEXT) | instid1(VALU_DEP_3)
	v_cndmask_b32_e64 v10, v10, 0xffffff8a, s13
	v_lshl_add_u32 v163, 0x100000, v162, -1
	s_delay_alu instid0(VALU_DEP_3) | instskip(SKIP_1) | instid1(VALU_DEP_4)
	v_lshrrev_b32_e32 v164, v162, v161
	v_lshlrev_b32_e64 v166, v162, 0x80000
	v_add_nc_u32_e32 v162, v162, v10
	s_delay_alu instid0(VALU_DEP_4) | instskip(NEXT) | instid1(VALU_DEP_4)
	v_and_b32_e32 v161, v163, v161
	v_bfe_u32 v165, v164, 20, 1
	s_delay_alu instid0(VALU_DEP_2) | instskip(NEXT) | instid1(VALU_DEP_2)
	v_cmp_eq_u32_e64 s14, v161, v166
	v_add_nc_u32_e32 v163, -1, v165
	s_delay_alu instid0(VALU_DEP_1) | instskip(SKIP_2) | instid1(VALU_DEP_2)
	v_cndmask_b32_e64 v161, 0, v163, s14
	v_lshrrev_b32_e32 v163, 23, v164
	s_mov_b32 s14, exec_lo
	v_add_nc_u32_e32 v161, v161, v164
	s_delay_alu instid0(VALU_DEP_2) | instskip(NEXT) | instid1(VALU_DEP_2)
	v_xor_b32_e32 v163, 1, v163
	v_and_b32_e32 v10, 0xfffff, v161
	s_delay_alu instid0(VALU_DEP_1) | instskip(NEXT) | instid1(VALU_DEP_3)
	v_add_nc_u32_e32 v161, v10, v164
                                        ; implicit-def: $vgpr10
	v_cmpx_ne_u32_e64 v162, v163
	s_xor_b32 s14, exec_lo, s14
; %bb.970:                              ;   in Loop: Header=BB2_783 Depth=4
	s_delay_alu instid0(VALU_DEP_2) | instskip(SKIP_1) | instid1(VALU_DEP_2)
	v_cmp_lt_u32_e64 s13, 0xffffff, v161
	v_sub_nc_u32_e32 v10, v162, v163
	v_cndmask_b32_e64 v162, 0, 1, s13
	s_delay_alu instid0(VALU_DEP_2) | instskip(NEXT) | instid1(VALU_DEP_2)
	v_add_co_ci_u32_e64 v10, s13, 0, v10, s13
	v_lshrrev_b32_e32 v161, v162, v161
; %bb.971:                              ;   in Loop: Header=BB2_783 Depth=4
	s_and_not1_saveexec_b32 s13, s14
; %bb.972:                              ;   in Loop: Header=BB2_783 Depth=4
	s_delay_alu instid0(VALU_DEP_1)
	v_bfe_u32 v10, v161, 23, 1
; %bb.973:                              ;   in Loop: Header=BB2_783 Depth=4
	s_or_b32 exec_lo, exec_lo, s13
	v_lshrrev_b32_e32 v161, 20, v161
	s_delay_alu instid0(VALU_DEP_2) | instskip(SKIP_2) | instid1(VALU_DEP_3)
	v_cmp_gt_i32_e64 s13, 16, v10
	v_lshrrev_b32_e32 v14, 24, v14
	v_min_i32_e32 v162, 15, v10
	v_cndmask_b32_e64 v161, 7, v161, s13
	s_delay_alu instid0(VALU_DEP_3) | instskip(NEXT) | instid1(VALU_DEP_3)
	v_and_b32_e32 v14, 0x80, v14
	v_lshlrev_b32_e32 v162, 3, v162
	s_delay_alu instid0(VALU_DEP_3) | instskip(SKIP_1) | instid1(VALU_DEP_2)
	v_and_b32_e32 v163, 7, v161
	v_or_b32_e32 v10, v10, v161
	v_or3_b32 v14, v162, v14, v163
	s_delay_alu instid0(VALU_DEP_2) | instskip(NEXT) | instid1(VALU_DEP_1)
	v_cmp_ne_u32_e64 s13, 0, v10
	v_cndmask_b32_e64 v10, 0, v14, s13
.LBB2_974:                              ;   in Loop: Header=BB2_783 Depth=4
	s_or_b32 exec_lo, exec_lo, s24
.LBB2_975:                              ;   in Loop: Header=BB2_783 Depth=4
	s_delay_alu instid0(SALU_CYCLE_1) | instskip(SKIP_3) | instid1(VALU_DEP_1)
	s_or_b32 exec_lo, exec_lo, s3
	v_and_b32_e32 v161, 0xff, v15
	s_mov_b32 s3, 0
	s_mov_b32 s24, exec_lo
                                        ; implicit-def: $sgpr14
	v_cmpx_lt_i16_e64 0x7f, v161
	s_xor_b32 s24, exec_lo, s24
	s_cbranch_execnz .LBB2_1133
; %bb.976:                              ;   in Loop: Header=BB2_783 Depth=4
	s_or_saveexec_b32 s24, s24
	v_mov_b32_e32 v14, s14
	s_xor_b32 exec_lo, exec_lo, s24
	s_cbranch_execnz .LBB2_1136
.LBB2_977:                              ;   in Loop: Header=BB2_783 Depth=4
	s_or_b32 exec_lo, exec_lo, s24
	s_and_saveexec_b32 s14, s3
	s_cbranch_execz .LBB2_979
.LBB2_978:                              ;   in Loop: Header=BB2_783 Depth=4
	v_and_b32_e32 v14, 7, v15
	v_bfe_u32 v163, v15, 3, 4
	v_lshlrev_b32_e32 v164, 24, v15
	s_delay_alu instid0(VALU_DEP_3) | instskip(NEXT) | instid1(VALU_DEP_3)
	v_clz_i32_u32_e32 v161, v14
	v_cmp_eq_u32_e64 s13, 0, v163
	s_delay_alu instid0(VALU_DEP_2) | instskip(NEXT) | instid1(VALU_DEP_1)
	v_min_u32_e32 v161, 32, v161
	v_subrev_nc_u32_e32 v162, 28, v161
	v_sub_nc_u32_e32 v161, 29, v161
	s_delay_alu instid0(VALU_DEP_2) | instskip(NEXT) | instid1(VALU_DEP_2)
	v_lshlrev_b32_e32 v162, v162, v15
	v_cndmask_b32_e64 v161, v163, v161, s13
	s_delay_alu instid0(VALU_DEP_2) | instskip(NEXT) | instid1(VALU_DEP_2)
	v_and_b32_e32 v162, 7, v162
	v_lshl_add_u32 v161, v161, 23, 0x3b800000
	s_delay_alu instid0(VALU_DEP_2) | instskip(SKIP_1) | instid1(VALU_DEP_2)
	v_cndmask_b32_e64 v14, v14, v162, s13
	v_and_b32_e32 v162, 0x80000000, v164
	v_lshlrev_b32_e32 v14, 20, v14
	s_delay_alu instid0(VALU_DEP_1)
	v_or3_b32 v14, v162, v161, v14
.LBB2_979:                              ;   in Loop: Header=BB2_783 Depth=4
	s_or_b32 exec_lo, exec_lo, s14
	v_and_b32_e32 v162, 0xff, v11
	s_mov_b32 s3, 0
	s_mov_b32 s24, exec_lo
                                        ; implicit-def: $sgpr14
	s_delay_alu instid0(VALU_DEP_1)
	v_cmpx_lt_i16_e64 0x7f, v162
	s_xor_b32 s24, exec_lo, s24
	s_cbranch_execnz .LBB2_1137
; %bb.980:                              ;   in Loop: Header=BB2_783 Depth=4
	s_or_saveexec_b32 s24, s24
	v_mov_b32_e32 v161, s14
	s_xor_b32 exec_lo, exec_lo, s24
	s_cbranch_execnz .LBB2_1140
.LBB2_981:                              ;   in Loop: Header=BB2_783 Depth=4
	s_or_b32 exec_lo, exec_lo, s24
	s_and_saveexec_b32 s14, s3
	s_cbranch_execz .LBB2_983
.LBB2_982:                              ;   in Loop: Header=BB2_783 Depth=4
	v_and_b32_e32 v161, 7, v11
	v_bfe_u32 v164, v11, 3, 4
	v_lshlrev_b32_e32 v165, 24, v11
	s_delay_alu instid0(VALU_DEP_3) | instskip(NEXT) | instid1(VALU_DEP_3)
	v_clz_i32_u32_e32 v162, v161
	v_cmp_eq_u32_e64 s13, 0, v164
	s_delay_alu instid0(VALU_DEP_2) | instskip(NEXT) | instid1(VALU_DEP_1)
	v_min_u32_e32 v162, 32, v162
	v_subrev_nc_u32_e32 v163, 28, v162
	v_sub_nc_u32_e32 v162, 29, v162
	s_delay_alu instid0(VALU_DEP_2) | instskip(NEXT) | instid1(VALU_DEP_2)
	v_lshlrev_b32_e32 v163, v163, v11
	v_cndmask_b32_e64 v162, v164, v162, s13
	s_delay_alu instid0(VALU_DEP_2) | instskip(NEXT) | instid1(VALU_DEP_2)
	v_and_b32_e32 v163, 7, v163
	v_lshl_add_u32 v162, v162, 23, 0x3b800000
	s_delay_alu instid0(VALU_DEP_2) | instskip(SKIP_1) | instid1(VALU_DEP_2)
	v_cndmask_b32_e64 v161, v161, v163, s13
	v_and_b32_e32 v163, 0x80000000, v165
	v_lshlrev_b32_e32 v161, 20, v161
	s_delay_alu instid0(VALU_DEP_1)
	v_or3_b32 v161, v163, v162, v161
.LBB2_983:                              ;   in Loop: Header=BB2_783 Depth=4
	s_or_b32 exec_lo, exec_lo, s14
	s_delay_alu instid0(VALU_DEP_1) | instskip(NEXT) | instid1(VALU_DEP_1)
	v_add_f32_e32 v161, v14, v161
	v_and_b32_e32 v14, 0x7f800000, v161
	s_delay_alu instid0(VALU_DEP_1) | instskip(SKIP_1) | instid1(VALU_DEP_2)
	v_cmp_ne_u32_e64 s13, 0x7f800000, v14
	v_mov_b32_e32 v14, 0x80
	s_and_saveexec_b32 s3, s13
	s_cbranch_execz .LBB2_991
; %bb.984:                              ;   in Loop: Header=BB2_783 Depth=4
	v_mov_b32_e32 v14, 0
	s_mov_b32 s24, exec_lo
	v_cmpx_ne_u32_e32 0, v161
	s_cbranch_execz .LBB2_990
; %bb.985:                              ;   in Loop: Header=BB2_783 Depth=4
	v_bfe_u32 v14, v161, 23, 8
	v_and_b32_e32 v162, 0x7fffff, v161
	s_delay_alu instid0(VALU_DEP_2) | instskip(SKIP_1) | instid1(VALU_DEP_3)
	v_sub_nc_u32_e32 v163, 0x78, v14
	v_cmp_gt_u32_e64 s13, 0x79, v14
	v_or_b32_e32 v164, 0x800000, v162
	s_delay_alu instid0(VALU_DEP_2) | instskip(SKIP_2) | instid1(VALU_DEP_2)
	v_cndmask_b32_e64 v163, 0, v163, s13
	v_cmp_eq_u32_e64 s13, 0, v14
	v_add_nc_u32_e32 v14, 0xffffff89, v14
	v_cndmask_b32_e64 v163, v163, 0x77, s13
	v_cndmask_b32_e64 v162, v164, v162, s13
	s_delay_alu instid0(VALU_DEP_3) | instskip(NEXT) | instid1(VALU_DEP_3)
	v_cndmask_b32_e64 v14, v14, 0xffffff8a, s13
	v_lshl_add_u32 v164, 0x100000, v163, -1
	s_delay_alu instid0(VALU_DEP_3) | instskip(SKIP_1) | instid1(VALU_DEP_4)
	v_lshrrev_b32_e32 v165, v163, v162
	v_lshlrev_b32_e64 v167, v163, 0x80000
	v_add_nc_u32_e32 v163, v163, v14
	s_delay_alu instid0(VALU_DEP_4) | instskip(NEXT) | instid1(VALU_DEP_4)
	v_and_b32_e32 v162, v164, v162
	v_bfe_u32 v166, v165, 20, 1
	s_delay_alu instid0(VALU_DEP_2) | instskip(NEXT) | instid1(VALU_DEP_2)
	v_cmp_eq_u32_e64 s14, v162, v167
	v_add_nc_u32_e32 v164, -1, v166
	s_delay_alu instid0(VALU_DEP_1) | instskip(SKIP_2) | instid1(VALU_DEP_2)
	v_cndmask_b32_e64 v162, 0, v164, s14
	v_lshrrev_b32_e32 v164, 23, v165
	s_mov_b32 s14, exec_lo
	v_add_nc_u32_e32 v162, v162, v165
	s_delay_alu instid0(VALU_DEP_2) | instskip(NEXT) | instid1(VALU_DEP_2)
	v_xor_b32_e32 v164, 1, v164
	v_and_b32_e32 v14, 0xfffff, v162
	s_delay_alu instid0(VALU_DEP_1) | instskip(NEXT) | instid1(VALU_DEP_3)
	v_add_nc_u32_e32 v162, v14, v165
                                        ; implicit-def: $vgpr14
	v_cmpx_ne_u32_e64 v163, v164
	s_xor_b32 s14, exec_lo, s14
; %bb.986:                              ;   in Loop: Header=BB2_783 Depth=4
	s_delay_alu instid0(VALU_DEP_2) | instskip(SKIP_1) | instid1(VALU_DEP_2)
	v_cmp_lt_u32_e64 s13, 0xffffff, v162
	v_sub_nc_u32_e32 v14, v163, v164
	v_cndmask_b32_e64 v163, 0, 1, s13
	s_delay_alu instid0(VALU_DEP_2) | instskip(NEXT) | instid1(VALU_DEP_2)
	v_add_co_ci_u32_e64 v14, s13, 0, v14, s13
	v_lshrrev_b32_e32 v162, v163, v162
; %bb.987:                              ;   in Loop: Header=BB2_783 Depth=4
	s_and_not1_saveexec_b32 s13, s14
; %bb.988:                              ;   in Loop: Header=BB2_783 Depth=4
	s_delay_alu instid0(VALU_DEP_1)
	v_bfe_u32 v14, v162, 23, 1
; %bb.989:                              ;   in Loop: Header=BB2_783 Depth=4
	s_or_b32 exec_lo, exec_lo, s13
	v_lshrrev_b32_e32 v162, 20, v162
	s_delay_alu instid0(VALU_DEP_2) | instskip(SKIP_2) | instid1(VALU_DEP_3)
	v_cmp_gt_i32_e64 s13, 16, v14
	v_lshrrev_b32_e32 v161, 24, v161
	v_min_i32_e32 v163, 15, v14
	v_cndmask_b32_e64 v162, 7, v162, s13
	s_delay_alu instid0(VALU_DEP_3) | instskip(NEXT) | instid1(VALU_DEP_3)
	v_and_b32_e32 v161, 0x80, v161
	v_lshlrev_b32_e32 v163, 3, v163
	s_delay_alu instid0(VALU_DEP_3) | instskip(SKIP_1) | instid1(VALU_DEP_2)
	v_and_b32_e32 v164, 7, v162
	v_or_b32_e32 v14, v14, v162
	v_or3_b32 v161, v163, v161, v164
	s_delay_alu instid0(VALU_DEP_2) | instskip(NEXT) | instid1(VALU_DEP_1)
	v_cmp_ne_u32_e64 s13, 0, v14
	v_cndmask_b32_e64 v14, 0, v161, s13
.LBB2_990:                              ;   in Loop: Header=BB2_783 Depth=4
	s_or_b32 exec_lo, exec_lo, s24
.LBB2_991:                              ;   in Loop: Header=BB2_783 Depth=4
	s_delay_alu instid0(SALU_CYCLE_1) | instskip(SKIP_3) | instid1(VALU_DEP_1)
	s_or_b32 exec_lo, exec_lo, s3
	v_lshrrev_b16 v162, 8, v15
	s_mov_b32 s3, 0
	s_mov_b32 s24, exec_lo
                                        ; implicit-def: $sgpr14
	v_cmpx_lt_i16_e64 0x7f, v162
	s_xor_b32 s24, exec_lo, s24
	s_cbranch_execnz .LBB2_1141
; %bb.992:                              ;   in Loop: Header=BB2_783 Depth=4
	s_or_saveexec_b32 s24, s24
	v_mov_b32_e32 v161, s14
	s_xor_b32 exec_lo, exec_lo, s24
	s_cbranch_execnz .LBB2_1144
.LBB2_993:                              ;   in Loop: Header=BB2_783 Depth=4
	s_or_b32 exec_lo, exec_lo, s24
	s_and_saveexec_b32 s14, s3
	s_cbranch_execz .LBB2_995
.LBB2_994:                              ;   in Loop: Header=BB2_783 Depth=4
	v_and_b32_e32 v161, 0xffff, v162
	v_lshlrev_b32_e32 v162, 24, v162
	s_delay_alu instid0(VALU_DEP_2) | instskip(NEXT) | instid1(VALU_DEP_2)
	v_and_b32_e32 v163, 7, v161
	v_and_b32_e32 v162, 0x80000000, v162
	s_delay_alu instid0(VALU_DEP_2) | instskip(NEXT) | instid1(VALU_DEP_1)
	v_clz_i32_u32_e32 v164, v163
	v_min_u32_e32 v164, 32, v164
	s_delay_alu instid0(VALU_DEP_1) | instskip(SKIP_1) | instid1(VALU_DEP_2)
	v_subrev_nc_u32_e32 v165, 28, v164
	v_sub_nc_u32_e32 v164, 29, v164
	v_lshlrev_b32_e32 v165, v165, v161
	v_bfe_u32 v161, v161, 3, 4
	s_delay_alu instid0(VALU_DEP_2) | instskip(NEXT) | instid1(VALU_DEP_2)
	v_and_b32_e32 v165, 7, v165
	v_cmp_eq_u32_e64 s13, 0, v161
	s_delay_alu instid0(VALU_DEP_1) | instskip(NEXT) | instid1(VALU_DEP_3)
	v_cndmask_b32_e64 v161, v161, v164, s13
	v_cndmask_b32_e64 v163, v163, v165, s13
	s_delay_alu instid0(VALU_DEP_2) | instskip(NEXT) | instid1(VALU_DEP_2)
	v_lshl_add_u32 v161, v161, 23, 0x3b800000
	v_lshlrev_b32_e32 v163, 20, v163
	s_delay_alu instid0(VALU_DEP_1)
	v_or3_b32 v161, v162, v161, v163
.LBB2_995:                              ;   in Loop: Header=BB2_783 Depth=4
	s_or_b32 exec_lo, exec_lo, s14
	v_lshrrev_b16 v162, 8, v11
	s_mov_b32 s3, 0
	s_mov_b32 s24, exec_lo
                                        ; implicit-def: $sgpr14
	s_delay_alu instid0(VALU_DEP_1)
	v_cmpx_lt_i16_e64 0x7f, v162
	s_xor_b32 s24, exec_lo, s24
	s_cbranch_execnz .LBB2_1145
; %bb.996:                              ;   in Loop: Header=BB2_783 Depth=4
	s_or_saveexec_b32 s24, s24
	v_mov_b32_e32 v163, s14
	s_xor_b32 exec_lo, exec_lo, s24
	s_cbranch_execnz .LBB2_1148
.LBB2_997:                              ;   in Loop: Header=BB2_783 Depth=4
	s_or_b32 exec_lo, exec_lo, s24
	s_and_saveexec_b32 s14, s3
	s_cbranch_execz .LBB2_999
.LBB2_998:                              ;   in Loop: Header=BB2_783 Depth=4
	v_and_b32_e32 v163, 0xffff, v162
	v_lshlrev_b32_e32 v162, 24, v162
	s_delay_alu instid0(VALU_DEP_2) | instskip(NEXT) | instid1(VALU_DEP_2)
	v_and_b32_e32 v164, 7, v163
	v_and_b32_e32 v162, 0x80000000, v162
	s_delay_alu instid0(VALU_DEP_2) | instskip(NEXT) | instid1(VALU_DEP_1)
	v_clz_i32_u32_e32 v165, v164
	v_min_u32_e32 v165, 32, v165
	s_delay_alu instid0(VALU_DEP_1) | instskip(SKIP_1) | instid1(VALU_DEP_2)
	v_subrev_nc_u32_e32 v166, 28, v165
	v_sub_nc_u32_e32 v165, 29, v165
	v_lshlrev_b32_e32 v166, v166, v163
	v_bfe_u32 v163, v163, 3, 4
	s_delay_alu instid0(VALU_DEP_2) | instskip(NEXT) | instid1(VALU_DEP_2)
	v_and_b32_e32 v166, 7, v166
	v_cmp_eq_u32_e64 s13, 0, v163
	s_delay_alu instid0(VALU_DEP_1) | instskip(NEXT) | instid1(VALU_DEP_3)
	v_cndmask_b32_e64 v163, v163, v165, s13
	v_cndmask_b32_e64 v164, v164, v166, s13
	s_delay_alu instid0(VALU_DEP_2) | instskip(NEXT) | instid1(VALU_DEP_2)
	v_lshl_add_u32 v163, v163, 23, 0x3b800000
	v_lshlrev_b32_e32 v164, 20, v164
	s_delay_alu instid0(VALU_DEP_1)
	v_or3_b32 v163, v162, v163, v164
.LBB2_999:                              ;   in Loop: Header=BB2_783 Depth=4
	s_or_b32 exec_lo, exec_lo, s14
	s_delay_alu instid0(VALU_DEP_1) | instskip(NEXT) | instid1(VALU_DEP_1)
	v_add_f32_e32 v162, v161, v163
	v_and_b32_e32 v161, 0x7f800000, v162
	s_delay_alu instid0(VALU_DEP_1) | instskip(SKIP_1) | instid1(VALU_DEP_2)
	v_cmp_ne_u32_e64 s13, 0x7f800000, v161
	v_mov_b32_e32 v161, 0x8000
	s_and_saveexec_b32 s3, s13
	s_cbranch_execz .LBB2_1007
; %bb.1000:                             ;   in Loop: Header=BB2_783 Depth=4
	v_mov_b32_e32 v161, 0
	s_mov_b32 s24, exec_lo
	v_cmpx_ne_u32_e32 0, v162
	s_cbranch_execz .LBB2_1006
; %bb.1001:                             ;   in Loop: Header=BB2_783 Depth=4
	v_bfe_u32 v161, v162, 23, 8
	v_and_b32_e32 v163, 0x7fffff, v162
	s_delay_alu instid0(VALU_DEP_2) | instskip(SKIP_1) | instid1(VALU_DEP_3)
	v_sub_nc_u32_e32 v164, 0x78, v161
	v_cmp_gt_u32_e64 s13, 0x79, v161
	v_or_b32_e32 v165, 0x800000, v163
	s_delay_alu instid0(VALU_DEP_2) | instskip(SKIP_2) | instid1(VALU_DEP_2)
	v_cndmask_b32_e64 v164, 0, v164, s13
	v_cmp_eq_u32_e64 s13, 0, v161
	v_add_nc_u32_e32 v161, 0xffffff89, v161
	v_cndmask_b32_e64 v164, v164, 0x77, s13
	v_cndmask_b32_e64 v163, v165, v163, s13
	s_delay_alu instid0(VALU_DEP_3) | instskip(NEXT) | instid1(VALU_DEP_3)
	v_cndmask_b32_e64 v161, v161, 0xffffff8a, s13
	v_lshl_add_u32 v165, 0x100000, v164, -1
	s_delay_alu instid0(VALU_DEP_3) | instskip(SKIP_1) | instid1(VALU_DEP_4)
	v_lshrrev_b32_e32 v166, v164, v163
	v_lshlrev_b32_e64 v176, v164, 0x80000
	v_add_nc_u32_e32 v164, v164, v161
	s_delay_alu instid0(VALU_DEP_4) | instskip(NEXT) | instid1(VALU_DEP_4)
	v_and_b32_e32 v163, v165, v163
	v_bfe_u32 v167, v166, 20, 1
	s_delay_alu instid0(VALU_DEP_2) | instskip(NEXT) | instid1(VALU_DEP_2)
	v_cmp_eq_u32_e64 s14, v163, v176
	v_add_nc_u32_e32 v165, -1, v167
	s_delay_alu instid0(VALU_DEP_1) | instskip(SKIP_2) | instid1(VALU_DEP_2)
	v_cndmask_b32_e64 v163, 0, v165, s14
	v_lshrrev_b32_e32 v165, 23, v166
	s_mov_b32 s14, exec_lo
	v_add_nc_u32_e32 v163, v163, v166
	s_delay_alu instid0(VALU_DEP_2) | instskip(NEXT) | instid1(VALU_DEP_2)
	v_xor_b32_e32 v165, 1, v165
	v_and_b32_e32 v161, 0xfffff, v163
	s_delay_alu instid0(VALU_DEP_1) | instskip(NEXT) | instid1(VALU_DEP_3)
	v_add_nc_u32_e32 v163, v161, v166
                                        ; implicit-def: $vgpr161
	v_cmpx_ne_u32_e64 v164, v165
	s_xor_b32 s14, exec_lo, s14
; %bb.1002:                             ;   in Loop: Header=BB2_783 Depth=4
	s_delay_alu instid0(VALU_DEP_2) | instskip(SKIP_1) | instid1(VALU_DEP_2)
	v_cmp_lt_u32_e64 s13, 0xffffff, v163
	v_sub_nc_u32_e32 v161, v164, v165
	v_cndmask_b32_e64 v164, 0, 1, s13
	s_delay_alu instid0(VALU_DEP_2) | instskip(NEXT) | instid1(VALU_DEP_2)
	v_add_co_ci_u32_e64 v161, s13, 0, v161, s13
	v_lshrrev_b32_e32 v163, v164, v163
; %bb.1003:                             ;   in Loop: Header=BB2_783 Depth=4
	s_and_not1_saveexec_b32 s13, s14
; %bb.1004:                             ;   in Loop: Header=BB2_783 Depth=4
	s_delay_alu instid0(VALU_DEP_1)
	v_bfe_u32 v161, v163, 23, 1
; %bb.1005:                             ;   in Loop: Header=BB2_783 Depth=4
	s_or_b32 exec_lo, exec_lo, s13
	v_lshrrev_b32_e32 v163, 20, v163
	s_delay_alu instid0(VALU_DEP_2) | instskip(SKIP_2) | instid1(VALU_DEP_3)
	v_min_i32_e32 v164, 15, v161
	v_cmp_gt_i32_e64 s13, 16, v161
	v_lshrrev_b32_e32 v162, 24, v162
	v_lshlrev_b32_e32 v164, 3, v164
	s_delay_alu instid0(VALU_DEP_3) | instskip(NEXT) | instid1(VALU_DEP_3)
	v_cndmask_b32_e64 v163, 7, v163, s13
	v_and_b32_e32 v162, 0x80, v162
	s_delay_alu instid0(VALU_DEP_3) | instskip(NEXT) | instid1(VALU_DEP_3)
	v_and_b32_e32 v164, 0xf8, v164
	v_and_b32_e32 v165, 7, v163
	v_or_b32_e32 v161, v161, v163
	s_delay_alu instid0(VALU_DEP_2) | instskip(NEXT) | instid1(VALU_DEP_2)
	v_or3_b32 v162, v162, v164, v165
	v_cmp_ne_u32_e64 s13, 0, v161
	s_delay_alu instid0(VALU_DEP_2) | instskip(NEXT) | instid1(VALU_DEP_1)
	v_lshlrev_b32_e32 v162, 8, v162
	v_cndmask_b32_e64 v161, 0, v162, s13
.LBB2_1006:                             ;   in Loop: Header=BB2_783 Depth=4
	s_or_b32 exec_lo, exec_lo, s24
.LBB2_1007:                             ;   in Loop: Header=BB2_783 Depth=4
	s_delay_alu instid0(SALU_CYCLE_1) | instskip(SKIP_3) | instid1(VALU_DEP_1)
	s_or_b32 exec_lo, exec_lo, s3
	v_lshrrev_b32_e32 v163, 16, v15
	s_mov_b32 s3, 0
	s_mov_b32 s24, exec_lo
                                        ; implicit-def: $sgpr14
	v_and_b32_e32 v164, 0xff, v163
	s_delay_alu instid0(VALU_DEP_1)
	v_cmpx_lt_i16_e64 0x7f, v164
	s_xor_b32 s24, exec_lo, s24
	s_cbranch_execnz .LBB2_1149
; %bb.1008:                             ;   in Loop: Header=BB2_783 Depth=4
	s_or_saveexec_b32 s24, s24
	v_mov_b32_e32 v162, s14
	s_xor_b32 exec_lo, exec_lo, s24
	s_cbranch_execnz .LBB2_1152
.LBB2_1009:                             ;   in Loop: Header=BB2_783 Depth=4
	s_or_b32 exec_lo, exec_lo, s24
	s_and_saveexec_b32 s14, s3
	s_cbranch_execz .LBB2_1011
.LBB2_1010:                             ;   in Loop: Header=BB2_783 Depth=4
	v_bfe_u32 v162, v15, 16, 3
	v_lshlrev_b32_e32 v166, 8, v15
	s_delay_alu instid0(VALU_DEP_2) | instskip(NEXT) | instid1(VALU_DEP_1)
	v_clz_i32_u32_e32 v164, v162
	v_min_u32_e32 v164, 32, v164
	s_delay_alu instid0(VALU_DEP_1) | instskip(SKIP_1) | instid1(VALU_DEP_2)
	v_subrev_nc_u32_e32 v165, 28, v164
	v_sub_nc_u32_e32 v164, 29, v164
	v_lshlrev_b32_e32 v163, v165, v163
	v_bfe_u32 v165, v15, 19, 4
	s_delay_alu instid0(VALU_DEP_2) | instskip(NEXT) | instid1(VALU_DEP_2)
	v_and_b32_e32 v163, 7, v163
	v_cmp_eq_u32_e64 s13, 0, v165
	s_delay_alu instid0(VALU_DEP_1) | instskip(NEXT) | instid1(VALU_DEP_3)
	v_cndmask_b32_e64 v164, v165, v164, s13
	v_cndmask_b32_e64 v162, v162, v163, s13
	v_and_b32_e32 v163, 0x80000000, v166
	s_delay_alu instid0(VALU_DEP_3) | instskip(NEXT) | instid1(VALU_DEP_3)
	v_lshl_add_u32 v164, v164, 23, 0x3b800000
	v_lshlrev_b32_e32 v162, 20, v162
	s_delay_alu instid0(VALU_DEP_1)
	v_or3_b32 v162, v163, v164, v162
.LBB2_1011:                             ;   in Loop: Header=BB2_783 Depth=4
	s_or_b32 exec_lo, exec_lo, s14
	v_lshrrev_b32_e32 v163, 16, v11
	s_mov_b32 s3, 0
	s_mov_b32 s24, exec_lo
                                        ; implicit-def: $sgpr14
	s_delay_alu instid0(VALU_DEP_1) | instskip(NEXT) | instid1(VALU_DEP_1)
	v_and_b32_e32 v165, 0xff, v163
	v_cmpx_lt_i16_e64 0x7f, v165
	s_xor_b32 s24, exec_lo, s24
	s_cbranch_execnz .LBB2_1153
; %bb.1012:                             ;   in Loop: Header=BB2_783 Depth=4
	s_or_saveexec_b32 s24, s24
	v_mov_b32_e32 v164, s14
	s_xor_b32 exec_lo, exec_lo, s24
	s_cbranch_execnz .LBB2_1156
.LBB2_1013:                             ;   in Loop: Header=BB2_783 Depth=4
	s_or_b32 exec_lo, exec_lo, s24
	s_and_saveexec_b32 s14, s3
	s_cbranch_execz .LBB2_1015
.LBB2_1014:                             ;   in Loop: Header=BB2_783 Depth=4
	v_bfe_u32 v164, v11, 16, 3
	v_lshlrev_b32_e32 v167, 8, v11
	s_delay_alu instid0(VALU_DEP_2) | instskip(NEXT) | instid1(VALU_DEP_1)
	v_clz_i32_u32_e32 v165, v164
	v_min_u32_e32 v165, 32, v165
	s_delay_alu instid0(VALU_DEP_1) | instskip(SKIP_1) | instid1(VALU_DEP_2)
	v_subrev_nc_u32_e32 v166, 28, v165
	v_sub_nc_u32_e32 v165, 29, v165
	v_lshlrev_b32_e32 v163, v166, v163
	v_bfe_u32 v166, v11, 19, 4
	s_delay_alu instid0(VALU_DEP_2) | instskip(NEXT) | instid1(VALU_DEP_2)
	v_and_b32_e32 v163, 7, v163
	v_cmp_eq_u32_e64 s13, 0, v166
	s_delay_alu instid0(VALU_DEP_1) | instskip(NEXT) | instid1(VALU_DEP_3)
	v_cndmask_b32_e64 v165, v166, v165, s13
	v_cndmask_b32_e64 v163, v164, v163, s13
	v_and_b32_e32 v164, 0x80000000, v167
	s_delay_alu instid0(VALU_DEP_3) | instskip(NEXT) | instid1(VALU_DEP_3)
	v_lshl_add_u32 v165, v165, 23, 0x3b800000
	v_lshlrev_b32_e32 v163, 20, v163
	s_delay_alu instid0(VALU_DEP_1)
	v_or3_b32 v164, v164, v165, v163
.LBB2_1015:                             ;   in Loop: Header=BB2_783 Depth=4
	s_or_b32 exec_lo, exec_lo, s14
	s_delay_alu instid0(VALU_DEP_1) | instskip(NEXT) | instid1(VALU_DEP_1)
	v_add_f32_e32 v163, v162, v164
	v_and_b32_e32 v162, 0x7f800000, v163
	s_delay_alu instid0(VALU_DEP_1) | instskip(SKIP_1) | instid1(VALU_DEP_2)
	v_cmp_ne_u32_e64 s13, 0x7f800000, v162
	v_mov_b32_e32 v162, 0x80
	s_and_saveexec_b32 s3, s13
	s_cbranch_execz .LBB2_1023
; %bb.1016:                             ;   in Loop: Header=BB2_783 Depth=4
	v_mov_b32_e32 v162, 0
	s_mov_b32 s24, exec_lo
	v_cmpx_ne_u32_e32 0, v163
	s_cbranch_execz .LBB2_1022
; %bb.1017:                             ;   in Loop: Header=BB2_783 Depth=4
	v_bfe_u32 v162, v163, 23, 8
	v_and_b32_e32 v164, 0x7fffff, v163
	s_delay_alu instid0(VALU_DEP_2) | instskip(SKIP_1) | instid1(VALU_DEP_3)
	v_sub_nc_u32_e32 v165, 0x78, v162
	v_cmp_gt_u32_e64 s13, 0x79, v162
	v_or_b32_e32 v166, 0x800000, v164
	s_delay_alu instid0(VALU_DEP_2) | instskip(SKIP_2) | instid1(VALU_DEP_2)
	v_cndmask_b32_e64 v165, 0, v165, s13
	v_cmp_eq_u32_e64 s13, 0, v162
	v_add_nc_u32_e32 v162, 0xffffff89, v162
	v_cndmask_b32_e64 v165, v165, 0x77, s13
	v_cndmask_b32_e64 v164, v166, v164, s13
	s_delay_alu instid0(VALU_DEP_3) | instskip(NEXT) | instid1(VALU_DEP_3)
	v_cndmask_b32_e64 v162, v162, 0xffffff8a, s13
	v_lshl_add_u32 v166, 0x100000, v165, -1
	s_delay_alu instid0(VALU_DEP_3) | instskip(SKIP_1) | instid1(VALU_DEP_4)
	v_lshrrev_b32_e32 v167, v165, v164
	v_lshlrev_b32_e64 v177, v165, 0x80000
	v_add_nc_u32_e32 v165, v165, v162
	s_delay_alu instid0(VALU_DEP_4) | instskip(NEXT) | instid1(VALU_DEP_4)
	v_and_b32_e32 v164, v166, v164
	v_bfe_u32 v176, v167, 20, 1
	s_delay_alu instid0(VALU_DEP_2) | instskip(NEXT) | instid1(VALU_DEP_2)
	v_cmp_eq_u32_e64 s14, v164, v177
	v_add_nc_u32_e32 v166, -1, v176
	s_delay_alu instid0(VALU_DEP_1) | instskip(SKIP_2) | instid1(VALU_DEP_2)
	v_cndmask_b32_e64 v164, 0, v166, s14
	v_lshrrev_b32_e32 v166, 23, v167
	s_mov_b32 s14, exec_lo
	v_add_nc_u32_e32 v164, v164, v167
	s_delay_alu instid0(VALU_DEP_2) | instskip(NEXT) | instid1(VALU_DEP_2)
	v_xor_b32_e32 v166, 1, v166
	v_and_b32_e32 v162, 0xfffff, v164
	s_delay_alu instid0(VALU_DEP_1) | instskip(NEXT) | instid1(VALU_DEP_3)
	v_add_nc_u32_e32 v164, v162, v167
                                        ; implicit-def: $vgpr162
	v_cmpx_ne_u32_e64 v165, v166
	s_xor_b32 s14, exec_lo, s14
; %bb.1018:                             ;   in Loop: Header=BB2_783 Depth=4
	s_delay_alu instid0(VALU_DEP_2) | instskip(SKIP_1) | instid1(VALU_DEP_2)
	v_cmp_lt_u32_e64 s13, 0xffffff, v164
	v_sub_nc_u32_e32 v162, v165, v166
	v_cndmask_b32_e64 v165, 0, 1, s13
	s_delay_alu instid0(VALU_DEP_2) | instskip(NEXT) | instid1(VALU_DEP_2)
	v_add_co_ci_u32_e64 v162, s13, 0, v162, s13
	v_lshrrev_b32_e32 v164, v165, v164
; %bb.1019:                             ;   in Loop: Header=BB2_783 Depth=4
	s_and_not1_saveexec_b32 s13, s14
; %bb.1020:                             ;   in Loop: Header=BB2_783 Depth=4
	s_delay_alu instid0(VALU_DEP_1)
	v_bfe_u32 v162, v164, 23, 1
; %bb.1021:                             ;   in Loop: Header=BB2_783 Depth=4
	s_or_b32 exec_lo, exec_lo, s13
	v_lshrrev_b32_e32 v164, 20, v164
	s_delay_alu instid0(VALU_DEP_2) | instskip(SKIP_2) | instid1(VALU_DEP_3)
	v_min_i32_e32 v165, 15, v162
	v_cmp_gt_i32_e64 s13, 16, v162
	v_lshrrev_b32_e32 v163, 24, v163
	v_lshlrev_b32_e32 v165, 3, v165
	s_delay_alu instid0(VALU_DEP_3) | instskip(NEXT) | instid1(VALU_DEP_3)
	v_cndmask_b32_e64 v164, 7, v164, s13
	v_and_b32_e32 v163, 0x80, v163
	s_delay_alu instid0(VALU_DEP_3) | instskip(NEXT) | instid1(VALU_DEP_3)
	v_and_b32_e32 v165, 0xf8, v165
	v_and_b32_e32 v166, 7, v164
	v_or_b32_e32 v162, v162, v164
	s_delay_alu instid0(VALU_DEP_2) | instskip(NEXT) | instid1(VALU_DEP_2)
	v_or3_b32 v163, v165, v163, v166
	v_cmp_ne_u32_e64 s13, 0, v162
	s_delay_alu instid0(VALU_DEP_1)
	v_cndmask_b32_e64 v162, 0, v163, s13
.LBB2_1022:                             ;   in Loop: Header=BB2_783 Depth=4
	s_or_b32 exec_lo, exec_lo, s24
.LBB2_1023:                             ;   in Loop: Header=BB2_783 Depth=4
	s_delay_alu instid0(SALU_CYCLE_1) | instskip(SKIP_3) | instid1(VALU_DEP_1)
	s_or_b32 exec_lo, exec_lo, s3
	v_lshrrev_b32_e32 v164, 24, v15
	s_mov_b32 s3, 0
	s_mov_b32 s24, exec_lo
                                        ; implicit-def: $sgpr14
	v_cmpx_lt_i16_e64 0x7f, v164
	s_xor_b32 s24, exec_lo, s24
	s_cbranch_execnz .LBB2_1157
; %bb.1024:                             ;   in Loop: Header=BB2_783 Depth=4
	s_or_saveexec_b32 s24, s24
	v_mov_b32_e32 v163, s14
	s_xor_b32 exec_lo, exec_lo, s24
	s_cbranch_execnz .LBB2_1160
.LBB2_1025:                             ;   in Loop: Header=BB2_783 Depth=4
	s_or_b32 exec_lo, exec_lo, s24
	s_and_saveexec_b32 s14, s3
	s_cbranch_execz .LBB2_1027
.LBB2_1026:                             ;   in Loop: Header=BB2_783 Depth=4
	v_bfe_u32 v163, v15, 24, 3
	s_delay_alu instid0(VALU_DEP_1) | instskip(NEXT) | instid1(VALU_DEP_1)
	v_clz_i32_u32_e32 v165, v163
	v_min_u32_e32 v165, 32, v165
	s_delay_alu instid0(VALU_DEP_1) | instskip(SKIP_1) | instid1(VALU_DEP_2)
	v_subrev_nc_u32_e32 v166, 28, v165
	v_sub_nc_u32_e32 v165, 29, v165
	v_lshlrev_b32_e32 v164, v166, v164
	v_bfe_u32 v166, v15, 27, 4
	v_and_b32_e32 v15, 0x80000000, v15
	s_delay_alu instid0(VALU_DEP_3) | instskip(NEXT) | instid1(VALU_DEP_3)
	v_and_b32_e32 v164, 7, v164
	v_cmp_eq_u32_e64 s13, 0, v166
	s_delay_alu instid0(VALU_DEP_1) | instskip(NEXT) | instid1(VALU_DEP_3)
	v_cndmask_b32_e64 v165, v166, v165, s13
	v_cndmask_b32_e64 v163, v163, v164, s13
	s_delay_alu instid0(VALU_DEP_2) | instskip(NEXT) | instid1(VALU_DEP_2)
	v_lshl_add_u32 v164, v165, 23, 0x3b800000
	v_lshlrev_b32_e32 v163, 20, v163
	s_delay_alu instid0(VALU_DEP_1)
	v_or3_b32 v163, v15, v164, v163
.LBB2_1027:                             ;   in Loop: Header=BB2_783 Depth=4
	s_or_b32 exec_lo, exec_lo, s14
	v_lshrrev_b32_e32 v15, 24, v11
	s_mov_b32 s3, 0
	s_mov_b32 s24, exec_lo
                                        ; implicit-def: $sgpr14
	s_delay_alu instid0(VALU_DEP_1)
	v_cmpx_lt_i16_e32 0x7f, v15
	s_xor_b32 s24, exec_lo, s24
	s_cbranch_execnz .LBB2_1161
; %bb.1028:                             ;   in Loop: Header=BB2_783 Depth=4
	s_or_saveexec_b32 s24, s24
	v_mov_b32_e32 v164, s14
	s_xor_b32 exec_lo, exec_lo, s24
	s_cbranch_execnz .LBB2_1164
.LBB2_1029:                             ;   in Loop: Header=BB2_783 Depth=4
	s_or_b32 exec_lo, exec_lo, s24
	s_and_saveexec_b32 s14, s3
	s_cbranch_execz .LBB2_1031
.LBB2_1030:                             ;   in Loop: Header=BB2_783 Depth=4
	v_bfe_u32 v164, v11, 24, 3
	s_delay_alu instid0(VALU_DEP_1) | instskip(NEXT) | instid1(VALU_DEP_1)
	v_clz_i32_u32_e32 v165, v164
	v_min_u32_e32 v165, 32, v165
	s_delay_alu instid0(VALU_DEP_1) | instskip(SKIP_1) | instid1(VALU_DEP_2)
	v_subrev_nc_u32_e32 v166, 28, v165
	v_sub_nc_u32_e32 v165, 29, v165
	v_lshlrev_b32_e32 v15, v166, v15
	v_bfe_u32 v166, v11, 27, 4
	v_and_b32_e32 v11, 0x80000000, v11
	s_delay_alu instid0(VALU_DEP_3) | instskip(NEXT) | instid1(VALU_DEP_3)
	v_and_b32_e32 v15, 7, v15
	v_cmp_eq_u32_e64 s13, 0, v166
	s_delay_alu instid0(VALU_DEP_1) | instskip(NEXT) | instid1(VALU_DEP_3)
	v_cndmask_b32_e64 v165, v166, v165, s13
	v_cndmask_b32_e64 v15, v164, v15, s13
	s_delay_alu instid0(VALU_DEP_2) | instskip(NEXT) | instid1(VALU_DEP_2)
	v_lshl_add_u32 v164, v165, 23, 0x3b800000
	v_lshlrev_b32_e32 v15, 20, v15
	s_delay_alu instid0(VALU_DEP_1)
	v_or3_b32 v164, v11, v164, v15
.LBB2_1031:                             ;   in Loop: Header=BB2_783 Depth=4
	s_or_b32 exec_lo, exec_lo, s14
	s_delay_alu instid0(VALU_DEP_1) | instskip(NEXT) | instid1(VALU_DEP_1)
	v_add_f32_e32 v11, v163, v164
	v_and_b32_e32 v15, 0x7f800000, v11
	s_delay_alu instid0(VALU_DEP_1) | instskip(SKIP_1) | instid1(VALU_DEP_2)
	v_cmp_ne_u32_e64 s13, 0x7f800000, v15
	v_mov_b32_e32 v15, 0x8000
	s_and_saveexec_b32 s3, s13
	s_cbranch_execz .LBB2_782
; %bb.1032:                             ;   in Loop: Header=BB2_783 Depth=4
	v_mov_b32_e32 v15, 0
	s_mov_b32 s24, exec_lo
	v_cmpx_ne_u32_e32 0, v11
	s_cbranch_execz .LBB2_781
; %bb.1033:                             ;   in Loop: Header=BB2_783 Depth=4
	v_bfe_u32 v15, v11, 23, 8
	v_and_b32_e32 v163, 0x7fffff, v11
	s_delay_alu instid0(VALU_DEP_2) | instskip(SKIP_1) | instid1(VALU_DEP_3)
	v_sub_nc_u32_e32 v164, 0x78, v15
	v_cmp_gt_u32_e64 s13, 0x79, v15
	v_or_b32_e32 v165, 0x800000, v163
	s_delay_alu instid0(VALU_DEP_2) | instskip(SKIP_2) | instid1(VALU_DEP_2)
	v_cndmask_b32_e64 v164, 0, v164, s13
	v_cmp_eq_u32_e64 s13, 0, v15
	v_add_nc_u32_e32 v15, 0xffffff89, v15
	v_cndmask_b32_e64 v164, v164, 0x77, s13
	v_cndmask_b32_e64 v163, v165, v163, s13
	s_delay_alu instid0(VALU_DEP_3) | instskip(NEXT) | instid1(VALU_DEP_3)
	v_cndmask_b32_e64 v15, v15, 0xffffff8a, s13
	v_lshl_add_u32 v165, 0x100000, v164, -1
	s_delay_alu instid0(VALU_DEP_3) | instskip(SKIP_1) | instid1(VALU_DEP_4)
	v_lshrrev_b32_e32 v166, v164, v163
	v_lshlrev_b32_e64 v176, v164, 0x80000
	v_add_nc_u32_e32 v164, v164, v15
	s_delay_alu instid0(VALU_DEP_4) | instskip(NEXT) | instid1(VALU_DEP_4)
	v_and_b32_e32 v163, v165, v163
	v_bfe_u32 v167, v166, 20, 1
	s_delay_alu instid0(VALU_DEP_2) | instskip(NEXT) | instid1(VALU_DEP_2)
	v_cmp_eq_u32_e64 s14, v163, v176
	v_add_nc_u32_e32 v165, -1, v167
	s_delay_alu instid0(VALU_DEP_1) | instskip(SKIP_2) | instid1(VALU_DEP_2)
	v_cndmask_b32_e64 v163, 0, v165, s14
	v_lshrrev_b32_e32 v165, 23, v166
	s_mov_b32 s14, exec_lo
	v_add_nc_u32_e32 v163, v163, v166
	s_delay_alu instid0(VALU_DEP_2) | instskip(NEXT) | instid1(VALU_DEP_2)
	v_xor_b32_e32 v165, 1, v165
	v_and_b32_e32 v15, 0xfffff, v163
	s_delay_alu instid0(VALU_DEP_1) | instskip(NEXT) | instid1(VALU_DEP_3)
	v_add_nc_u32_e32 v163, v15, v166
                                        ; implicit-def: $vgpr15
	v_cmpx_ne_u32_e64 v164, v165
	s_xor_b32 s14, exec_lo, s14
; %bb.1034:                             ;   in Loop: Header=BB2_783 Depth=4
	s_delay_alu instid0(VALU_DEP_2) | instskip(SKIP_1) | instid1(VALU_DEP_2)
	v_cmp_lt_u32_e64 s13, 0xffffff, v163
	v_sub_nc_u32_e32 v15, v164, v165
	v_cndmask_b32_e64 v164, 0, 1, s13
	s_delay_alu instid0(VALU_DEP_2) | instskip(NEXT) | instid1(VALU_DEP_2)
	v_add_co_ci_u32_e64 v15, s13, 0, v15, s13
	v_lshrrev_b32_e32 v163, v164, v163
; %bb.1035:                             ;   in Loop: Header=BB2_783 Depth=4
	s_and_not1_saveexec_b32 s13, s14
	s_cbranch_execz .LBB2_780
; %bb.1036:                             ;   in Loop: Header=BB2_783 Depth=4
	s_delay_alu instid0(VALU_DEP_1)
	v_bfe_u32 v15, v163, 23, 1
	s_branch .LBB2_780
.LBB2_1037:                             ;   in Loop: Header=BB2_783 Depth=4
	s_mov_b32 s3, -1
	s_mov_b32 s35, exec_lo
                                        ; implicit-def: $sgpr14
	v_cmpx_eq_u16_e64 0x80, v147
; %bb.1038:                             ;   in Loop: Header=BB2_783 Depth=4
	s_mov_b32 s14, 0x7f800001
	s_xor_b32 s3, exec_lo, -1
; %bb.1039:                             ;   in Loop: Header=BB2_783 Depth=4
	s_or_b32 exec_lo, exec_lo, s35
	s_delay_alu instid0(SALU_CYCLE_1)
	s_and_b32 s3, s3, exec_lo
                                        ; implicit-def: $vgpr147
	s_or_saveexec_b32 s24, s24
	v_mov_b32_e32 v146, s14
	s_xor_b32 exec_lo, exec_lo, s24
	s_cbranch_execz .LBB2_785
.LBB2_1040:                             ;   in Loop: Header=BB2_783 Depth=4
	v_cmp_ne_u16_e64 s13, 0, v147
	v_mov_b32_e32 v146, 0
	s_and_not1_b32 s3, s3, exec_lo
	s_delay_alu instid0(VALU_DEP_2) | instskip(NEXT) | instid1(SALU_CYCLE_1)
	s_and_b32 s13, s13, exec_lo
	s_or_b32 s3, s3, s13
	s_or_b32 exec_lo, exec_lo, s24
	s_and_saveexec_b32 s14, s3
	s_cbranch_execnz .LBB2_786
	s_branch .LBB2_787
.LBB2_1041:                             ;   in Loop: Header=BB2_783 Depth=4
	s_mov_b32 s3, -1
	s_mov_b32 s35, exec_lo
                                        ; implicit-def: $sgpr14
	v_cmpx_eq_u16_e64 0x80, v148
; %bb.1042:                             ;   in Loop: Header=BB2_783 Depth=4
	s_mov_b32 s14, 0x7f800001
	s_xor_b32 s3, exec_lo, -1
; %bb.1043:                             ;   in Loop: Header=BB2_783 Depth=4
	s_or_b32 exec_lo, exec_lo, s35
	s_delay_alu instid0(SALU_CYCLE_1)
	s_and_b32 s3, s3, exec_lo
                                        ; implicit-def: $vgpr148
	s_or_saveexec_b32 s24, s24
	v_mov_b32_e32 v147, s14
	s_xor_b32 exec_lo, exec_lo, s24
	s_cbranch_execz .LBB2_789
.LBB2_1044:                             ;   in Loop: Header=BB2_783 Depth=4
	v_cmp_ne_u16_e64 s13, 0, v148
	v_mov_b32_e32 v147, 0
	s_and_not1_b32 s3, s3, exec_lo
	s_delay_alu instid0(VALU_DEP_2) | instskip(NEXT) | instid1(SALU_CYCLE_1)
	s_and_b32 s13, s13, exec_lo
	s_or_b32 s3, s3, s13
	s_or_b32 exec_lo, exec_lo, s24
	s_and_saveexec_b32 s14, s3
	s_cbranch_execnz .LBB2_790
	s_branch .LBB2_791
.LBB2_1045:                             ;   in Loop: Header=BB2_783 Depth=4
	s_mov_b32 s3, -1
	s_mov_b32 s35, exec_lo
                                        ; implicit-def: $sgpr14
	v_cmpx_eq_u16_e64 0x80, v148
; %bb.1046:                             ;   in Loop: Header=BB2_783 Depth=4
	s_mov_b32 s14, 0x7f800001
	s_xor_b32 s3, exec_lo, -1
; %bb.1047:                             ;   in Loop: Header=BB2_783 Depth=4
	s_or_b32 exec_lo, exec_lo, s35
	s_delay_alu instid0(SALU_CYCLE_1)
	s_and_b32 s3, s3, exec_lo
	s_or_saveexec_b32 s24, s24
	v_mov_b32_e32 v147, s14
	s_xor_b32 exec_lo, exec_lo, s24
	s_cbranch_execz .LBB2_801
.LBB2_1048:                             ;   in Loop: Header=BB2_783 Depth=4
	v_cmp_ne_u16_e64 s13, 0, v148
	v_mov_b32_e32 v147, 0
	s_and_not1_b32 s3, s3, exec_lo
	s_delay_alu instid0(VALU_DEP_2) | instskip(NEXT) | instid1(SALU_CYCLE_1)
	s_and_b32 s13, s13, exec_lo
	s_or_b32 s3, s3, s13
	s_or_b32 exec_lo, exec_lo, s24
	s_and_saveexec_b32 s14, s3
	s_cbranch_execnz .LBB2_802
	s_branch .LBB2_803
.LBB2_1049:                             ;   in Loop: Header=BB2_783 Depth=4
	s_mov_b32 s3, -1
	s_mov_b32 s35, exec_lo
                                        ; implicit-def: $sgpr14
	v_cmpx_eq_u16_e64 0x80, v148
; %bb.1050:                             ;   in Loop: Header=BB2_783 Depth=4
	s_mov_b32 s14, 0x7f800001
	s_xor_b32 s3, exec_lo, -1
; %bb.1051:                             ;   in Loop: Header=BB2_783 Depth=4
	s_or_b32 exec_lo, exec_lo, s35
	s_delay_alu instid0(SALU_CYCLE_1)
	s_and_b32 s3, s3, exec_lo
	s_or_saveexec_b32 s24, s24
	v_mov_b32_e32 v149, s14
	s_xor_b32 exec_lo, exec_lo, s24
	s_cbranch_execz .LBB2_805
.LBB2_1052:                             ;   in Loop: Header=BB2_783 Depth=4
	v_cmp_ne_u16_e64 s13, 0, v148
	v_mov_b32_e32 v149, 0
	s_and_not1_b32 s3, s3, exec_lo
	s_delay_alu instid0(VALU_DEP_2) | instskip(NEXT) | instid1(SALU_CYCLE_1)
	s_and_b32 s13, s13, exec_lo
	s_or_b32 s3, s3, s13
	s_or_b32 exec_lo, exec_lo, s24
	s_and_saveexec_b32 s14, s3
	s_cbranch_execnz .LBB2_806
	s_branch .LBB2_807
.LBB2_1053:                             ;   in Loop: Header=BB2_783 Depth=4
	s_mov_b32 s3, -1
	s_mov_b32 s35, exec_lo
                                        ; implicit-def: $sgpr14
	v_cmpx_eq_u16_e64 0x80, v150
; %bb.1054:                             ;   in Loop: Header=BB2_783 Depth=4
	s_mov_b32 s14, 0x7f800001
	s_xor_b32 s3, exec_lo, -1
; %bb.1055:                             ;   in Loop: Header=BB2_783 Depth=4
	s_or_b32 exec_lo, exec_lo, s35
	s_delay_alu instid0(SALU_CYCLE_1)
	s_and_b32 s3, s3, exec_lo
                                        ; implicit-def: $vgpr150
	s_or_saveexec_b32 s24, s24
	v_mov_b32_e32 v148, s14
	s_xor_b32 exec_lo, exec_lo, s24
	s_cbranch_execz .LBB2_817
.LBB2_1056:                             ;   in Loop: Header=BB2_783 Depth=4
	v_cmp_ne_u16_e64 s13, 0, v150
	v_mov_b32_e32 v148, 0
	s_and_not1_b32 s3, s3, exec_lo
	s_delay_alu instid0(VALU_DEP_2) | instskip(NEXT) | instid1(SALU_CYCLE_1)
	s_and_b32 s13, s13, exec_lo
	s_or_b32 s3, s3, s13
	s_or_b32 exec_lo, exec_lo, s24
	s_and_saveexec_b32 s14, s3
	s_cbranch_execnz .LBB2_818
	s_branch .LBB2_819
.LBB2_1057:                             ;   in Loop: Header=BB2_783 Depth=4
	s_mov_b32 s3, -1
	s_mov_b32 s35, exec_lo
                                        ; implicit-def: $sgpr14
	v_cmpx_eq_u16_e64 0x80, v151
; %bb.1058:                             ;   in Loop: Header=BB2_783 Depth=4
	s_mov_b32 s14, 0x7f800001
	s_xor_b32 s3, exec_lo, -1
; %bb.1059:                             ;   in Loop: Header=BB2_783 Depth=4
	s_or_b32 exec_lo, exec_lo, s35
	s_delay_alu instid0(SALU_CYCLE_1)
	s_and_b32 s3, s3, exec_lo
                                        ; implicit-def: $vgpr151
	s_or_saveexec_b32 s24, s24
	v_mov_b32_e32 v150, s14
	s_xor_b32 exec_lo, exec_lo, s24
	s_cbranch_execz .LBB2_821
.LBB2_1060:                             ;   in Loop: Header=BB2_783 Depth=4
	v_cmp_ne_u16_e64 s13, 0, v151
	v_mov_b32_e32 v150, 0
	s_and_not1_b32 s3, s3, exec_lo
	s_delay_alu instid0(VALU_DEP_2) | instskip(NEXT) | instid1(SALU_CYCLE_1)
	s_and_b32 s13, s13, exec_lo
	s_or_b32 s3, s3, s13
	s_or_b32 exec_lo, exec_lo, s24
	s_and_saveexec_b32 s14, s3
	s_cbranch_execnz .LBB2_822
	s_branch .LBB2_823
.LBB2_1061:                             ;   in Loop: Header=BB2_783 Depth=4
	s_mov_b32 s3, -1
	s_mov_b32 s35, exec_lo
                                        ; implicit-def: $sgpr14
	v_cmpx_eq_u16_e64 0x80, v150
; %bb.1062:                             ;   in Loop: Header=BB2_783 Depth=4
	s_mov_b32 s14, 0x7f800001
	s_xor_b32 s3, exec_lo, -1
; %bb.1063:                             ;   in Loop: Header=BB2_783 Depth=4
	s_or_b32 exec_lo, exec_lo, s35
	s_delay_alu instid0(SALU_CYCLE_1)
	s_and_b32 s3, s3, exec_lo
	s_or_saveexec_b32 s24, s24
	v_mov_b32_e32 v149, s14
	s_xor_b32 exec_lo, exec_lo, s24
	s_cbranch_execz .LBB2_833
.LBB2_1064:                             ;   in Loop: Header=BB2_783 Depth=4
	v_cmp_ne_u16_e64 s13, 0, v150
	v_mov_b32_e32 v149, 0
	s_and_not1_b32 s3, s3, exec_lo
	s_delay_alu instid0(VALU_DEP_2) | instskip(NEXT) | instid1(SALU_CYCLE_1)
	s_and_b32 s13, s13, exec_lo
	s_or_b32 s3, s3, s13
	s_or_b32 exec_lo, exec_lo, s24
	s_and_saveexec_b32 s14, s3
	s_cbranch_execnz .LBB2_834
	s_branch .LBB2_835
.LBB2_1065:                             ;   in Loop: Header=BB2_783 Depth=4
	s_mov_b32 s3, -1
	s_mov_b32 s35, exec_lo
                                        ; implicit-def: $sgpr14
	v_cmpx_eq_u16_e32 0x80, v12
; %bb.1066:                             ;   in Loop: Header=BB2_783 Depth=4
	s_mov_b32 s14, 0x7f800001
	s_xor_b32 s3, exec_lo, -1
; %bb.1067:                             ;   in Loop: Header=BB2_783 Depth=4
	s_or_b32 exec_lo, exec_lo, s35
	s_delay_alu instid0(SALU_CYCLE_1)
	s_and_b32 s3, s3, exec_lo
	s_or_saveexec_b32 s24, s24
	v_mov_b32_e32 v150, s14
	s_xor_b32 exec_lo, exec_lo, s24
	s_cbranch_execz .LBB2_837
.LBB2_1068:                             ;   in Loop: Header=BB2_783 Depth=4
	v_cmp_ne_u16_e64 s13, 0, v12
	v_mov_b32_e32 v150, 0
	s_and_not1_b32 s3, s3, exec_lo
	s_delay_alu instid0(VALU_DEP_2) | instskip(NEXT) | instid1(SALU_CYCLE_1)
	s_and_b32 s13, s13, exec_lo
	s_or_b32 s3, s3, s13
	s_or_b32 exec_lo, exec_lo, s24
	s_and_saveexec_b32 s14, s3
	s_cbranch_execnz .LBB2_838
	s_branch .LBB2_839
.LBB2_1069:                             ;   in Loop: Header=BB2_783 Depth=4
	s_mov_b32 s3, -1
	s_mov_b32 s35, exec_lo
                                        ; implicit-def: $sgpr14
	v_cmpx_eq_u16_e64 0x80, v149
; %bb.1070:                             ;   in Loop: Header=BB2_783 Depth=4
	s_mov_b32 s14, 0x7f800001
	s_xor_b32 s3, exec_lo, -1
; %bb.1071:                             ;   in Loop: Header=BB2_783 Depth=4
	s_or_b32 exec_lo, exec_lo, s35
	s_delay_alu instid0(SALU_CYCLE_1)
	s_and_b32 s3, s3, exec_lo
                                        ; implicit-def: $vgpr149
	s_or_saveexec_b32 s24, s24
	v_mov_b32_e32 v12, s14
	s_xor_b32 exec_lo, exec_lo, s24
	s_cbranch_execz .LBB2_849
.LBB2_1072:                             ;   in Loop: Header=BB2_783 Depth=4
	v_cmp_ne_u16_e64 s13, 0, v149
	v_mov_b32_e32 v12, 0
	s_and_not1_b32 s3, s3, exec_lo
	s_delay_alu instid0(VALU_DEP_2) | instskip(NEXT) | instid1(SALU_CYCLE_1)
	s_and_b32 s13, s13, exec_lo
	s_or_b32 s3, s3, s13
	s_or_b32 exec_lo, exec_lo, s24
	s_and_saveexec_b32 s14, s3
	s_cbranch_execnz .LBB2_850
	s_branch .LBB2_851
.LBB2_1073:                             ;   in Loop: Header=BB2_783 Depth=4
	s_mov_b32 s3, -1
	s_mov_b32 s35, exec_lo
                                        ; implicit-def: $sgpr14
	v_cmpx_eq_u16_e64 0x80, v150
; %bb.1074:                             ;   in Loop: Header=BB2_783 Depth=4
	s_mov_b32 s14, 0x7f800001
	s_xor_b32 s3, exec_lo, -1
; %bb.1075:                             ;   in Loop: Header=BB2_783 Depth=4
	s_or_b32 exec_lo, exec_lo, s35
	s_delay_alu instid0(SALU_CYCLE_1)
	s_and_b32 s3, s3, exec_lo
                                        ; implicit-def: $vgpr150
	s_or_saveexec_b32 s24, s24
	v_mov_b32_e32 v149, s14
	s_xor_b32 exec_lo, exec_lo, s24
	s_cbranch_execz .LBB2_853
.LBB2_1076:                             ;   in Loop: Header=BB2_783 Depth=4
	v_cmp_ne_u16_e64 s13, 0, v150
	v_mov_b32_e32 v149, 0
	s_and_not1_b32 s3, s3, exec_lo
	s_delay_alu instid0(VALU_DEP_2) | instskip(NEXT) | instid1(SALU_CYCLE_1)
	s_and_b32 s13, s13, exec_lo
	s_or_b32 s3, s3, s13
	s_or_b32 exec_lo, exec_lo, s24
	s_and_saveexec_b32 s14, s3
	s_cbranch_execnz .LBB2_854
	s_branch .LBB2_855
.LBB2_1077:                             ;   in Loop: Header=BB2_783 Depth=4
	s_mov_b32 s3, -1
	s_mov_b32 s35, exec_lo
                                        ; implicit-def: $sgpr14
	v_cmpx_eq_u16_e64 0x80, v150
; %bb.1078:                             ;   in Loop: Header=BB2_783 Depth=4
	s_mov_b32 s14, 0x7f800001
	s_xor_b32 s3, exec_lo, -1
; %bb.1079:                             ;   in Loop: Header=BB2_783 Depth=4
	s_or_b32 exec_lo, exec_lo, s35
	s_delay_alu instid0(SALU_CYCLE_1)
	s_and_b32 s3, s3, exec_lo
	s_or_saveexec_b32 s24, s24
	v_mov_b32_e32 v149, s14
	s_xor_b32 exec_lo, exec_lo, s24
	s_cbranch_execz .LBB2_865
.LBB2_1080:                             ;   in Loop: Header=BB2_783 Depth=4
	v_cmp_ne_u16_e64 s13, 0, v150
	v_mov_b32_e32 v149, 0
	s_and_not1_b32 s3, s3, exec_lo
	s_delay_alu instid0(VALU_DEP_2) | instskip(NEXT) | instid1(SALU_CYCLE_1)
	s_and_b32 s13, s13, exec_lo
	s_or_b32 s3, s3, s13
	s_or_b32 exec_lo, exec_lo, s24
	s_and_saveexec_b32 s14, s3
	s_cbranch_execnz .LBB2_866
	s_branch .LBB2_867
.LBB2_1081:                             ;   in Loop: Header=BB2_783 Depth=4
	s_mov_b32 s3, -1
	s_mov_b32 s35, exec_lo
                                        ; implicit-def: $sgpr14
	v_cmpx_eq_u16_e64 0x80, v150
; %bb.1082:                             ;   in Loop: Header=BB2_783 Depth=4
	s_mov_b32 s14, 0x7f800001
	s_xor_b32 s3, exec_lo, -1
; %bb.1083:                             ;   in Loop: Header=BB2_783 Depth=4
	s_or_b32 exec_lo, exec_lo, s35
	s_delay_alu instid0(SALU_CYCLE_1)
	s_and_b32 s3, s3, exec_lo
	s_or_saveexec_b32 s24, s24
	v_mov_b32_e32 v151, s14
	s_xor_b32 exec_lo, exec_lo, s24
	s_cbranch_execz .LBB2_869
.LBB2_1084:                             ;   in Loop: Header=BB2_783 Depth=4
	v_cmp_ne_u16_e64 s13, 0, v150
	v_mov_b32_e32 v151, 0
	s_and_not1_b32 s3, s3, exec_lo
	s_delay_alu instid0(VALU_DEP_2) | instskip(NEXT) | instid1(SALU_CYCLE_1)
	s_and_b32 s13, s13, exec_lo
	s_or_b32 s3, s3, s13
	s_or_b32 exec_lo, exec_lo, s24
	s_and_saveexec_b32 s14, s3
	s_cbranch_execnz .LBB2_870
	s_branch .LBB2_871
.LBB2_1085:                             ;   in Loop: Header=BB2_783 Depth=4
	s_mov_b32 s3, -1
	s_mov_b32 s35, exec_lo
                                        ; implicit-def: $sgpr14
	v_cmpx_eq_u16_e64 0x80, v160
; %bb.1086:                             ;   in Loop: Header=BB2_783 Depth=4
	s_mov_b32 s14, 0x7f800001
	s_xor_b32 s3, exec_lo, -1
; %bb.1087:                             ;   in Loop: Header=BB2_783 Depth=4
	s_or_b32 exec_lo, exec_lo, s35
	s_delay_alu instid0(SALU_CYCLE_1)
	s_and_b32 s3, s3, exec_lo
                                        ; implicit-def: $vgpr160
	s_or_saveexec_b32 s24, s24
	v_mov_b32_e32 v150, s14
	s_xor_b32 exec_lo, exec_lo, s24
	s_cbranch_execz .LBB2_881
.LBB2_1088:                             ;   in Loop: Header=BB2_783 Depth=4
	v_cmp_ne_u16_e64 s13, 0, v160
	v_mov_b32_e32 v150, 0
	s_and_not1_b32 s3, s3, exec_lo
	s_delay_alu instid0(VALU_DEP_2) | instskip(NEXT) | instid1(SALU_CYCLE_1)
	s_and_b32 s13, s13, exec_lo
	s_or_b32 s3, s3, s13
	s_or_b32 exec_lo, exec_lo, s24
	s_and_saveexec_b32 s14, s3
	s_cbranch_execnz .LBB2_882
	s_branch .LBB2_883
.LBB2_1089:                             ;   in Loop: Header=BB2_783 Depth=4
	s_mov_b32 s3, -1
	s_mov_b32 s35, exec_lo
                                        ; implicit-def: $sgpr14
	v_cmpx_eq_u16_e64 0x80, v161
; %bb.1090:                             ;   in Loop: Header=BB2_783 Depth=4
	s_mov_b32 s14, 0x7f800001
	s_xor_b32 s3, exec_lo, -1
; %bb.1091:                             ;   in Loop: Header=BB2_783 Depth=4
	s_or_b32 exec_lo, exec_lo, s35
	s_delay_alu instid0(SALU_CYCLE_1)
	s_and_b32 s3, s3, exec_lo
                                        ; implicit-def: $vgpr161
	s_or_saveexec_b32 s24, s24
	v_mov_b32_e32 v160, s14
	s_xor_b32 exec_lo, exec_lo, s24
	s_cbranch_execz .LBB2_885
.LBB2_1092:                             ;   in Loop: Header=BB2_783 Depth=4
	v_cmp_ne_u16_e64 s13, 0, v161
	v_mov_b32_e32 v160, 0
	s_and_not1_b32 s3, s3, exec_lo
	s_delay_alu instid0(VALU_DEP_2) | instskip(NEXT) | instid1(SALU_CYCLE_1)
	s_and_b32 s13, s13, exec_lo
	s_or_b32 s3, s3, s13
	s_or_b32 exec_lo, exec_lo, s24
	s_and_saveexec_b32 s14, s3
	s_cbranch_execnz .LBB2_886
	s_branch .LBB2_887
.LBB2_1093:                             ;   in Loop: Header=BB2_783 Depth=4
	s_mov_b32 s3, -1
	s_mov_b32 s35, exec_lo
                                        ; implicit-def: $sgpr14
	v_cmpx_eq_u16_e64 0x80, v160
; %bb.1094:                             ;   in Loop: Header=BB2_783 Depth=4
	s_mov_b32 s14, 0x7f800001
	s_xor_b32 s3, exec_lo, -1
; %bb.1095:                             ;   in Loop: Header=BB2_783 Depth=4
	s_or_b32 exec_lo, exec_lo, s35
	s_delay_alu instid0(SALU_CYCLE_1)
	s_and_b32 s3, s3, exec_lo
	s_or_saveexec_b32 s24, s24
	v_mov_b32_e32 v151, s14
	s_xor_b32 exec_lo, exec_lo, s24
	s_cbranch_execz .LBB2_897
.LBB2_1096:                             ;   in Loop: Header=BB2_783 Depth=4
	v_cmp_ne_u16_e64 s13, 0, v160
	v_mov_b32_e32 v151, 0
	s_and_not1_b32 s3, s3, exec_lo
	s_delay_alu instid0(VALU_DEP_2) | instskip(NEXT) | instid1(SALU_CYCLE_1)
	s_and_b32 s13, s13, exec_lo
	s_or_b32 s3, s3, s13
	s_or_b32 exec_lo, exec_lo, s24
	s_and_saveexec_b32 s14, s3
	s_cbranch_execnz .LBB2_898
	s_branch .LBB2_899
.LBB2_1097:                             ;   in Loop: Header=BB2_783 Depth=4
	s_mov_b32 s3, -1
	s_mov_b32 s35, exec_lo
                                        ; implicit-def: $sgpr14
	v_cmpx_eq_u16_e32 0x80, v13
; %bb.1098:                             ;   in Loop: Header=BB2_783 Depth=4
	s_mov_b32 s14, 0x7f800001
	s_xor_b32 s3, exec_lo, -1
; %bb.1099:                             ;   in Loop: Header=BB2_783 Depth=4
	s_or_b32 exec_lo, exec_lo, s35
	s_delay_alu instid0(SALU_CYCLE_1)
	s_and_b32 s3, s3, exec_lo
	s_or_saveexec_b32 s24, s24
	v_mov_b32_e32 v160, s14
	s_xor_b32 exec_lo, exec_lo, s24
	s_cbranch_execz .LBB2_901
.LBB2_1100:                             ;   in Loop: Header=BB2_783 Depth=4
	v_cmp_ne_u16_e64 s13, 0, v13
	v_mov_b32_e32 v160, 0
	s_and_not1_b32 s3, s3, exec_lo
	s_delay_alu instid0(VALU_DEP_2) | instskip(NEXT) | instid1(SALU_CYCLE_1)
	s_and_b32 s13, s13, exec_lo
	s_or_b32 s3, s3, s13
	s_or_b32 exec_lo, exec_lo, s24
	s_and_saveexec_b32 s14, s3
	s_cbranch_execnz .LBB2_902
	s_branch .LBB2_903
.LBB2_1101:                             ;   in Loop: Header=BB2_783 Depth=4
	s_mov_b32 s3, -1
	s_mov_b32 s35, exec_lo
                                        ; implicit-def: $sgpr14
	v_cmpx_eq_u16_e64 0x80, v151
; %bb.1102:                             ;   in Loop: Header=BB2_783 Depth=4
	s_mov_b32 s14, 0x7f800001
	s_xor_b32 s3, exec_lo, -1
; %bb.1103:                             ;   in Loop: Header=BB2_783 Depth=4
	s_or_b32 exec_lo, exec_lo, s35
	s_delay_alu instid0(SALU_CYCLE_1)
	s_and_b32 s3, s3, exec_lo
                                        ; implicit-def: $vgpr151
	s_or_saveexec_b32 s24, s24
	v_mov_b32_e32 v13, s14
	s_xor_b32 exec_lo, exec_lo, s24
	s_cbranch_execz .LBB2_913
.LBB2_1104:                             ;   in Loop: Header=BB2_783 Depth=4
	v_cmp_ne_u16_e64 s13, 0, v151
	v_mov_b32_e32 v13, 0
	s_and_not1_b32 s3, s3, exec_lo
	s_delay_alu instid0(VALU_DEP_2) | instskip(NEXT) | instid1(SALU_CYCLE_1)
	s_and_b32 s13, s13, exec_lo
	s_or_b32 s3, s3, s13
	s_or_b32 exec_lo, exec_lo, s24
	s_and_saveexec_b32 s14, s3
	s_cbranch_execnz .LBB2_914
	s_branch .LBB2_915
.LBB2_1105:                             ;   in Loop: Header=BB2_783 Depth=4
	s_mov_b32 s3, -1
	s_mov_b32 s35, exec_lo
                                        ; implicit-def: $sgpr14
	v_cmpx_eq_u16_e64 0x80, v160
; %bb.1106:                             ;   in Loop: Header=BB2_783 Depth=4
	s_mov_b32 s14, 0x7f800001
	s_xor_b32 s3, exec_lo, -1
; %bb.1107:                             ;   in Loop: Header=BB2_783 Depth=4
	s_or_b32 exec_lo, exec_lo, s35
	s_delay_alu instid0(SALU_CYCLE_1)
	s_and_b32 s3, s3, exec_lo
                                        ; implicit-def: $vgpr160
	s_or_saveexec_b32 s24, s24
	v_mov_b32_e32 v151, s14
	s_xor_b32 exec_lo, exec_lo, s24
	s_cbranch_execz .LBB2_917
.LBB2_1108:                             ;   in Loop: Header=BB2_783 Depth=4
	v_cmp_ne_u16_e64 s13, 0, v160
	v_mov_b32_e32 v151, 0
	s_and_not1_b32 s3, s3, exec_lo
	s_delay_alu instid0(VALU_DEP_2) | instskip(NEXT) | instid1(SALU_CYCLE_1)
	s_and_b32 s13, s13, exec_lo
	s_or_b32 s3, s3, s13
	s_or_b32 exec_lo, exec_lo, s24
	s_and_saveexec_b32 s14, s3
	s_cbranch_execnz .LBB2_918
	s_branch .LBB2_919
.LBB2_1109:                             ;   in Loop: Header=BB2_783 Depth=4
	s_mov_b32 s3, -1
	s_mov_b32 s35, exec_lo
                                        ; implicit-def: $sgpr14
	v_cmpx_eq_u16_e64 0x80, v160
; %bb.1110:                             ;   in Loop: Header=BB2_783 Depth=4
	s_mov_b32 s14, 0x7f800001
	s_xor_b32 s3, exec_lo, -1
; %bb.1111:                             ;   in Loop: Header=BB2_783 Depth=4
	s_or_b32 exec_lo, exec_lo, s35
	s_delay_alu instid0(SALU_CYCLE_1)
	s_and_b32 s3, s3, exec_lo
	s_or_saveexec_b32 s24, s24
	v_mov_b32_e32 v151, s14
	s_xor_b32 exec_lo, exec_lo, s24
	s_cbranch_execz .LBB2_929
.LBB2_1112:                             ;   in Loop: Header=BB2_783 Depth=4
	v_cmp_ne_u16_e64 s13, 0, v160
	v_mov_b32_e32 v151, 0
	s_and_not1_b32 s3, s3, exec_lo
	s_delay_alu instid0(VALU_DEP_2) | instskip(NEXT) | instid1(SALU_CYCLE_1)
	s_and_b32 s13, s13, exec_lo
	s_or_b32 s3, s3, s13
	s_or_b32 exec_lo, exec_lo, s24
	s_and_saveexec_b32 s14, s3
	s_cbranch_execnz .LBB2_930
	s_branch .LBB2_931
.LBB2_1113:                             ;   in Loop: Header=BB2_783 Depth=4
	s_mov_b32 s3, -1
	s_mov_b32 s35, exec_lo
                                        ; implicit-def: $sgpr14
	v_cmpx_eq_u16_e64 0x80, v160
; %bb.1114:                             ;   in Loop: Header=BB2_783 Depth=4
	s_mov_b32 s14, 0x7f800001
	s_xor_b32 s3, exec_lo, -1
; %bb.1115:                             ;   in Loop: Header=BB2_783 Depth=4
	s_or_b32 exec_lo, exec_lo, s35
	s_delay_alu instid0(SALU_CYCLE_1)
	s_and_b32 s3, s3, exec_lo
	s_or_saveexec_b32 s24, s24
	v_mov_b32_e32 v161, s14
	s_xor_b32 exec_lo, exec_lo, s24
	s_cbranch_execz .LBB2_933
.LBB2_1116:                             ;   in Loop: Header=BB2_783 Depth=4
	v_cmp_ne_u16_e64 s13, 0, v160
	v_mov_b32_e32 v161, 0
	s_and_not1_b32 s3, s3, exec_lo
	s_delay_alu instid0(VALU_DEP_2) | instskip(NEXT) | instid1(SALU_CYCLE_1)
	s_and_b32 s13, s13, exec_lo
	s_or_b32 s3, s3, s13
	s_or_b32 exec_lo, exec_lo, s24
	s_and_saveexec_b32 s14, s3
	s_cbranch_execnz .LBB2_934
	s_branch .LBB2_935
.LBB2_1117:                             ;   in Loop: Header=BB2_783 Depth=4
	s_mov_b32 s3, -1
	s_mov_b32 s35, exec_lo
                                        ; implicit-def: $sgpr14
	v_cmpx_eq_u16_e64 0x80, v162
; %bb.1118:                             ;   in Loop: Header=BB2_783 Depth=4
	s_mov_b32 s14, 0x7f800001
	s_xor_b32 s3, exec_lo, -1
; %bb.1119:                             ;   in Loop: Header=BB2_783 Depth=4
	s_or_b32 exec_lo, exec_lo, s35
	s_delay_alu instid0(SALU_CYCLE_1)
	s_and_b32 s3, s3, exec_lo
                                        ; implicit-def: $vgpr162
	s_or_saveexec_b32 s24, s24
	v_mov_b32_e32 v160, s14
	s_xor_b32 exec_lo, exec_lo, s24
	s_cbranch_execz .LBB2_945
.LBB2_1120:                             ;   in Loop: Header=BB2_783 Depth=4
	v_cmp_ne_u16_e64 s13, 0, v162
	v_mov_b32_e32 v160, 0
	s_and_not1_b32 s3, s3, exec_lo
	s_delay_alu instid0(VALU_DEP_2) | instskip(NEXT) | instid1(SALU_CYCLE_1)
	s_and_b32 s13, s13, exec_lo
	s_or_b32 s3, s3, s13
	s_or_b32 exec_lo, exec_lo, s24
	s_and_saveexec_b32 s14, s3
	s_cbranch_execnz .LBB2_946
	s_branch .LBB2_947
.LBB2_1121:                             ;   in Loop: Header=BB2_783 Depth=4
	s_mov_b32 s3, -1
	s_mov_b32 s35, exec_lo
                                        ; implicit-def: $sgpr14
	v_cmpx_eq_u16_e64 0x80, v163
; %bb.1122:                             ;   in Loop: Header=BB2_783 Depth=4
	s_mov_b32 s14, 0x7f800001
	s_xor_b32 s3, exec_lo, -1
; %bb.1123:                             ;   in Loop: Header=BB2_783 Depth=4
	s_or_b32 exec_lo, exec_lo, s35
	s_delay_alu instid0(SALU_CYCLE_1)
	s_and_b32 s3, s3, exec_lo
                                        ; implicit-def: $vgpr163
	s_or_saveexec_b32 s24, s24
	v_mov_b32_e32 v162, s14
	s_xor_b32 exec_lo, exec_lo, s24
	s_cbranch_execz .LBB2_949
.LBB2_1124:                             ;   in Loop: Header=BB2_783 Depth=4
	v_cmp_ne_u16_e64 s13, 0, v163
	v_mov_b32_e32 v162, 0
	s_and_not1_b32 s3, s3, exec_lo
	s_delay_alu instid0(VALU_DEP_2) | instskip(NEXT) | instid1(SALU_CYCLE_1)
	s_and_b32 s13, s13, exec_lo
	s_or_b32 s3, s3, s13
	s_or_b32 exec_lo, exec_lo, s24
	s_and_saveexec_b32 s14, s3
	s_cbranch_execnz .LBB2_950
	s_branch .LBB2_951
.LBB2_1125:                             ;   in Loop: Header=BB2_783 Depth=4
	s_mov_b32 s3, -1
	s_mov_b32 s35, exec_lo
                                        ; implicit-def: $sgpr14
	v_cmpx_eq_u16_e64 0x80, v162
; %bb.1126:                             ;   in Loop: Header=BB2_783 Depth=4
	s_mov_b32 s14, 0x7f800001
	s_xor_b32 s3, exec_lo, -1
; %bb.1127:                             ;   in Loop: Header=BB2_783 Depth=4
	s_or_b32 exec_lo, exec_lo, s35
	s_delay_alu instid0(SALU_CYCLE_1)
	s_and_b32 s3, s3, exec_lo
	s_or_saveexec_b32 s24, s24
	v_mov_b32_e32 v161, s14
	s_xor_b32 exec_lo, exec_lo, s24
	s_cbranch_execz .LBB2_961
.LBB2_1128:                             ;   in Loop: Header=BB2_783 Depth=4
	v_cmp_ne_u16_e64 s13, 0, v162
	v_mov_b32_e32 v161, 0
	s_and_not1_b32 s3, s3, exec_lo
	s_delay_alu instid0(VALU_DEP_2) | instskip(NEXT) | instid1(SALU_CYCLE_1)
	s_and_b32 s13, s13, exec_lo
	s_or_b32 s3, s3, s13
	s_or_b32 exec_lo, exec_lo, s24
	s_and_saveexec_b32 s14, s3
	s_cbranch_execnz .LBB2_962
	s_branch .LBB2_963
.LBB2_1129:                             ;   in Loop: Header=BB2_783 Depth=4
	s_mov_b32 s3, -1
	s_mov_b32 s35, exec_lo
                                        ; implicit-def: $sgpr14
	v_cmpx_eq_u16_e32 0x80, v14
; %bb.1130:                             ;   in Loop: Header=BB2_783 Depth=4
	s_mov_b32 s14, 0x7f800001
	s_xor_b32 s3, exec_lo, -1
; %bb.1131:                             ;   in Loop: Header=BB2_783 Depth=4
	s_or_b32 exec_lo, exec_lo, s35
	s_delay_alu instid0(SALU_CYCLE_1)
	s_and_b32 s3, s3, exec_lo
	s_or_saveexec_b32 s24, s24
	v_mov_b32_e32 v162, s14
	s_xor_b32 exec_lo, exec_lo, s24
	s_cbranch_execz .LBB2_965
.LBB2_1132:                             ;   in Loop: Header=BB2_783 Depth=4
	v_cmp_ne_u16_e64 s13, 0, v14
	v_mov_b32_e32 v162, 0
	s_and_not1_b32 s3, s3, exec_lo
	s_delay_alu instid0(VALU_DEP_2) | instskip(NEXT) | instid1(SALU_CYCLE_1)
	s_and_b32 s13, s13, exec_lo
	s_or_b32 s3, s3, s13
	s_or_b32 exec_lo, exec_lo, s24
	s_and_saveexec_b32 s14, s3
	s_cbranch_execnz .LBB2_966
	s_branch .LBB2_967
.LBB2_1133:                             ;   in Loop: Header=BB2_783 Depth=4
	s_mov_b32 s3, -1
	s_mov_b32 s35, exec_lo
                                        ; implicit-def: $sgpr14
	v_cmpx_eq_u16_e64 0x80, v161
; %bb.1134:                             ;   in Loop: Header=BB2_783 Depth=4
	s_mov_b32 s14, 0x7f800001
	s_xor_b32 s3, exec_lo, -1
; %bb.1135:                             ;   in Loop: Header=BB2_783 Depth=4
	s_or_b32 exec_lo, exec_lo, s35
	s_delay_alu instid0(SALU_CYCLE_1)
	s_and_b32 s3, s3, exec_lo
                                        ; implicit-def: $vgpr161
	s_or_saveexec_b32 s24, s24
	v_mov_b32_e32 v14, s14
	s_xor_b32 exec_lo, exec_lo, s24
	s_cbranch_execz .LBB2_977
.LBB2_1136:                             ;   in Loop: Header=BB2_783 Depth=4
	v_cmp_ne_u16_e64 s13, 0, v161
	v_mov_b32_e32 v14, 0
	s_and_not1_b32 s3, s3, exec_lo
	s_delay_alu instid0(VALU_DEP_2) | instskip(NEXT) | instid1(SALU_CYCLE_1)
	s_and_b32 s13, s13, exec_lo
	s_or_b32 s3, s3, s13
	s_or_b32 exec_lo, exec_lo, s24
	s_and_saveexec_b32 s14, s3
	s_cbranch_execnz .LBB2_978
	s_branch .LBB2_979
.LBB2_1137:                             ;   in Loop: Header=BB2_783 Depth=4
	s_mov_b32 s3, -1
	s_mov_b32 s35, exec_lo
                                        ; implicit-def: $sgpr14
	v_cmpx_eq_u16_e64 0x80, v162
; %bb.1138:                             ;   in Loop: Header=BB2_783 Depth=4
	s_mov_b32 s14, 0x7f800001
	s_xor_b32 s3, exec_lo, -1
; %bb.1139:                             ;   in Loop: Header=BB2_783 Depth=4
	s_or_b32 exec_lo, exec_lo, s35
	s_delay_alu instid0(SALU_CYCLE_1)
	s_and_b32 s3, s3, exec_lo
                                        ; implicit-def: $vgpr162
	s_or_saveexec_b32 s24, s24
	v_mov_b32_e32 v161, s14
	s_xor_b32 exec_lo, exec_lo, s24
	s_cbranch_execz .LBB2_981
.LBB2_1140:                             ;   in Loop: Header=BB2_783 Depth=4
	v_cmp_ne_u16_e64 s13, 0, v162
	v_mov_b32_e32 v161, 0
	s_and_not1_b32 s3, s3, exec_lo
	s_delay_alu instid0(VALU_DEP_2) | instskip(NEXT) | instid1(SALU_CYCLE_1)
	s_and_b32 s13, s13, exec_lo
	s_or_b32 s3, s3, s13
	s_or_b32 exec_lo, exec_lo, s24
	s_and_saveexec_b32 s14, s3
	s_cbranch_execnz .LBB2_982
	s_branch .LBB2_983
.LBB2_1141:                             ;   in Loop: Header=BB2_783 Depth=4
	s_mov_b32 s3, -1
	s_mov_b32 s35, exec_lo
                                        ; implicit-def: $sgpr14
	v_cmpx_eq_u16_e64 0x80, v162
; %bb.1142:                             ;   in Loop: Header=BB2_783 Depth=4
	s_mov_b32 s14, 0x7f800001
	s_xor_b32 s3, exec_lo, -1
; %bb.1143:                             ;   in Loop: Header=BB2_783 Depth=4
	s_or_b32 exec_lo, exec_lo, s35
	s_delay_alu instid0(SALU_CYCLE_1)
	s_and_b32 s3, s3, exec_lo
	s_or_saveexec_b32 s24, s24
	v_mov_b32_e32 v161, s14
	s_xor_b32 exec_lo, exec_lo, s24
	s_cbranch_execz .LBB2_993
.LBB2_1144:                             ;   in Loop: Header=BB2_783 Depth=4
	v_cmp_ne_u16_e64 s13, 0, v162
	v_mov_b32_e32 v161, 0
	s_and_not1_b32 s3, s3, exec_lo
	s_delay_alu instid0(VALU_DEP_2) | instskip(NEXT) | instid1(SALU_CYCLE_1)
	s_and_b32 s13, s13, exec_lo
	s_or_b32 s3, s3, s13
	s_or_b32 exec_lo, exec_lo, s24
	s_and_saveexec_b32 s14, s3
	s_cbranch_execnz .LBB2_994
	s_branch .LBB2_995
.LBB2_1145:                             ;   in Loop: Header=BB2_783 Depth=4
	s_mov_b32 s3, -1
	s_mov_b32 s35, exec_lo
                                        ; implicit-def: $sgpr14
	v_cmpx_eq_u16_e64 0x80, v162
; %bb.1146:                             ;   in Loop: Header=BB2_783 Depth=4
	s_mov_b32 s14, 0x7f800001
	s_xor_b32 s3, exec_lo, -1
; %bb.1147:                             ;   in Loop: Header=BB2_783 Depth=4
	s_or_b32 exec_lo, exec_lo, s35
	s_delay_alu instid0(SALU_CYCLE_1)
	s_and_b32 s3, s3, exec_lo
	s_or_saveexec_b32 s24, s24
	v_mov_b32_e32 v163, s14
	s_xor_b32 exec_lo, exec_lo, s24
	s_cbranch_execz .LBB2_997
.LBB2_1148:                             ;   in Loop: Header=BB2_783 Depth=4
	v_cmp_ne_u16_e64 s13, 0, v162
	v_mov_b32_e32 v163, 0
	s_and_not1_b32 s3, s3, exec_lo
	s_delay_alu instid0(VALU_DEP_2) | instskip(NEXT) | instid1(SALU_CYCLE_1)
	s_and_b32 s13, s13, exec_lo
	s_or_b32 s3, s3, s13
	s_or_b32 exec_lo, exec_lo, s24
	s_and_saveexec_b32 s14, s3
	s_cbranch_execnz .LBB2_998
	s_branch .LBB2_999
.LBB2_1149:                             ;   in Loop: Header=BB2_783 Depth=4
	s_mov_b32 s3, -1
	s_mov_b32 s35, exec_lo
                                        ; implicit-def: $sgpr14
	v_cmpx_eq_u16_e64 0x80, v164
; %bb.1150:                             ;   in Loop: Header=BB2_783 Depth=4
	s_mov_b32 s14, 0x7f800001
	s_xor_b32 s3, exec_lo, -1
; %bb.1151:                             ;   in Loop: Header=BB2_783 Depth=4
	s_or_b32 exec_lo, exec_lo, s35
	s_delay_alu instid0(SALU_CYCLE_1)
	s_and_b32 s3, s3, exec_lo
                                        ; implicit-def: $vgpr164
	s_or_saveexec_b32 s24, s24
	v_mov_b32_e32 v162, s14
	s_xor_b32 exec_lo, exec_lo, s24
	s_cbranch_execz .LBB2_1009
.LBB2_1152:                             ;   in Loop: Header=BB2_783 Depth=4
	v_cmp_ne_u16_e64 s13, 0, v164
	v_mov_b32_e32 v162, 0
	s_and_not1_b32 s3, s3, exec_lo
	s_delay_alu instid0(VALU_DEP_2) | instskip(NEXT) | instid1(SALU_CYCLE_1)
	s_and_b32 s13, s13, exec_lo
	s_or_b32 s3, s3, s13
	s_or_b32 exec_lo, exec_lo, s24
	s_and_saveexec_b32 s14, s3
	s_cbranch_execnz .LBB2_1010
	s_branch .LBB2_1011
.LBB2_1153:                             ;   in Loop: Header=BB2_783 Depth=4
	s_mov_b32 s3, -1
	s_mov_b32 s35, exec_lo
                                        ; implicit-def: $sgpr14
	v_cmpx_eq_u16_e64 0x80, v165
; %bb.1154:                             ;   in Loop: Header=BB2_783 Depth=4
	s_mov_b32 s14, 0x7f800001
	s_xor_b32 s3, exec_lo, -1
; %bb.1155:                             ;   in Loop: Header=BB2_783 Depth=4
	s_or_b32 exec_lo, exec_lo, s35
	s_delay_alu instid0(SALU_CYCLE_1)
	s_and_b32 s3, s3, exec_lo
                                        ; implicit-def: $vgpr165
	s_or_saveexec_b32 s24, s24
	v_mov_b32_e32 v164, s14
	s_xor_b32 exec_lo, exec_lo, s24
	s_cbranch_execz .LBB2_1013
.LBB2_1156:                             ;   in Loop: Header=BB2_783 Depth=4
	v_cmp_ne_u16_e64 s13, 0, v165
	v_mov_b32_e32 v164, 0
	s_and_not1_b32 s3, s3, exec_lo
	s_delay_alu instid0(VALU_DEP_2) | instskip(NEXT) | instid1(SALU_CYCLE_1)
	s_and_b32 s13, s13, exec_lo
	s_or_b32 s3, s3, s13
	s_or_b32 exec_lo, exec_lo, s24
	s_and_saveexec_b32 s14, s3
	s_cbranch_execnz .LBB2_1014
	s_branch .LBB2_1015
.LBB2_1157:                             ;   in Loop: Header=BB2_783 Depth=4
	s_mov_b32 s3, -1
	s_mov_b32 s35, exec_lo
                                        ; implicit-def: $sgpr14
	v_cmpx_eq_u16_e64 0x80, v164
; %bb.1158:                             ;   in Loop: Header=BB2_783 Depth=4
	s_mov_b32 s14, 0x7f800001
	s_xor_b32 s3, exec_lo, -1
; %bb.1159:                             ;   in Loop: Header=BB2_783 Depth=4
	s_or_b32 exec_lo, exec_lo, s35
	s_delay_alu instid0(SALU_CYCLE_1)
	s_and_b32 s3, s3, exec_lo
	s_or_saveexec_b32 s24, s24
	v_mov_b32_e32 v163, s14
	s_xor_b32 exec_lo, exec_lo, s24
	s_cbranch_execz .LBB2_1025
.LBB2_1160:                             ;   in Loop: Header=BB2_783 Depth=4
	v_cmp_ne_u16_e64 s13, 0, v164
	v_mov_b32_e32 v163, 0
	s_and_not1_b32 s3, s3, exec_lo
	s_delay_alu instid0(VALU_DEP_2) | instskip(NEXT) | instid1(SALU_CYCLE_1)
	s_and_b32 s13, s13, exec_lo
	s_or_b32 s3, s3, s13
	s_or_b32 exec_lo, exec_lo, s24
	s_and_saveexec_b32 s14, s3
	s_cbranch_execnz .LBB2_1026
	s_branch .LBB2_1027
.LBB2_1161:                             ;   in Loop: Header=BB2_783 Depth=4
	s_mov_b32 s3, -1
	s_mov_b32 s35, exec_lo
                                        ; implicit-def: $sgpr14
	v_cmpx_eq_u16_e32 0x80, v15
; %bb.1162:                             ;   in Loop: Header=BB2_783 Depth=4
	s_mov_b32 s14, 0x7f800001
	s_xor_b32 s3, exec_lo, -1
; %bb.1163:                             ;   in Loop: Header=BB2_783 Depth=4
	s_or_b32 exec_lo, exec_lo, s35
	s_delay_alu instid0(SALU_CYCLE_1)
	s_and_b32 s3, s3, exec_lo
	s_or_saveexec_b32 s24, s24
	v_mov_b32_e32 v164, s14
	s_xor_b32 exec_lo, exec_lo, s24
	s_cbranch_execz .LBB2_1029
.LBB2_1164:                             ;   in Loop: Header=BB2_783 Depth=4
	v_cmp_ne_u16_e64 s13, 0, v15
	v_mov_b32_e32 v164, 0
	s_and_not1_b32 s3, s3, exec_lo
	s_delay_alu instid0(VALU_DEP_2) | instskip(NEXT) | instid1(SALU_CYCLE_1)
	s_and_b32 s13, s13, exec_lo
	s_or_b32 s3, s3, s13
	s_or_b32 exec_lo, exec_lo, s24
	s_and_saveexec_b32 s14, s3
	s_cbranch_execnz .LBB2_1030
	s_branch .LBB2_1031
.LBB2_1165:                             ;   in Loop: Header=BB2_305 Depth=3
	s_or_b32 exec_lo, exec_lo, s34
.LBB2_1166:                             ;   in Loop: Header=BB2_305 Depth=3
	s_delay_alu instid0(SALU_CYCLE_1) | instskip(SKIP_3) | instid1(VALU_DEP_1)
	s_or_b32 exec_lo, exec_lo, s31
	v_dual_mov_b32 v14, 0 :: v_dual_and_b32 v9, 15, v132
	s_mov_b32 s3, 0
	s_mov_b32 s14, exec_lo
                                        ; implicit-def: $vgpr66
                                        ; implicit-def: $vgpr8
	v_cndmask_b32_e32 v15, v133, v9, vcc_lo
	s_delay_alu instid0(VALU_DEP_1)
	v_cmpx_ne_u32_e32 0, v15
; %bb.1167:                             ;   in Loop: Header=BB2_305 Depth=3
	v_cmp_lt_i32_e64 s13, 0, v144
	v_sub_nc_u32_e32 v9, v133, v9
	s_mov_b32 s3, exec_lo
	s_delay_alu instid0(VALU_DEP_2) | instskip(NEXT) | instid1(VALU_DEP_1)
	v_cndmask_b32_e64 v8, 0, v83, s13
	v_sub_nc_u32_e32 v8, v8, v144
	s_delay_alu instid0(VALU_DEP_1) | instskip(NEXT) | instid1(VALU_DEP_1)
	v_lshl_add_u32 v66, v8, 5, v135
	v_ashrrev_i32_e32 v8, 31, v66
	s_delay_alu instid0(VALU_DEP_1) | instskip(NEXT) | instid1(VALU_DEP_1)
	v_lshrrev_b32_e32 v8, 27, v8
	v_dual_cndmask_b32 v9, 0, v9 :: v_dual_add_nc_u32 v8, v66, v8
	s_delay_alu instid0(VALU_DEP_1) | instskip(NEXT) | instid1(VALU_DEP_2)
	v_add3_u32 v14, v134, v2, v9
	v_ashrrev_i32_e32 v8, 5, v8
; %bb.1168:                             ;   in Loop: Header=BB2_305 Depth=3
	s_or_b32 exec_lo, exec_lo, s14
	s_delay_alu instid0(SALU_CYCLE_1)
	s_and_b32 s3, s3, exec_lo
.LBB2_1169:                             ;   in Loop: Header=BB2_305 Depth=3
	s_or_b32 exec_lo, exec_lo, s30
.LBB2_1170:                             ;   in Loop: Header=BB2_305 Depth=3
	s_and_saveexec_b32 s14, s3
	s_cbranch_execz .LBB2_1398
; %bb.1171:                             ;   in Loop: Header=BB2_305 Depth=3
	s_delay_alu instid0(VALU_DEP_1) | instskip(SKIP_1) | instid1(VALU_DEP_1)
	v_ashrrev_i32_e32 v2, 31, v15
	s_mov_b32 s30, exec_lo
	v_lshrrev_b32_e32 v2, 24, v2
	s_delay_alu instid0(VALU_DEP_1) | instskip(NEXT) | instid1(VALU_DEP_1)
	v_add_nc_u32_e32 v2, v15, v2
	v_ashrrev_i32_e32 v67, 8, v2
	s_delay_alu instid0(VALU_DEP_1) | instskip(NEXT) | instid1(VALU_DEP_1)
	v_sub_nc_u32_e32 v2, v67, v8
	v_cmpx_lt_i32_e32 0, v2
	s_cbranch_execz .LBB2_1368
; %bb.1172:                             ;   in Loop: Header=BB2_305 Depth=3
	s_cbranch_execnz .LBB2_4608
; %bb.1173:                             ;   in Loop: Header=BB2_305 Depth=3
	v_ashrrev_i32_e32 v9, 31, v66
	ds_load_b64 v[68:69], v0
	v_lshlrev_b32_e32 v8, 8, v8
	s_mov_b32 s31, 0
	v_lshrrev_b32_e32 v9, 27, v9
	s_delay_alu instid0(VALU_DEP_1) | instskip(NEXT) | instid1(VALU_DEP_1)
	v_add_nc_u32_e32 v9, v66, v9
	v_and_b32_e32 v13, 0xffffffe0, v9
	ds_load_b128 v[9:12], v0
	v_sub_nc_u32_e32 v13, v66, v13
	s_waitcnt lgkmcnt(1)
	v_add_co_u32 v68, vcc_lo, 0xe0, v68
	v_add_co_ci_u32_e32 v69, vcc_lo, 0, v69, vcc_lo
	s_delay_alu instid0(VALU_DEP_3) | instskip(NEXT) | instid1(VALU_DEP_1)
	v_add3_u32 v13, v14, v13, v8
	v_ashrrev_i32_e32 v70, 31, v13
	s_waitcnt lgkmcnt(0)
	v_add_co_u32 v8, vcc_lo, v9, v13
	s_delay_alu instid0(VALU_DEP_2)
	v_add_co_ci_u32_e32 v9, vcc_lo, v10, v70, vcc_lo
	v_add_co_u32 v10, vcc_lo, v11, v13
	v_add_co_ci_u32_e32 v11, vcc_lo, v12, v70, vcc_lo
	v_add_co_u32 v12, vcc_lo, v68, v13
	v_add_co_ci_u32_e32 v13, vcc_lo, v69, v70, vcc_lo
	s_branch .LBB2_1177
.LBB2_1174:                             ;   in Loop: Header=BB2_1177 Depth=4
	s_or_b32 exec_lo, exec_lo, s13
	s_delay_alu instid0(VALU_DEP_1) | instskip(NEXT) | instid1(VALU_DEP_2)
	v_lshrrev_b32_e32 v132, 20, v132
	v_cmp_gt_i32_e32 vcc_lo, 16, v69
	v_lshrrev_b32_e32 v68, 24, v68
	v_min_i32_e32 v135, 15, v69
	s_delay_alu instid0(VALU_DEP_4) | instskip(NEXT) | instid1(VALU_DEP_3)
	v_cndmask_b32_e32 v132, 7, v132, vcc_lo
	v_and_b32_e32 v68, 0x80, v68
	s_delay_alu instid0(VALU_DEP_3) | instskip(NEXT) | instid1(VALU_DEP_3)
	v_lshlrev_b32_e32 v135, 3, v135
	v_and_b32_e32 v146, 7, v132
	v_or_b32_e32 v69, v69, v132
	s_delay_alu instid0(VALU_DEP_2) | instskip(NEXT) | instid1(VALU_DEP_2)
	v_or3_b32 v68, v135, v68, v146
	v_cmp_ne_u32_e32 vcc_lo, 0, v69
	s_delay_alu instid0(VALU_DEP_2)
	v_cndmask_b32_e32 v69, 0, v68, vcc_lo
.LBB2_1175:                             ;   in Loop: Header=BB2_1177 Depth=4
	s_or_b32 exec_lo, exec_lo, s24
.LBB2_1176:                             ;   in Loop: Header=BB2_1177 Depth=4
	s_delay_alu instid0(SALU_CYCLE_1)
	s_or_b32 exec_lo, exec_lo, s3
	v_add_co_u32 v148, vcc_lo, 0xffffff20, v12
	v_add_co_ci_u32_e32 v149, vcc_lo, -1, v13, vcc_lo
	v_add_co_u32 v150, vcc_lo, 0xffffff40, v12
	v_add_co_ci_u32_e32 v151, vcc_lo, -1, v13, vcc_lo
	v_add_co_u32 v132, vcc_lo, 0xffffff60, v12
	flat_store_b8 v[148:149], v70 glc slc dlc
	flat_store_b8 v[150:151], v133 glc slc dlc
	v_add_co_ci_u32_e32 v133, vcc_lo, -1, v13, vcc_lo
	v_add_co_u32 v148, vcc_lo, 0xffffff80, v12
	v_add_co_ci_u32_e32 v149, vcc_lo, -1, v13, vcc_lo
	v_add_co_u32 v150, vcc_lo, 0xffffffa0, v12
	;; [unrolled: 2-line block ×5, first 2 shown]
	v_sub_nc_u32_e32 v2, v2, v83
	v_add_co_ci_u32_e32 v9, vcc_lo, v9, v112, vcc_lo
	v_add_co_u32 v10, vcc_lo, v10, v103
	v_add_co_ci_u32_e32 v11, vcc_lo, v11, v112, vcc_lo
	flat_store_b8 v[132:133], v144 glc slc dlc
	flat_store_b8 v[148:149], v147 glc slc dlc
	;; [unrolled: 1-line block ×6, first 2 shown]
	v_cmp_gt_i32_e32 vcc_lo, 1, v2
	v_add_co_u32 v12, s13, v12, v103
	s_delay_alu instid0(VALU_DEP_1) | instskip(SKIP_1) | instid1(SALU_CYCLE_1)
	v_add_co_ci_u32_e64 v13, s13, v13, v112, s13
	s_or_b32 s31, vcc_lo, s31
	s_and_not1_b32 exec_lo, exec_lo, s31
	s_cbranch_execz .LBB2_1367
.LBB2_1177:                             ;   Parent Loop BB2_51 Depth=1
                                        ;     Parent Loop BB2_303 Depth=2
                                        ;       Parent Loop BB2_305 Depth=3
                                        ; =>      This Inner Loop Header: Depth=4
	s_clause 0x7
	flat_load_u8 v160, v[8:9] slc dlc
	flat_load_u8 v150, v[8:9] offset:32 slc dlc
	flat_load_u8 v149, v[8:9] offset:64 slc dlc
	;; [unrolled: 1-line block ×7, first 2 shown]
	s_clause 0x7
	flat_load_u8 v70, v[10:11] slc dlc
	flat_load_u8 v133, v[10:11] offset:32 slc dlc
	flat_load_u8 v144, v[10:11] offset:64 slc dlc
	;; [unrolled: 1-line block ×7, first 2 shown]
	s_mov_b32 s3, 0
	s_mov_b32 s24, exec_lo
                                        ; implicit-def: $sgpr13
	s_waitcnt vmcnt(15) lgkmcnt(15)
	v_cmpx_lt_i16_e64 0x7f, v160
	s_xor_b32 s24, exec_lo, s24
	s_cbranch_execnz .LBB2_1303
; %bb.1178:                             ;   in Loop: Header=BB2_1177 Depth=4
	s_or_saveexec_b32 s24, s24
	v_mov_b32_e32 v151, s13
	s_xor_b32 exec_lo, exec_lo, s24
	s_cbranch_execnz .LBB2_1306
.LBB2_1179:                             ;   in Loop: Header=BB2_1177 Depth=4
	s_or_b32 exec_lo, exec_lo, s24
	s_and_saveexec_b32 s13, s3
	s_cbranch_execz .LBB2_1181
.LBB2_1180:                             ;   in Loop: Header=BB2_1177 Depth=4
	v_and_b32_e32 v151, 0xffff, v160
	s_delay_alu instid0(VALU_DEP_1) | instskip(NEXT) | instid1(VALU_DEP_1)
	v_and_b32_e32 v161, 7, v151
	v_clz_i32_u32_e32 v162, v161
	s_delay_alu instid0(VALU_DEP_1) | instskip(NEXT) | instid1(VALU_DEP_1)
	v_min_u32_e32 v162, 32, v162
	v_subrev_nc_u32_e32 v163, 28, v162
	v_sub_nc_u32_e32 v162, 29, v162
	s_delay_alu instid0(VALU_DEP_2) | instskip(SKIP_1) | instid1(VALU_DEP_2)
	v_lshlrev_b32_e32 v163, v163, v151
	v_bfe_u32 v151, v151, 3, 4
	v_and_b32_e32 v163, 7, v163
	s_delay_alu instid0(VALU_DEP_2) | instskip(SKIP_1) | instid1(VALU_DEP_1)
	v_cmp_eq_u32_e32 vcc_lo, 0, v151
	v_dual_cndmask_b32 v151, v151, v162 :: v_dual_lshlrev_b32 v160, 24, v160
	v_dual_cndmask_b32 v161, v161, v163 :: v_dual_and_b32 v160, 0x80000000, v160
	s_delay_alu instid0(VALU_DEP_2) | instskip(NEXT) | instid1(VALU_DEP_2)
	v_lshl_add_u32 v151, v151, 23, 0x3b800000
	v_lshlrev_b32_e32 v161, 20, v161
	s_delay_alu instid0(VALU_DEP_1)
	v_or3_b32 v151, v160, v151, v161
.LBB2_1181:                             ;   in Loop: Header=BB2_1177 Depth=4
	s_or_b32 exec_lo, exec_lo, s13
	s_waitcnt vmcnt(7) lgkmcnt(7)
	v_and_b32_e32 v161, 0xff, v70
	s_mov_b32 s3, 0
	s_mov_b32 s24, exec_lo
                                        ; implicit-def: $sgpr13
	s_delay_alu instid0(VALU_DEP_1)
	v_cmpx_lt_i16_e64 0x7f, v161
	s_xor_b32 s24, exec_lo, s24
	s_cbranch_execnz .LBB2_1307
; %bb.1182:                             ;   in Loop: Header=BB2_1177 Depth=4
	s_or_saveexec_b32 s24, s24
	v_mov_b32_e32 v160, s13
	s_xor_b32 exec_lo, exec_lo, s24
	s_cbranch_execnz .LBB2_1310
.LBB2_1183:                             ;   in Loop: Header=BB2_1177 Depth=4
	s_or_b32 exec_lo, exec_lo, s24
	s_and_saveexec_b32 s13, s3
	s_cbranch_execz .LBB2_1185
.LBB2_1184:                             ;   in Loop: Header=BB2_1177 Depth=4
	v_lshrrev_b16 v163, 3, v70
	s_delay_alu instid0(VALU_DEP_1) | instskip(NEXT) | instid1(VALU_DEP_1)
	v_and_b32_e32 v163, 15, v163
	v_cmp_eq_u32_e32 vcc_lo, 0, v163
	v_and_b32_e32 v160, 7, v70
	s_delay_alu instid0(VALU_DEP_1) | instskip(NEXT) | instid1(VALU_DEP_1)
	v_clz_i32_u32_e32 v161, v160
	v_min_u32_e32 v161, 32, v161
	s_delay_alu instid0(VALU_DEP_1) | instskip(SKIP_1) | instid1(VALU_DEP_1)
	v_subrev_nc_u32_e32 v162, 28, v161
	v_sub_nc_u32_e32 v161, 29, v161
	v_dual_cndmask_b32 v161, v163, v161 :: v_dual_lshlrev_b32 v162, v162, v70
	v_lshlrev_b32_e32 v70, 24, v70
	s_delay_alu instid0(VALU_DEP_2) | instskip(NEXT) | instid1(VALU_DEP_3)
	v_and_b32_e32 v162, 7, v162
	v_lshl_add_u32 v161, v161, 23, 0x3b800000
	s_delay_alu instid0(VALU_DEP_3) | instskip(NEXT) | instid1(VALU_DEP_3)
	v_and_b32_e32 v70, 0x80000000, v70
	v_cndmask_b32_e32 v160, v160, v162, vcc_lo
	s_delay_alu instid0(VALU_DEP_1) | instskip(NEXT) | instid1(VALU_DEP_1)
	v_lshlrev_b32_e32 v160, 20, v160
	v_or3_b32 v160, v70, v161, v160
.LBB2_1185:                             ;   in Loop: Header=BB2_1177 Depth=4
	s_or_b32 exec_lo, exec_lo, s13
	s_delay_alu instid0(VALU_DEP_1) | instskip(NEXT) | instid1(VALU_DEP_1)
	v_add_f32_e32 v151, v151, v160
	v_and_b32_e32 v70, 0x7f800000, v151
	s_delay_alu instid0(VALU_DEP_1)
	v_cmp_ne_u32_e32 vcc_lo, 0x7f800000, v70
	v_mov_b32_e32 v70, 0x80
	s_and_saveexec_b32 s3, vcc_lo
	s_cbranch_execz .LBB2_1193
; %bb.1186:                             ;   in Loop: Header=BB2_1177 Depth=4
	v_mov_b32_e32 v70, 0
	s_mov_b32 s24, exec_lo
	v_cmpx_ne_u32_e32 0, v151
	s_cbranch_execz .LBB2_1192
; %bb.1187:                             ;   in Loop: Header=BB2_1177 Depth=4
	v_bfe_u32 v70, v151, 23, 8
	s_delay_alu instid0(VALU_DEP_1) | instskip(SKIP_1) | instid1(VALU_DEP_2)
	v_sub_nc_u32_e32 v161, 0x78, v70
	v_cmp_gt_u32_e32 vcc_lo, 0x79, v70
	v_dual_cndmask_b32 v161, 0, v161 :: v_dual_and_b32 v160, 0x7fffff, v151
	s_delay_alu instid0(VALU_DEP_1) | instskip(SKIP_2) | instid1(VALU_DEP_4)
	v_or_b32_e32 v162, 0x800000, v160
	v_cmp_eq_u32_e32 vcc_lo, 0, v70
	v_add_nc_u32_e32 v70, 0xffffff89, v70
	v_cndmask_b32_e64 v161, v161, 0x77, vcc_lo
	s_delay_alu instid0(VALU_DEP_2) | instskip(SKIP_1) | instid1(VALU_DEP_3)
	v_cndmask_b32_e64 v70, v70, 0xffffff8a, vcc_lo
	v_cndmask_b32_e32 v160, v162, v160, vcc_lo
	v_lshl_add_u32 v162, 0x100000, v161, -1
	v_lshlrev_b32_e64 v165, v161, 0x80000
	s_delay_alu instid0(VALU_DEP_3) | instskip(SKIP_1) | instid1(VALU_DEP_4)
	v_lshrrev_b32_e32 v163, v161, v160
	v_add_nc_u32_e32 v161, v161, v70
	v_and_b32_e32 v160, v162, v160
	s_delay_alu instid0(VALU_DEP_3) | instskip(NEXT) | instid1(VALU_DEP_2)
	v_bfe_u32 v164, v163, 20, 1
	v_cmp_eq_u32_e64 s13, v160, v165
	s_delay_alu instid0(VALU_DEP_2) | instskip(NEXT) | instid1(VALU_DEP_1)
	v_add_nc_u32_e32 v162, -1, v164
	v_cndmask_b32_e64 v160, 0, v162, s13
	v_lshrrev_b32_e32 v162, 23, v163
	s_mov_b32 s13, exec_lo
	s_delay_alu instid0(VALU_DEP_2) | instskip(NEXT) | instid1(VALU_DEP_2)
	v_add_nc_u32_e32 v160, v160, v163
	v_xor_b32_e32 v162, 1, v162
	s_delay_alu instid0(VALU_DEP_2) | instskip(NEXT) | instid1(VALU_DEP_1)
	v_and_b32_e32 v70, 0xfffff, v160
	v_add_nc_u32_e32 v160, v70, v163
                                        ; implicit-def: $vgpr70
	s_delay_alu instid0(VALU_DEP_3)
	v_cmpx_ne_u32_e64 v161, v162
	s_xor_b32 s13, exec_lo, s13
; %bb.1188:                             ;   in Loop: Header=BB2_1177 Depth=4
	s_delay_alu instid0(VALU_DEP_2) | instskip(SKIP_2) | instid1(VALU_DEP_2)
	v_cmp_lt_u32_e32 vcc_lo, 0xffffff, v160
	v_sub_nc_u32_e32 v70, v161, v162
	v_cndmask_b32_e64 v161, 0, 1, vcc_lo
	v_add_co_ci_u32_e32 v70, vcc_lo, 0, v70, vcc_lo
	s_delay_alu instid0(VALU_DEP_2)
	v_lshrrev_b32_e32 v160, v161, v160
; %bb.1189:                             ;   in Loop: Header=BB2_1177 Depth=4
	s_and_not1_saveexec_b32 s13, s13
; %bb.1190:                             ;   in Loop: Header=BB2_1177 Depth=4
	s_delay_alu instid0(VALU_DEP_1)
	v_bfe_u32 v70, v160, 23, 1
; %bb.1191:                             ;   in Loop: Header=BB2_1177 Depth=4
	s_or_b32 exec_lo, exec_lo, s13
	v_lshrrev_b32_e32 v160, 20, v160
	s_delay_alu instid0(VALU_DEP_2) | instskip(SKIP_2) | instid1(VALU_DEP_2)
	v_cmp_gt_i32_e32 vcc_lo, 16, v70
	v_lshrrev_b32_e32 v151, 24, v151
	v_min_i32_e32 v161, 15, v70
	v_dual_cndmask_b32 v160, 7, v160 :: v_dual_and_b32 v151, 0x80, v151
	s_delay_alu instid0(VALU_DEP_1) | instskip(SKIP_1) | instid1(VALU_DEP_2)
	v_or_b32_e32 v70, v70, v160
	v_and_b32_e32 v162, 7, v160
	v_cmp_ne_u32_e32 vcc_lo, 0, v70
	v_lshlrev_b32_e32 v161, 3, v161
	s_delay_alu instid0(VALU_DEP_1) | instskip(NEXT) | instid1(VALU_DEP_1)
	v_or3_b32 v151, v161, v151, v162
	v_cndmask_b32_e32 v70, 0, v151, vcc_lo
.LBB2_1192:                             ;   in Loop: Header=BB2_1177 Depth=4
	s_or_b32 exec_lo, exec_lo, s24
.LBB2_1193:                             ;   in Loop: Header=BB2_1177 Depth=4
	s_delay_alu instid0(SALU_CYCLE_1) | instskip(SKIP_3) | instid1(VALU_DEP_1)
	s_or_b32 exec_lo, exec_lo, s3
	v_and_b32_e32 v160, 0xff, v150
	s_mov_b32 s3, 0
	s_mov_b32 s24, exec_lo
                                        ; implicit-def: $sgpr13
	v_cmpx_lt_i16_e64 0x7f, v160
	s_xor_b32 s24, exec_lo, s24
	s_cbranch_execnz .LBB2_1311
; %bb.1194:                             ;   in Loop: Header=BB2_1177 Depth=4
	s_or_saveexec_b32 s24, s24
	v_mov_b32_e32 v151, s13
	s_xor_b32 exec_lo, exec_lo, s24
	s_cbranch_execnz .LBB2_1314
.LBB2_1195:                             ;   in Loop: Header=BB2_1177 Depth=4
	s_or_b32 exec_lo, exec_lo, s24
	s_and_saveexec_b32 s13, s3
	s_cbranch_execz .LBB2_1197
.LBB2_1196:                             ;   in Loop: Header=BB2_1177 Depth=4
	v_lshrrev_b16 v162, 3, v150
	s_delay_alu instid0(VALU_DEP_1) | instskip(NEXT) | instid1(VALU_DEP_1)
	v_and_b32_e32 v162, 15, v162
	v_cmp_eq_u32_e32 vcc_lo, 0, v162
	v_and_b32_e32 v151, 7, v150
	s_delay_alu instid0(VALU_DEP_1) | instskip(NEXT) | instid1(VALU_DEP_1)
	v_clz_i32_u32_e32 v160, v151
	v_min_u32_e32 v160, 32, v160
	s_delay_alu instid0(VALU_DEP_1) | instskip(SKIP_1) | instid1(VALU_DEP_1)
	v_subrev_nc_u32_e32 v161, 28, v160
	v_sub_nc_u32_e32 v160, 29, v160
	v_dual_cndmask_b32 v160, v162, v160 :: v_dual_lshlrev_b32 v161, v161, v150
	v_lshlrev_b32_e32 v150, 24, v150
	s_delay_alu instid0(VALU_DEP_2) | instskip(NEXT) | instid1(VALU_DEP_3)
	v_and_b32_e32 v161, 7, v161
	v_lshl_add_u32 v160, v160, 23, 0x3b800000
	s_delay_alu instid0(VALU_DEP_2) | instskip(NEXT) | instid1(VALU_DEP_1)
	v_dual_cndmask_b32 v151, v151, v161 :: v_dual_and_b32 v150, 0x80000000, v150
	v_lshlrev_b32_e32 v151, 20, v151
	s_delay_alu instid0(VALU_DEP_1)
	v_or3_b32 v151, v150, v160, v151
.LBB2_1197:                             ;   in Loop: Header=BB2_1177 Depth=4
	s_or_b32 exec_lo, exec_lo, s13
	s_waitcnt vmcnt(6) lgkmcnt(6)
	v_and_b32_e32 v160, 0xff, v133
	s_mov_b32 s3, 0
	s_mov_b32 s24, exec_lo
                                        ; implicit-def: $sgpr13
	s_delay_alu instid0(VALU_DEP_1)
	v_cmpx_lt_i16_e64 0x7f, v160
	s_xor_b32 s24, exec_lo, s24
	s_cbranch_execnz .LBB2_1315
; %bb.1198:                             ;   in Loop: Header=BB2_1177 Depth=4
	s_or_saveexec_b32 s24, s24
	v_mov_b32_e32 v150, s13
	s_xor_b32 exec_lo, exec_lo, s24
	s_cbranch_execnz .LBB2_1318
.LBB2_1199:                             ;   in Loop: Header=BB2_1177 Depth=4
	s_or_b32 exec_lo, exec_lo, s24
	s_and_saveexec_b32 s13, s3
	s_cbranch_execz .LBB2_1201
.LBB2_1200:                             ;   in Loop: Header=BB2_1177 Depth=4
	v_and_b32_e32 v150, 7, v133
	v_lshrrev_b16 v162, 3, v133
	s_delay_alu instid0(VALU_DEP_2) | instskip(NEXT) | instid1(VALU_DEP_2)
	v_clz_i32_u32_e32 v160, v150
	v_and_b32_e32 v162, 15, v162
	s_delay_alu instid0(VALU_DEP_2) | instskip(NEXT) | instid1(VALU_DEP_2)
	v_min_u32_e32 v160, 32, v160
	v_cmp_eq_u32_e32 vcc_lo, 0, v162
	s_delay_alu instid0(VALU_DEP_2) | instskip(SKIP_1) | instid1(VALU_DEP_1)
	v_subrev_nc_u32_e32 v161, 28, v160
	v_sub_nc_u32_e32 v160, 29, v160
	v_dual_cndmask_b32 v160, v162, v160 :: v_dual_lshlrev_b32 v161, v161, v133
	v_lshlrev_b32_e32 v133, 24, v133
	s_delay_alu instid0(VALU_DEP_2) | instskip(NEXT) | instid1(VALU_DEP_3)
	v_and_b32_e32 v161, 7, v161
	v_lshl_add_u32 v160, v160, 23, 0x3b800000
	s_delay_alu instid0(VALU_DEP_3) | instskip(NEXT) | instid1(VALU_DEP_3)
	v_and_b32_e32 v133, 0x80000000, v133
	v_cndmask_b32_e32 v150, v150, v161, vcc_lo
	s_delay_alu instid0(VALU_DEP_1) | instskip(NEXT) | instid1(VALU_DEP_1)
	v_lshlrev_b32_e32 v150, 20, v150
	v_or3_b32 v150, v133, v160, v150
.LBB2_1201:                             ;   in Loop: Header=BB2_1177 Depth=4
	s_or_b32 exec_lo, exec_lo, s13
	s_delay_alu instid0(VALU_DEP_1) | instskip(NEXT) | instid1(VALU_DEP_1)
	v_add_f32_e32 v150, v151, v150
	v_and_b32_e32 v133, 0x7f800000, v150
	s_delay_alu instid0(VALU_DEP_1)
	v_cmp_ne_u32_e32 vcc_lo, 0x7f800000, v133
	v_mov_b32_e32 v133, 0x80
	s_and_saveexec_b32 s3, vcc_lo
	s_cbranch_execz .LBB2_1209
; %bb.1202:                             ;   in Loop: Header=BB2_1177 Depth=4
	v_mov_b32_e32 v133, 0
	s_mov_b32 s24, exec_lo
	v_cmpx_ne_u32_e32 0, v150
	s_cbranch_execz .LBB2_1208
; %bb.1203:                             ;   in Loop: Header=BB2_1177 Depth=4
	v_bfe_u32 v133, v150, 23, 8
	s_delay_alu instid0(VALU_DEP_1) | instskip(SKIP_1) | instid1(VALU_DEP_2)
	v_sub_nc_u32_e32 v160, 0x78, v133
	v_cmp_gt_u32_e32 vcc_lo, 0x79, v133
	v_dual_cndmask_b32 v160, 0, v160 :: v_dual_and_b32 v151, 0x7fffff, v150
	s_delay_alu instid0(VALU_DEP_1) | instskip(SKIP_2) | instid1(VALU_DEP_4)
	v_or_b32_e32 v161, 0x800000, v151
	v_cmp_eq_u32_e32 vcc_lo, 0, v133
	v_add_nc_u32_e32 v133, 0xffffff89, v133
	v_cndmask_b32_e64 v160, v160, 0x77, vcc_lo
	s_delay_alu instid0(VALU_DEP_2) | instskip(SKIP_1) | instid1(VALU_DEP_3)
	v_cndmask_b32_e64 v133, v133, 0xffffff8a, vcc_lo
	v_cndmask_b32_e32 v151, v161, v151, vcc_lo
	v_lshl_add_u32 v161, 0x100000, v160, -1
	v_lshlrev_b32_e64 v164, v160, 0x80000
	s_delay_alu instid0(VALU_DEP_3) | instskip(SKIP_1) | instid1(VALU_DEP_4)
	v_lshrrev_b32_e32 v162, v160, v151
	v_add_nc_u32_e32 v160, v160, v133
	v_and_b32_e32 v151, v161, v151
	s_delay_alu instid0(VALU_DEP_3) | instskip(NEXT) | instid1(VALU_DEP_2)
	v_bfe_u32 v163, v162, 20, 1
	v_cmp_eq_u32_e64 s13, v151, v164
	s_delay_alu instid0(VALU_DEP_2) | instskip(NEXT) | instid1(VALU_DEP_1)
	v_add_nc_u32_e32 v161, -1, v163
	v_cndmask_b32_e64 v151, 0, v161, s13
	v_lshrrev_b32_e32 v161, 23, v162
	s_mov_b32 s13, exec_lo
	s_delay_alu instid0(VALU_DEP_2) | instskip(NEXT) | instid1(VALU_DEP_2)
	v_add_nc_u32_e32 v151, v151, v162
	v_xor_b32_e32 v161, 1, v161
	s_delay_alu instid0(VALU_DEP_2) | instskip(NEXT) | instid1(VALU_DEP_1)
	v_and_b32_e32 v133, 0xfffff, v151
	v_add_nc_u32_e32 v151, v133, v162
                                        ; implicit-def: $vgpr133
	s_delay_alu instid0(VALU_DEP_3)
	v_cmpx_ne_u32_e64 v160, v161
	s_xor_b32 s13, exec_lo, s13
; %bb.1204:                             ;   in Loop: Header=BB2_1177 Depth=4
	s_delay_alu instid0(VALU_DEP_2) | instskip(SKIP_2) | instid1(VALU_DEP_2)
	v_cmp_lt_u32_e32 vcc_lo, 0xffffff, v151
	v_sub_nc_u32_e32 v133, v160, v161
	v_cndmask_b32_e64 v160, 0, 1, vcc_lo
	v_add_co_ci_u32_e32 v133, vcc_lo, 0, v133, vcc_lo
	s_delay_alu instid0(VALU_DEP_2)
	v_lshrrev_b32_e32 v151, v160, v151
; %bb.1205:                             ;   in Loop: Header=BB2_1177 Depth=4
	s_and_not1_saveexec_b32 s13, s13
; %bb.1206:                             ;   in Loop: Header=BB2_1177 Depth=4
	s_delay_alu instid0(VALU_DEP_1)
	v_bfe_u32 v133, v151, 23, 1
; %bb.1207:                             ;   in Loop: Header=BB2_1177 Depth=4
	s_or_b32 exec_lo, exec_lo, s13
	v_lshrrev_b32_e32 v151, 20, v151
	s_delay_alu instid0(VALU_DEP_2) | instskip(SKIP_2) | instid1(VALU_DEP_2)
	v_cmp_gt_i32_e32 vcc_lo, 16, v133
	v_lshrrev_b32_e32 v150, 24, v150
	v_min_i32_e32 v160, 15, v133
	v_dual_cndmask_b32 v151, 7, v151 :: v_dual_and_b32 v150, 0x80, v150
	s_delay_alu instid0(VALU_DEP_1) | instskip(SKIP_1) | instid1(VALU_DEP_2)
	v_or_b32_e32 v133, v133, v151
	v_and_b32_e32 v161, 7, v151
	v_cmp_ne_u32_e32 vcc_lo, 0, v133
	v_lshlrev_b32_e32 v160, 3, v160
	s_delay_alu instid0(VALU_DEP_1) | instskip(NEXT) | instid1(VALU_DEP_1)
	v_or3_b32 v150, v160, v150, v161
	v_cndmask_b32_e32 v133, 0, v150, vcc_lo
.LBB2_1208:                             ;   in Loop: Header=BB2_1177 Depth=4
	s_or_b32 exec_lo, exec_lo, s24
.LBB2_1209:                             ;   in Loop: Header=BB2_1177 Depth=4
	s_delay_alu instid0(SALU_CYCLE_1) | instskip(SKIP_3) | instid1(VALU_DEP_1)
	s_or_b32 exec_lo, exec_lo, s3
	v_and_b32_e32 v151, 0xff, v149
	s_mov_b32 s3, 0
	s_mov_b32 s24, exec_lo
                                        ; implicit-def: $sgpr13
	v_cmpx_lt_i16_e64 0x7f, v151
	s_xor_b32 s24, exec_lo, s24
	s_cbranch_execnz .LBB2_1319
; %bb.1210:                             ;   in Loop: Header=BB2_1177 Depth=4
	s_or_saveexec_b32 s24, s24
	v_mov_b32_e32 v150, s13
	s_xor_b32 exec_lo, exec_lo, s24
	s_cbranch_execnz .LBB2_1322
.LBB2_1211:                             ;   in Loop: Header=BB2_1177 Depth=4
	s_or_b32 exec_lo, exec_lo, s24
	s_and_saveexec_b32 s13, s3
	s_cbranch_execz .LBB2_1213
.LBB2_1212:                             ;   in Loop: Header=BB2_1177 Depth=4
	v_lshrrev_b16 v161, 3, v149
	s_delay_alu instid0(VALU_DEP_1) | instskip(NEXT) | instid1(VALU_DEP_1)
	v_and_b32_e32 v161, 15, v161
	v_cmp_eq_u32_e32 vcc_lo, 0, v161
	v_and_b32_e32 v150, 7, v149
	s_delay_alu instid0(VALU_DEP_1) | instskip(NEXT) | instid1(VALU_DEP_1)
	v_clz_i32_u32_e32 v151, v150
	v_min_u32_e32 v151, 32, v151
	s_delay_alu instid0(VALU_DEP_1) | instskip(SKIP_1) | instid1(VALU_DEP_1)
	v_subrev_nc_u32_e32 v160, 28, v151
	v_sub_nc_u32_e32 v151, 29, v151
	v_dual_cndmask_b32 v151, v161, v151 :: v_dual_lshlrev_b32 v160, v160, v149
	v_lshlrev_b32_e32 v149, 24, v149
	s_delay_alu instid0(VALU_DEP_2) | instskip(NEXT) | instid1(VALU_DEP_3)
	v_and_b32_e32 v160, 7, v160
	v_lshl_add_u32 v151, v151, 23, 0x3b800000
	s_delay_alu instid0(VALU_DEP_2) | instskip(NEXT) | instid1(VALU_DEP_1)
	v_dual_cndmask_b32 v150, v150, v160 :: v_dual_and_b32 v149, 0x80000000, v149
	v_lshlrev_b32_e32 v150, 20, v150
	s_delay_alu instid0(VALU_DEP_1)
	v_or3_b32 v150, v149, v151, v150
.LBB2_1213:                             ;   in Loop: Header=BB2_1177 Depth=4
	s_or_b32 exec_lo, exec_lo, s13
	s_waitcnt vmcnt(5) lgkmcnt(5)
	v_and_b32_e32 v151, 0xff, v144
	s_mov_b32 s3, 0
	s_mov_b32 s24, exec_lo
                                        ; implicit-def: $sgpr13
	s_delay_alu instid0(VALU_DEP_1)
	v_cmpx_lt_i16_e64 0x7f, v151
	s_xor_b32 s24, exec_lo, s24
	s_cbranch_execnz .LBB2_1323
; %bb.1214:                             ;   in Loop: Header=BB2_1177 Depth=4
	s_or_saveexec_b32 s24, s24
	v_mov_b32_e32 v149, s13
	s_xor_b32 exec_lo, exec_lo, s24
	s_cbranch_execnz .LBB2_1326
.LBB2_1215:                             ;   in Loop: Header=BB2_1177 Depth=4
	s_or_b32 exec_lo, exec_lo, s24
	s_and_saveexec_b32 s13, s3
	s_cbranch_execz .LBB2_1217
.LBB2_1216:                             ;   in Loop: Header=BB2_1177 Depth=4
	v_and_b32_e32 v149, 7, v144
	v_lshrrev_b16 v161, 3, v144
	s_delay_alu instid0(VALU_DEP_2) | instskip(NEXT) | instid1(VALU_DEP_2)
	v_clz_i32_u32_e32 v151, v149
	v_and_b32_e32 v161, 15, v161
	s_delay_alu instid0(VALU_DEP_2) | instskip(NEXT) | instid1(VALU_DEP_2)
	v_min_u32_e32 v151, 32, v151
	v_cmp_eq_u32_e32 vcc_lo, 0, v161
	s_delay_alu instid0(VALU_DEP_2) | instskip(SKIP_1) | instid1(VALU_DEP_1)
	v_subrev_nc_u32_e32 v160, 28, v151
	v_sub_nc_u32_e32 v151, 29, v151
	v_dual_cndmask_b32 v151, v161, v151 :: v_dual_lshlrev_b32 v160, v160, v144
	v_lshlrev_b32_e32 v144, 24, v144
	s_delay_alu instid0(VALU_DEP_2) | instskip(NEXT) | instid1(VALU_DEP_3)
	v_and_b32_e32 v160, 7, v160
	v_lshl_add_u32 v151, v151, 23, 0x3b800000
	s_delay_alu instid0(VALU_DEP_3) | instskip(NEXT) | instid1(VALU_DEP_3)
	v_and_b32_e32 v144, 0x80000000, v144
	v_cndmask_b32_e32 v149, v149, v160, vcc_lo
	s_delay_alu instid0(VALU_DEP_1) | instskip(NEXT) | instid1(VALU_DEP_1)
	v_lshlrev_b32_e32 v149, 20, v149
	v_or3_b32 v149, v144, v151, v149
.LBB2_1217:                             ;   in Loop: Header=BB2_1177 Depth=4
	s_or_b32 exec_lo, exec_lo, s13
	s_delay_alu instid0(VALU_DEP_1) | instskip(NEXT) | instid1(VALU_DEP_1)
	v_add_f32_e32 v149, v150, v149
	v_and_b32_e32 v144, 0x7f800000, v149
	s_delay_alu instid0(VALU_DEP_1)
	v_cmp_ne_u32_e32 vcc_lo, 0x7f800000, v144
	v_mov_b32_e32 v144, 0x80
	s_and_saveexec_b32 s3, vcc_lo
	s_cbranch_execz .LBB2_1225
; %bb.1218:                             ;   in Loop: Header=BB2_1177 Depth=4
	v_mov_b32_e32 v144, 0
	s_mov_b32 s24, exec_lo
	v_cmpx_ne_u32_e32 0, v149
	s_cbranch_execz .LBB2_1224
; %bb.1219:                             ;   in Loop: Header=BB2_1177 Depth=4
	v_bfe_u32 v144, v149, 23, 8
	s_delay_alu instid0(VALU_DEP_1) | instskip(SKIP_1) | instid1(VALU_DEP_2)
	v_sub_nc_u32_e32 v151, 0x78, v144
	v_cmp_gt_u32_e32 vcc_lo, 0x79, v144
	v_dual_cndmask_b32 v151, 0, v151 :: v_dual_and_b32 v150, 0x7fffff, v149
	s_delay_alu instid0(VALU_DEP_1) | instskip(SKIP_2) | instid1(VALU_DEP_4)
	v_or_b32_e32 v160, 0x800000, v150
	v_cmp_eq_u32_e32 vcc_lo, 0, v144
	v_add_nc_u32_e32 v144, 0xffffff89, v144
	v_cndmask_b32_e64 v151, v151, 0x77, vcc_lo
	s_delay_alu instid0(VALU_DEP_2) | instskip(SKIP_1) | instid1(VALU_DEP_3)
	v_cndmask_b32_e64 v144, v144, 0xffffff8a, vcc_lo
	v_cndmask_b32_e32 v150, v160, v150, vcc_lo
	v_lshl_add_u32 v160, 0x100000, v151, -1
	v_lshlrev_b32_e64 v163, v151, 0x80000
	s_delay_alu instid0(VALU_DEP_3) | instskip(SKIP_1) | instid1(VALU_DEP_4)
	v_lshrrev_b32_e32 v161, v151, v150
	v_add_nc_u32_e32 v151, v151, v144
	v_and_b32_e32 v150, v160, v150
	s_delay_alu instid0(VALU_DEP_3) | instskip(NEXT) | instid1(VALU_DEP_2)
	v_bfe_u32 v162, v161, 20, 1
	v_cmp_eq_u32_e64 s13, v150, v163
	s_delay_alu instid0(VALU_DEP_2) | instskip(NEXT) | instid1(VALU_DEP_1)
	v_add_nc_u32_e32 v160, -1, v162
	v_cndmask_b32_e64 v150, 0, v160, s13
	v_lshrrev_b32_e32 v160, 23, v161
	s_mov_b32 s13, exec_lo
	s_delay_alu instid0(VALU_DEP_2) | instskip(NEXT) | instid1(VALU_DEP_2)
	v_add_nc_u32_e32 v150, v150, v161
	v_xor_b32_e32 v160, 1, v160
	s_delay_alu instid0(VALU_DEP_2) | instskip(NEXT) | instid1(VALU_DEP_1)
	v_and_b32_e32 v144, 0xfffff, v150
	v_add_nc_u32_e32 v150, v144, v161
                                        ; implicit-def: $vgpr144
	s_delay_alu instid0(VALU_DEP_3)
	v_cmpx_ne_u32_e64 v151, v160
	s_xor_b32 s13, exec_lo, s13
; %bb.1220:                             ;   in Loop: Header=BB2_1177 Depth=4
	s_delay_alu instid0(VALU_DEP_2) | instskip(SKIP_2) | instid1(VALU_DEP_2)
	v_cmp_lt_u32_e32 vcc_lo, 0xffffff, v150
	v_sub_nc_u32_e32 v144, v151, v160
	v_cndmask_b32_e64 v151, 0, 1, vcc_lo
	v_add_co_ci_u32_e32 v144, vcc_lo, 0, v144, vcc_lo
	s_delay_alu instid0(VALU_DEP_2)
	v_lshrrev_b32_e32 v150, v151, v150
; %bb.1221:                             ;   in Loop: Header=BB2_1177 Depth=4
	s_and_not1_saveexec_b32 s13, s13
; %bb.1222:                             ;   in Loop: Header=BB2_1177 Depth=4
	s_delay_alu instid0(VALU_DEP_1)
	v_bfe_u32 v144, v150, 23, 1
; %bb.1223:                             ;   in Loop: Header=BB2_1177 Depth=4
	s_or_b32 exec_lo, exec_lo, s13
	v_lshrrev_b32_e32 v150, 20, v150
	s_delay_alu instid0(VALU_DEP_2) | instskip(SKIP_2) | instid1(VALU_DEP_2)
	v_cmp_gt_i32_e32 vcc_lo, 16, v144
	v_lshrrev_b32_e32 v149, 24, v149
	v_min_i32_e32 v151, 15, v144
	v_dual_cndmask_b32 v150, 7, v150 :: v_dual_and_b32 v149, 0x80, v149
	s_delay_alu instid0(VALU_DEP_1) | instskip(SKIP_1) | instid1(VALU_DEP_2)
	v_or_b32_e32 v144, v144, v150
	v_and_b32_e32 v160, 7, v150
	v_cmp_ne_u32_e32 vcc_lo, 0, v144
	v_lshlrev_b32_e32 v151, 3, v151
	s_delay_alu instid0(VALU_DEP_1) | instskip(NEXT) | instid1(VALU_DEP_1)
	v_or3_b32 v149, v151, v149, v160
	v_cndmask_b32_e32 v144, 0, v149, vcc_lo
.LBB2_1224:                             ;   in Loop: Header=BB2_1177 Depth=4
	s_or_b32 exec_lo, exec_lo, s24
.LBB2_1225:                             ;   in Loop: Header=BB2_1177 Depth=4
	s_delay_alu instid0(SALU_CYCLE_1) | instskip(SKIP_3) | instid1(VALU_DEP_1)
	s_or_b32 exec_lo, exec_lo, s3
	v_and_b32_e32 v150, 0xff, v148
	s_mov_b32 s3, 0
	s_mov_b32 s24, exec_lo
                                        ; implicit-def: $sgpr13
	v_cmpx_lt_i16_e64 0x7f, v150
	s_xor_b32 s24, exec_lo, s24
	s_cbranch_execnz .LBB2_1327
; %bb.1226:                             ;   in Loop: Header=BB2_1177 Depth=4
	s_or_saveexec_b32 s24, s24
	v_mov_b32_e32 v149, s13
	s_xor_b32 exec_lo, exec_lo, s24
	s_cbranch_execnz .LBB2_1330
.LBB2_1227:                             ;   in Loop: Header=BB2_1177 Depth=4
	s_or_b32 exec_lo, exec_lo, s24
	s_and_saveexec_b32 s13, s3
	s_cbranch_execz .LBB2_1229
.LBB2_1228:                             ;   in Loop: Header=BB2_1177 Depth=4
	v_lshrrev_b16 v160, 3, v148
	s_delay_alu instid0(VALU_DEP_1) | instskip(NEXT) | instid1(VALU_DEP_1)
	v_and_b32_e32 v160, 15, v160
	v_cmp_eq_u32_e32 vcc_lo, 0, v160
	v_and_b32_e32 v149, 7, v148
	s_delay_alu instid0(VALU_DEP_1) | instskip(NEXT) | instid1(VALU_DEP_1)
	v_clz_i32_u32_e32 v150, v149
	v_min_u32_e32 v150, 32, v150
	s_delay_alu instid0(VALU_DEP_1) | instskip(SKIP_1) | instid1(VALU_DEP_1)
	v_subrev_nc_u32_e32 v151, 28, v150
	v_sub_nc_u32_e32 v150, 29, v150
	v_dual_cndmask_b32 v150, v160, v150 :: v_dual_lshlrev_b32 v151, v151, v148
	v_lshlrev_b32_e32 v148, 24, v148
	s_delay_alu instid0(VALU_DEP_2) | instskip(NEXT) | instid1(VALU_DEP_3)
	v_and_b32_e32 v151, 7, v151
	v_lshl_add_u32 v150, v150, 23, 0x3b800000
	s_delay_alu instid0(VALU_DEP_2) | instskip(NEXT) | instid1(VALU_DEP_1)
	v_dual_cndmask_b32 v149, v149, v151 :: v_dual_and_b32 v148, 0x80000000, v148
	v_lshlrev_b32_e32 v149, 20, v149
	s_delay_alu instid0(VALU_DEP_1)
	v_or3_b32 v149, v148, v150, v149
.LBB2_1229:                             ;   in Loop: Header=BB2_1177 Depth=4
	s_or_b32 exec_lo, exec_lo, s13
	s_waitcnt vmcnt(4) lgkmcnt(4)
	v_and_b32_e32 v150, 0xff, v147
	s_mov_b32 s3, 0
	s_mov_b32 s24, exec_lo
                                        ; implicit-def: $sgpr13
	s_delay_alu instid0(VALU_DEP_1)
	v_cmpx_lt_i16_e64 0x7f, v150
	s_xor_b32 s24, exec_lo, s24
	s_cbranch_execnz .LBB2_1331
; %bb.1230:                             ;   in Loop: Header=BB2_1177 Depth=4
	s_or_saveexec_b32 s24, s24
	v_mov_b32_e32 v148, s13
	s_xor_b32 exec_lo, exec_lo, s24
	s_cbranch_execnz .LBB2_1334
.LBB2_1231:                             ;   in Loop: Header=BB2_1177 Depth=4
	s_or_b32 exec_lo, exec_lo, s24
	s_and_saveexec_b32 s13, s3
	s_cbranch_execz .LBB2_1233
.LBB2_1232:                             ;   in Loop: Header=BB2_1177 Depth=4
	v_and_b32_e32 v148, 7, v147
	v_lshrrev_b16 v160, 3, v147
	s_delay_alu instid0(VALU_DEP_2) | instskip(NEXT) | instid1(VALU_DEP_2)
	v_clz_i32_u32_e32 v150, v148
	v_and_b32_e32 v160, 15, v160
	s_delay_alu instid0(VALU_DEP_2) | instskip(NEXT) | instid1(VALU_DEP_2)
	v_min_u32_e32 v150, 32, v150
	v_cmp_eq_u32_e32 vcc_lo, 0, v160
	s_delay_alu instid0(VALU_DEP_2) | instskip(SKIP_1) | instid1(VALU_DEP_1)
	v_subrev_nc_u32_e32 v151, 28, v150
	v_sub_nc_u32_e32 v150, 29, v150
	v_dual_cndmask_b32 v150, v160, v150 :: v_dual_lshlrev_b32 v151, v151, v147
	v_lshlrev_b32_e32 v147, 24, v147
	s_delay_alu instid0(VALU_DEP_2) | instskip(NEXT) | instid1(VALU_DEP_3)
	v_and_b32_e32 v151, 7, v151
	v_lshl_add_u32 v150, v150, 23, 0x3b800000
	s_delay_alu instid0(VALU_DEP_3) | instskip(NEXT) | instid1(VALU_DEP_3)
	v_and_b32_e32 v147, 0x80000000, v147
	v_cndmask_b32_e32 v148, v148, v151, vcc_lo
	s_delay_alu instid0(VALU_DEP_1) | instskip(NEXT) | instid1(VALU_DEP_1)
	v_lshlrev_b32_e32 v148, 20, v148
	v_or3_b32 v148, v147, v150, v148
.LBB2_1233:                             ;   in Loop: Header=BB2_1177 Depth=4
	s_or_b32 exec_lo, exec_lo, s13
	s_delay_alu instid0(VALU_DEP_1) | instskip(NEXT) | instid1(VALU_DEP_1)
	v_add_f32_e32 v148, v149, v148
	v_and_b32_e32 v147, 0x7f800000, v148
	s_delay_alu instid0(VALU_DEP_1)
	v_cmp_ne_u32_e32 vcc_lo, 0x7f800000, v147
	v_mov_b32_e32 v147, 0x80
	s_and_saveexec_b32 s3, vcc_lo
	s_cbranch_execz .LBB2_1241
; %bb.1234:                             ;   in Loop: Header=BB2_1177 Depth=4
	v_mov_b32_e32 v147, 0
	s_mov_b32 s24, exec_lo
	v_cmpx_ne_u32_e32 0, v148
	s_cbranch_execz .LBB2_1240
; %bb.1235:                             ;   in Loop: Header=BB2_1177 Depth=4
	v_bfe_u32 v147, v148, 23, 8
	s_delay_alu instid0(VALU_DEP_1) | instskip(SKIP_1) | instid1(VALU_DEP_2)
	v_sub_nc_u32_e32 v150, 0x78, v147
	v_cmp_gt_u32_e32 vcc_lo, 0x79, v147
	v_dual_cndmask_b32 v150, 0, v150 :: v_dual_and_b32 v149, 0x7fffff, v148
	s_delay_alu instid0(VALU_DEP_1) | instskip(SKIP_2) | instid1(VALU_DEP_4)
	v_or_b32_e32 v151, 0x800000, v149
	v_cmp_eq_u32_e32 vcc_lo, 0, v147
	v_add_nc_u32_e32 v147, 0xffffff89, v147
	v_cndmask_b32_e64 v150, v150, 0x77, vcc_lo
	s_delay_alu instid0(VALU_DEP_2) | instskip(SKIP_1) | instid1(VALU_DEP_3)
	v_cndmask_b32_e64 v147, v147, 0xffffff8a, vcc_lo
	v_cndmask_b32_e32 v149, v151, v149, vcc_lo
	v_lshl_add_u32 v151, 0x100000, v150, -1
	v_lshlrev_b32_e64 v162, v150, 0x80000
	s_delay_alu instid0(VALU_DEP_3) | instskip(SKIP_1) | instid1(VALU_DEP_4)
	v_lshrrev_b32_e32 v160, v150, v149
	v_add_nc_u32_e32 v150, v150, v147
	v_and_b32_e32 v149, v151, v149
	s_delay_alu instid0(VALU_DEP_3) | instskip(NEXT) | instid1(VALU_DEP_2)
	v_bfe_u32 v161, v160, 20, 1
	v_cmp_eq_u32_e64 s13, v149, v162
	s_delay_alu instid0(VALU_DEP_2) | instskip(NEXT) | instid1(VALU_DEP_1)
	v_add_nc_u32_e32 v151, -1, v161
	v_cndmask_b32_e64 v149, 0, v151, s13
	v_lshrrev_b32_e32 v151, 23, v160
	s_mov_b32 s13, exec_lo
	s_delay_alu instid0(VALU_DEP_2) | instskip(NEXT) | instid1(VALU_DEP_2)
	v_add_nc_u32_e32 v149, v149, v160
	v_xor_b32_e32 v151, 1, v151
	s_delay_alu instid0(VALU_DEP_2) | instskip(NEXT) | instid1(VALU_DEP_1)
	v_and_b32_e32 v147, 0xfffff, v149
	v_add_nc_u32_e32 v149, v147, v160
                                        ; implicit-def: $vgpr147
	s_delay_alu instid0(VALU_DEP_3)
	v_cmpx_ne_u32_e64 v150, v151
	s_xor_b32 s13, exec_lo, s13
; %bb.1236:                             ;   in Loop: Header=BB2_1177 Depth=4
	s_delay_alu instid0(VALU_DEP_2) | instskip(SKIP_2) | instid1(VALU_DEP_2)
	v_cmp_lt_u32_e32 vcc_lo, 0xffffff, v149
	v_sub_nc_u32_e32 v147, v150, v151
	v_cndmask_b32_e64 v150, 0, 1, vcc_lo
	v_add_co_ci_u32_e32 v147, vcc_lo, 0, v147, vcc_lo
	s_delay_alu instid0(VALU_DEP_2)
	v_lshrrev_b32_e32 v149, v150, v149
; %bb.1237:                             ;   in Loop: Header=BB2_1177 Depth=4
	s_and_not1_saveexec_b32 s13, s13
; %bb.1238:                             ;   in Loop: Header=BB2_1177 Depth=4
	s_delay_alu instid0(VALU_DEP_1)
	v_bfe_u32 v147, v149, 23, 1
; %bb.1239:                             ;   in Loop: Header=BB2_1177 Depth=4
	s_or_b32 exec_lo, exec_lo, s13
	v_lshrrev_b32_e32 v149, 20, v149
	s_delay_alu instid0(VALU_DEP_2) | instskip(SKIP_2) | instid1(VALU_DEP_2)
	v_cmp_gt_i32_e32 vcc_lo, 16, v147
	v_lshrrev_b32_e32 v148, 24, v148
	v_min_i32_e32 v150, 15, v147
	v_dual_cndmask_b32 v149, 7, v149 :: v_dual_and_b32 v148, 0x80, v148
	s_delay_alu instid0(VALU_DEP_1) | instskip(SKIP_1) | instid1(VALU_DEP_2)
	v_or_b32_e32 v147, v147, v149
	v_and_b32_e32 v151, 7, v149
	v_cmp_ne_u32_e32 vcc_lo, 0, v147
	v_lshlrev_b32_e32 v150, 3, v150
	s_delay_alu instid0(VALU_DEP_1) | instskip(NEXT) | instid1(VALU_DEP_1)
	v_or3_b32 v148, v150, v148, v151
	v_cndmask_b32_e32 v147, 0, v148, vcc_lo
.LBB2_1240:                             ;   in Loop: Header=BB2_1177 Depth=4
	s_or_b32 exec_lo, exec_lo, s24
.LBB2_1241:                             ;   in Loop: Header=BB2_1177 Depth=4
	s_delay_alu instid0(SALU_CYCLE_1) | instskip(SKIP_3) | instid1(VALU_DEP_1)
	s_or_b32 exec_lo, exec_lo, s3
	v_and_b32_e32 v149, 0xff, v146
	s_mov_b32 s3, 0
	s_mov_b32 s24, exec_lo
                                        ; implicit-def: $sgpr13
	v_cmpx_lt_i16_e64 0x7f, v149
	s_xor_b32 s24, exec_lo, s24
	s_cbranch_execnz .LBB2_1335
; %bb.1242:                             ;   in Loop: Header=BB2_1177 Depth=4
	s_or_saveexec_b32 s24, s24
	v_mov_b32_e32 v148, s13
	s_xor_b32 exec_lo, exec_lo, s24
	s_cbranch_execnz .LBB2_1338
.LBB2_1243:                             ;   in Loop: Header=BB2_1177 Depth=4
	s_or_b32 exec_lo, exec_lo, s24
	s_and_saveexec_b32 s13, s3
	s_cbranch_execz .LBB2_1245
.LBB2_1244:                             ;   in Loop: Header=BB2_1177 Depth=4
	v_lshrrev_b16 v151, 3, v146
	s_delay_alu instid0(VALU_DEP_1) | instskip(NEXT) | instid1(VALU_DEP_1)
	v_and_b32_e32 v151, 15, v151
	v_cmp_eq_u32_e32 vcc_lo, 0, v151
	v_and_b32_e32 v148, 7, v146
	s_delay_alu instid0(VALU_DEP_1) | instskip(NEXT) | instid1(VALU_DEP_1)
	v_clz_i32_u32_e32 v149, v148
	v_min_u32_e32 v149, 32, v149
	s_delay_alu instid0(VALU_DEP_1) | instskip(SKIP_1) | instid1(VALU_DEP_1)
	v_subrev_nc_u32_e32 v150, 28, v149
	v_sub_nc_u32_e32 v149, 29, v149
	v_dual_cndmask_b32 v149, v151, v149 :: v_dual_lshlrev_b32 v150, v150, v146
	v_lshlrev_b32_e32 v146, 24, v146
	s_delay_alu instid0(VALU_DEP_2) | instskip(NEXT) | instid1(VALU_DEP_3)
	v_and_b32_e32 v150, 7, v150
	v_lshl_add_u32 v149, v149, 23, 0x3b800000
	s_delay_alu instid0(VALU_DEP_3) | instskip(NEXT) | instid1(VALU_DEP_3)
	v_and_b32_e32 v146, 0x80000000, v146
	v_cndmask_b32_e32 v148, v148, v150, vcc_lo
	s_delay_alu instid0(VALU_DEP_1) | instskip(NEXT) | instid1(VALU_DEP_1)
	v_lshlrev_b32_e32 v148, 20, v148
	v_or3_b32 v148, v146, v149, v148
.LBB2_1245:                             ;   in Loop: Header=BB2_1177 Depth=4
	s_or_b32 exec_lo, exec_lo, s13
	s_waitcnt vmcnt(3) lgkmcnt(3)
	v_and_b32_e32 v149, 0xff, v145
	s_mov_b32 s3, 0
	s_mov_b32 s24, exec_lo
                                        ; implicit-def: $sgpr13
	s_delay_alu instid0(VALU_DEP_1)
	v_cmpx_lt_i16_e64 0x7f, v149
	s_xor_b32 s24, exec_lo, s24
	s_cbranch_execnz .LBB2_1339
; %bb.1246:                             ;   in Loop: Header=BB2_1177 Depth=4
	s_or_saveexec_b32 s24, s24
	v_mov_b32_e32 v146, s13
	s_xor_b32 exec_lo, exec_lo, s24
	s_cbranch_execnz .LBB2_1342
.LBB2_1247:                             ;   in Loop: Header=BB2_1177 Depth=4
	s_or_b32 exec_lo, exec_lo, s24
	s_and_saveexec_b32 s13, s3
	s_cbranch_execz .LBB2_1249
.LBB2_1248:                             ;   in Loop: Header=BB2_1177 Depth=4
	v_and_b32_e32 v146, 7, v145
	v_lshrrev_b16 v151, 3, v145
	s_delay_alu instid0(VALU_DEP_2) | instskip(NEXT) | instid1(VALU_DEP_1)
	v_clz_i32_u32_e32 v149, v146
	v_min_u32_e32 v149, 32, v149
	s_delay_alu instid0(VALU_DEP_1) | instskip(SKIP_1) | instid1(VALU_DEP_2)
	v_subrev_nc_u32_e32 v150, 28, v149
	v_sub_nc_u32_e32 v149, 29, v149
	v_lshlrev_b32_e32 v150, v150, v145
	v_lshlrev_b32_e32 v145, 24, v145
	s_delay_alu instid0(VALU_DEP_2) | instskip(SKIP_1) | instid1(VALU_DEP_3)
	v_and_b32_e32 v150, 7, v150
	v_and_b32_e32 v151, 15, v151
	;; [unrolled: 1-line block ×3, first 2 shown]
	s_delay_alu instid0(VALU_DEP_2) | instskip(NEXT) | instid1(VALU_DEP_4)
	v_cmp_eq_u32_e32 vcc_lo, 0, v151
	v_dual_cndmask_b32 v146, v146, v150 :: v_dual_cndmask_b32 v149, v151, v149
	s_delay_alu instid0(VALU_DEP_1) | instskip(NEXT) | instid1(VALU_DEP_2)
	v_lshlrev_b32_e32 v146, 20, v146
	v_lshl_add_u32 v149, v149, 23, 0x3b800000
	s_delay_alu instid0(VALU_DEP_1)
	v_or3_b32 v146, v145, v149, v146
.LBB2_1249:                             ;   in Loop: Header=BB2_1177 Depth=4
	s_or_b32 exec_lo, exec_lo, s13
	s_delay_alu instid0(VALU_DEP_1) | instskip(NEXT) | instid1(VALU_DEP_1)
	v_add_f32_e32 v146, v148, v146
	v_and_b32_e32 v145, 0x7f800000, v146
	s_delay_alu instid0(VALU_DEP_1)
	v_cmp_ne_u32_e32 vcc_lo, 0x7f800000, v145
	v_mov_b32_e32 v145, 0x80
	s_and_saveexec_b32 s3, vcc_lo
	s_cbranch_execz .LBB2_1257
; %bb.1250:                             ;   in Loop: Header=BB2_1177 Depth=4
	v_mov_b32_e32 v145, 0
	s_mov_b32 s24, exec_lo
	v_cmpx_ne_u32_e32 0, v146
	s_cbranch_execz .LBB2_1256
; %bb.1251:                             ;   in Loop: Header=BB2_1177 Depth=4
	v_bfe_u32 v145, v146, 23, 8
	s_delay_alu instid0(VALU_DEP_1) | instskip(SKIP_1) | instid1(VALU_DEP_2)
	v_sub_nc_u32_e32 v149, 0x78, v145
	v_cmp_gt_u32_e32 vcc_lo, 0x79, v145
	v_dual_cndmask_b32 v149, 0, v149 :: v_dual_and_b32 v148, 0x7fffff, v146
	s_delay_alu instid0(VALU_DEP_1) | instskip(SKIP_2) | instid1(VALU_DEP_4)
	v_or_b32_e32 v150, 0x800000, v148
	v_cmp_eq_u32_e32 vcc_lo, 0, v145
	v_add_nc_u32_e32 v145, 0xffffff89, v145
	v_cndmask_b32_e64 v149, v149, 0x77, vcc_lo
	s_delay_alu instid0(VALU_DEP_4) | instskip(NEXT) | instid1(VALU_DEP_3)
	v_cndmask_b32_e32 v148, v150, v148, vcc_lo
	v_cndmask_b32_e64 v145, v145, 0xffffff8a, vcc_lo
	s_delay_alu instid0(VALU_DEP_3) | instskip(NEXT) | instid1(VALU_DEP_3)
	v_lshl_add_u32 v150, 0x100000, v149, -1
	v_lshrrev_b32_e32 v151, v149, v148
	v_lshlrev_b32_e64 v161, v149, 0x80000
	s_delay_alu instid0(VALU_DEP_4) | instskip(NEXT) | instid1(VALU_DEP_4)
	v_add_nc_u32_e32 v149, v149, v145
	v_and_b32_e32 v148, v150, v148
	s_delay_alu instid0(VALU_DEP_4) | instskip(NEXT) | instid1(VALU_DEP_2)
	v_bfe_u32 v160, v151, 20, 1
	v_cmp_eq_u32_e64 s13, v148, v161
	s_delay_alu instid0(VALU_DEP_2) | instskip(NEXT) | instid1(VALU_DEP_1)
	v_add_nc_u32_e32 v150, -1, v160
	v_cndmask_b32_e64 v148, 0, v150, s13
	v_lshrrev_b32_e32 v150, 23, v151
	s_mov_b32 s13, exec_lo
	s_delay_alu instid0(VALU_DEP_2) | instskip(NEXT) | instid1(VALU_DEP_2)
	v_add_nc_u32_e32 v148, v148, v151
	v_xor_b32_e32 v150, 1, v150
	s_delay_alu instid0(VALU_DEP_2) | instskip(NEXT) | instid1(VALU_DEP_1)
	v_and_b32_e32 v145, 0xfffff, v148
	v_add_nc_u32_e32 v148, v145, v151
                                        ; implicit-def: $vgpr145
	s_delay_alu instid0(VALU_DEP_3)
	v_cmpx_ne_u32_e64 v149, v150
	s_xor_b32 s13, exec_lo, s13
; %bb.1252:                             ;   in Loop: Header=BB2_1177 Depth=4
	s_delay_alu instid0(VALU_DEP_2) | instskip(SKIP_2) | instid1(VALU_DEP_2)
	v_cmp_lt_u32_e32 vcc_lo, 0xffffff, v148
	v_sub_nc_u32_e32 v145, v149, v150
	v_cndmask_b32_e64 v149, 0, 1, vcc_lo
	v_add_co_ci_u32_e32 v145, vcc_lo, 0, v145, vcc_lo
	s_delay_alu instid0(VALU_DEP_2)
	v_lshrrev_b32_e32 v148, v149, v148
; %bb.1253:                             ;   in Loop: Header=BB2_1177 Depth=4
	s_and_not1_saveexec_b32 s13, s13
; %bb.1254:                             ;   in Loop: Header=BB2_1177 Depth=4
	s_delay_alu instid0(VALU_DEP_1)
	v_bfe_u32 v145, v148, 23, 1
; %bb.1255:                             ;   in Loop: Header=BB2_1177 Depth=4
	s_or_b32 exec_lo, exec_lo, s13
	v_lshrrev_b32_e32 v148, 20, v148
	s_delay_alu instid0(VALU_DEP_2) | instskip(SKIP_2) | instid1(VALU_DEP_2)
	v_cmp_gt_i32_e32 vcc_lo, 16, v145
	v_min_i32_e32 v149, 15, v145
	v_lshrrev_b32_e32 v146, 24, v146
	v_dual_cndmask_b32 v148, 7, v148 :: v_dual_lshlrev_b32 v149, 3, v149
	s_delay_alu instid0(VALU_DEP_2) | instskip(NEXT) | instid1(VALU_DEP_2)
	v_and_b32_e32 v146, 0x80, v146
	v_or_b32_e32 v145, v145, v148
	s_delay_alu instid0(VALU_DEP_1) | instskip(SKIP_1) | instid1(VALU_DEP_1)
	v_cmp_ne_u32_e32 vcc_lo, 0, v145
	v_and_b32_e32 v150, 7, v148
	v_or3_b32 v146, v149, v146, v150
	s_delay_alu instid0(VALU_DEP_1)
	v_cndmask_b32_e32 v145, 0, v146, vcc_lo
.LBB2_1256:                             ;   in Loop: Header=BB2_1177 Depth=4
	s_or_b32 exec_lo, exec_lo, s24
.LBB2_1257:                             ;   in Loop: Header=BB2_1177 Depth=4
	s_delay_alu instid0(SALU_CYCLE_1) | instskip(SKIP_3) | instid1(VALU_DEP_1)
	s_or_b32 exec_lo, exec_lo, s3
	v_and_b32_e32 v148, 0xff, v135
	s_mov_b32 s3, 0
	s_mov_b32 s24, exec_lo
                                        ; implicit-def: $sgpr13
	v_cmpx_lt_i16_e64 0x7f, v148
	s_xor_b32 s24, exec_lo, s24
	s_cbranch_execnz .LBB2_1343
; %bb.1258:                             ;   in Loop: Header=BB2_1177 Depth=4
	s_or_saveexec_b32 s24, s24
	v_mov_b32_e32 v146, s13
	s_xor_b32 exec_lo, exec_lo, s24
	s_cbranch_execnz .LBB2_1346
.LBB2_1259:                             ;   in Loop: Header=BB2_1177 Depth=4
	s_or_b32 exec_lo, exec_lo, s24
	s_and_saveexec_b32 s13, s3
	s_cbranch_execz .LBB2_1261
.LBB2_1260:                             ;   in Loop: Header=BB2_1177 Depth=4
	v_and_b32_e32 v146, 7, v135
	v_lshrrev_b16 v150, 3, v135
	s_delay_alu instid0(VALU_DEP_2) | instskip(NEXT) | instid1(VALU_DEP_2)
	v_clz_i32_u32_e32 v148, v146
	v_and_b32_e32 v150, 15, v150
	s_delay_alu instid0(VALU_DEP_2) | instskip(NEXT) | instid1(VALU_DEP_2)
	v_min_u32_e32 v148, 32, v148
	v_cmp_eq_u32_e32 vcc_lo, 0, v150
	s_delay_alu instid0(VALU_DEP_2) | instskip(SKIP_1) | instid1(VALU_DEP_1)
	v_subrev_nc_u32_e32 v149, 28, v148
	v_sub_nc_u32_e32 v148, 29, v148
	v_dual_cndmask_b32 v148, v150, v148 :: v_dual_lshlrev_b32 v149, v149, v135
	s_delay_alu instid0(VALU_DEP_1) | instskip(SKIP_1) | instid1(VALU_DEP_3)
	v_and_b32_e32 v149, 7, v149
	v_lshlrev_b32_e32 v135, 24, v135
	v_lshl_add_u32 v148, v148, 23, 0x3b800000
	s_delay_alu instid0(VALU_DEP_2) | instskip(NEXT) | instid1(VALU_DEP_1)
	v_dual_cndmask_b32 v146, v146, v149 :: v_dual_and_b32 v135, 0x80000000, v135
	v_lshlrev_b32_e32 v146, 20, v146
	s_delay_alu instid0(VALU_DEP_1)
	v_or3_b32 v146, v135, v148, v146
.LBB2_1261:                             ;   in Loop: Header=BB2_1177 Depth=4
	s_or_b32 exec_lo, exec_lo, s13
	s_waitcnt vmcnt(2) lgkmcnt(2)
	v_and_b32_e32 v148, 0xff, v134
	s_mov_b32 s3, 0
	s_mov_b32 s24, exec_lo
                                        ; implicit-def: $sgpr13
	s_delay_alu instid0(VALU_DEP_1)
	v_cmpx_lt_i16_e64 0x7f, v148
	s_xor_b32 s24, exec_lo, s24
	s_cbranch_execnz .LBB2_1347
; %bb.1262:                             ;   in Loop: Header=BB2_1177 Depth=4
	s_or_saveexec_b32 s24, s24
	v_mov_b32_e32 v135, s13
	s_xor_b32 exec_lo, exec_lo, s24
	s_cbranch_execnz .LBB2_1350
.LBB2_1263:                             ;   in Loop: Header=BB2_1177 Depth=4
	s_or_b32 exec_lo, exec_lo, s24
	s_and_saveexec_b32 s13, s3
	s_cbranch_execz .LBB2_1265
.LBB2_1264:                             ;   in Loop: Header=BB2_1177 Depth=4
	v_lshrrev_b16 v150, 3, v134
	s_delay_alu instid0(VALU_DEP_1) | instskip(NEXT) | instid1(VALU_DEP_1)
	v_and_b32_e32 v150, 15, v150
	v_cmp_eq_u32_e32 vcc_lo, 0, v150
	v_and_b32_e32 v135, 7, v134
	s_delay_alu instid0(VALU_DEP_1) | instskip(NEXT) | instid1(VALU_DEP_1)
	v_clz_i32_u32_e32 v148, v135
	v_min_u32_e32 v148, 32, v148
	s_delay_alu instid0(VALU_DEP_1) | instskip(SKIP_1) | instid1(VALU_DEP_1)
	v_subrev_nc_u32_e32 v149, 28, v148
	v_sub_nc_u32_e32 v148, 29, v148
	v_dual_cndmask_b32 v148, v150, v148 :: v_dual_lshlrev_b32 v149, v149, v134
	v_lshlrev_b32_e32 v134, 24, v134
	s_delay_alu instid0(VALU_DEP_2) | instskip(NEXT) | instid1(VALU_DEP_3)
	v_and_b32_e32 v149, 7, v149
	v_lshl_add_u32 v148, v148, 23, 0x3b800000
	s_delay_alu instid0(VALU_DEP_2) | instskip(NEXT) | instid1(VALU_DEP_1)
	v_dual_cndmask_b32 v135, v135, v149 :: v_dual_and_b32 v134, 0x80000000, v134
	v_lshlrev_b32_e32 v135, 20, v135
	s_delay_alu instid0(VALU_DEP_1)
	v_or3_b32 v135, v134, v148, v135
.LBB2_1265:                             ;   in Loop: Header=BB2_1177 Depth=4
	s_or_b32 exec_lo, exec_lo, s13
	s_delay_alu instid0(VALU_DEP_1) | instskip(NEXT) | instid1(VALU_DEP_1)
	v_add_f32_e32 v135, v146, v135
	v_and_b32_e32 v134, 0x7f800000, v135
	s_delay_alu instid0(VALU_DEP_1)
	v_cmp_ne_u32_e32 vcc_lo, 0x7f800000, v134
	v_mov_b32_e32 v134, 0x80
	s_and_saveexec_b32 s3, vcc_lo
	s_cbranch_execz .LBB2_1273
; %bb.1266:                             ;   in Loop: Header=BB2_1177 Depth=4
	v_mov_b32_e32 v134, 0
	s_mov_b32 s24, exec_lo
	v_cmpx_ne_u32_e32 0, v135
	s_cbranch_execz .LBB2_1272
; %bb.1267:                             ;   in Loop: Header=BB2_1177 Depth=4
	v_bfe_u32 v134, v135, 23, 8
	v_and_b32_e32 v146, 0x7fffff, v135
	s_delay_alu instid0(VALU_DEP_2) | instskip(SKIP_1) | instid1(VALU_DEP_3)
	v_sub_nc_u32_e32 v148, 0x78, v134
	v_cmp_gt_u32_e32 vcc_lo, 0x79, v134
	v_or_b32_e32 v149, 0x800000, v146
	s_delay_alu instid0(VALU_DEP_3) | instskip(SKIP_2) | instid1(VALU_DEP_3)
	v_cndmask_b32_e32 v148, 0, v148, vcc_lo
	v_cmp_eq_u32_e32 vcc_lo, 0, v134
	v_add_nc_u32_e32 v134, 0xffffff89, v134
	v_cndmask_b32_e64 v148, v148, 0x77, vcc_lo
	v_cndmask_b32_e32 v146, v149, v146, vcc_lo
	s_delay_alu instid0(VALU_DEP_3) | instskip(NEXT) | instid1(VALU_DEP_3)
	v_cndmask_b32_e64 v134, v134, 0xffffff8a, vcc_lo
	v_lshl_add_u32 v149, 0x100000, v148, -1
	s_delay_alu instid0(VALU_DEP_3) | instskip(SKIP_1) | instid1(VALU_DEP_4)
	v_lshrrev_b32_e32 v150, v148, v146
	v_lshlrev_b32_e64 v160, v148, 0x80000
	v_add_nc_u32_e32 v148, v148, v134
	s_delay_alu instid0(VALU_DEP_4) | instskip(NEXT) | instid1(VALU_DEP_4)
	v_and_b32_e32 v146, v149, v146
	v_bfe_u32 v151, v150, 20, 1
	s_delay_alu instid0(VALU_DEP_2) | instskip(NEXT) | instid1(VALU_DEP_2)
	v_cmp_eq_u32_e64 s13, v146, v160
	v_add_nc_u32_e32 v149, -1, v151
	s_delay_alu instid0(VALU_DEP_1) | instskip(SKIP_2) | instid1(VALU_DEP_2)
	v_cndmask_b32_e64 v146, 0, v149, s13
	v_lshrrev_b32_e32 v149, 23, v150
	s_mov_b32 s13, exec_lo
	v_add_nc_u32_e32 v146, v146, v150
	s_delay_alu instid0(VALU_DEP_2) | instskip(NEXT) | instid1(VALU_DEP_2)
	v_xor_b32_e32 v149, 1, v149
	v_and_b32_e32 v134, 0xfffff, v146
	s_delay_alu instid0(VALU_DEP_1) | instskip(NEXT) | instid1(VALU_DEP_3)
	v_add_nc_u32_e32 v146, v134, v150
                                        ; implicit-def: $vgpr134
	v_cmpx_ne_u32_e64 v148, v149
	s_xor_b32 s13, exec_lo, s13
; %bb.1268:                             ;   in Loop: Header=BB2_1177 Depth=4
	s_delay_alu instid0(VALU_DEP_2) | instskip(SKIP_2) | instid1(VALU_DEP_2)
	v_cmp_lt_u32_e32 vcc_lo, 0xffffff, v146
	v_sub_nc_u32_e32 v134, v148, v149
	v_cndmask_b32_e64 v148, 0, 1, vcc_lo
	v_add_co_ci_u32_e32 v134, vcc_lo, 0, v134, vcc_lo
	s_delay_alu instid0(VALU_DEP_2)
	v_lshrrev_b32_e32 v146, v148, v146
; %bb.1269:                             ;   in Loop: Header=BB2_1177 Depth=4
	s_and_not1_saveexec_b32 s13, s13
; %bb.1270:                             ;   in Loop: Header=BB2_1177 Depth=4
	s_delay_alu instid0(VALU_DEP_1)
	v_bfe_u32 v134, v146, 23, 1
; %bb.1271:                             ;   in Loop: Header=BB2_1177 Depth=4
	s_or_b32 exec_lo, exec_lo, s13
	v_lshrrev_b32_e32 v146, 20, v146
	s_delay_alu instid0(VALU_DEP_2) | instskip(SKIP_2) | instid1(VALU_DEP_2)
	v_cmp_gt_i32_e32 vcc_lo, 16, v134
	v_lshrrev_b32_e32 v135, 24, v135
	v_min_i32_e32 v148, 15, v134
	v_dual_cndmask_b32 v146, 7, v146 :: v_dual_and_b32 v135, 0x80, v135
	s_delay_alu instid0(VALU_DEP_2) | instskip(NEXT) | instid1(VALU_DEP_2)
	v_lshlrev_b32_e32 v148, 3, v148
	v_or_b32_e32 v134, v134, v146
	s_delay_alu instid0(VALU_DEP_1) | instskip(SKIP_1) | instid1(VALU_DEP_1)
	v_cmp_ne_u32_e32 vcc_lo, 0, v134
	v_and_b32_e32 v149, 7, v146
	v_or3_b32 v135, v148, v135, v149
	s_delay_alu instid0(VALU_DEP_1)
	v_cndmask_b32_e32 v134, 0, v135, vcc_lo
.LBB2_1272:                             ;   in Loop: Header=BB2_1177 Depth=4
	s_or_b32 exec_lo, exec_lo, s24
.LBB2_1273:                             ;   in Loop: Header=BB2_1177 Depth=4
	s_delay_alu instid0(SALU_CYCLE_1) | instskip(SKIP_3) | instid1(VALU_DEP_1)
	s_or_b32 exec_lo, exec_lo, s3
	v_and_b32_e32 v146, 0xff, v132
	s_mov_b32 s3, 0
	s_mov_b32 s24, exec_lo
                                        ; implicit-def: $sgpr13
	v_cmpx_lt_i16_e64 0x7f, v146
	s_xor_b32 s24, exec_lo, s24
	s_cbranch_execnz .LBB2_1351
; %bb.1274:                             ;   in Loop: Header=BB2_1177 Depth=4
	s_or_saveexec_b32 s24, s24
	v_mov_b32_e32 v135, s13
	s_xor_b32 exec_lo, exec_lo, s24
	s_cbranch_execnz .LBB2_1354
.LBB2_1275:                             ;   in Loop: Header=BB2_1177 Depth=4
	s_or_b32 exec_lo, exec_lo, s24
	s_and_saveexec_b32 s13, s3
	s_cbranch_execz .LBB2_1277
.LBB2_1276:                             ;   in Loop: Header=BB2_1177 Depth=4
	v_lshrrev_b16 v149, 3, v132
	s_delay_alu instid0(VALU_DEP_1) | instskip(NEXT) | instid1(VALU_DEP_1)
	v_and_b32_e32 v149, 15, v149
	v_cmp_eq_u32_e32 vcc_lo, 0, v149
	v_and_b32_e32 v135, 7, v132
	s_delay_alu instid0(VALU_DEP_1) | instskip(NEXT) | instid1(VALU_DEP_1)
	v_clz_i32_u32_e32 v146, v135
	v_min_u32_e32 v146, 32, v146
	s_delay_alu instid0(VALU_DEP_1) | instskip(SKIP_1) | instid1(VALU_DEP_2)
	v_subrev_nc_u32_e32 v148, 28, v146
	v_sub_nc_u32_e32 v146, 29, v146
	v_lshlrev_b32_e32 v148, v148, v132
	s_delay_alu instid0(VALU_DEP_2) | instskip(SKIP_1) | instid1(VALU_DEP_3)
	v_cndmask_b32_e32 v146, v149, v146, vcc_lo
	v_lshlrev_b32_e32 v132, 24, v132
	v_and_b32_e32 v148, 7, v148
	s_delay_alu instid0(VALU_DEP_3) | instskip(NEXT) | instid1(VALU_DEP_3)
	v_lshl_add_u32 v146, v146, 23, 0x3b800000
	v_and_b32_e32 v132, 0x80000000, v132
	s_delay_alu instid0(VALU_DEP_3) | instskip(NEXT) | instid1(VALU_DEP_1)
	v_cndmask_b32_e32 v135, v135, v148, vcc_lo
	v_lshlrev_b32_e32 v135, 20, v135
	s_delay_alu instid0(VALU_DEP_1)
	v_or3_b32 v135, v132, v146, v135
.LBB2_1277:                             ;   in Loop: Header=BB2_1177 Depth=4
	s_or_b32 exec_lo, exec_lo, s13
	s_waitcnt vmcnt(1) lgkmcnt(1)
	v_and_b32_e32 v146, 0xff, v71
	s_mov_b32 s3, 0
	s_mov_b32 s24, exec_lo
                                        ; implicit-def: $sgpr13
	s_delay_alu instid0(VALU_DEP_1)
	v_cmpx_lt_i16_e64 0x7f, v146
	s_xor_b32 s24, exec_lo, s24
	s_cbranch_execnz .LBB2_1355
; %bb.1278:                             ;   in Loop: Header=BB2_1177 Depth=4
	s_or_saveexec_b32 s24, s24
	v_mov_b32_e32 v132, s13
	s_xor_b32 exec_lo, exec_lo, s24
	s_cbranch_execnz .LBB2_1358
.LBB2_1279:                             ;   in Loop: Header=BB2_1177 Depth=4
	s_or_b32 exec_lo, exec_lo, s24
	s_and_saveexec_b32 s13, s3
	s_cbranch_execz .LBB2_1281
.LBB2_1280:                             ;   in Loop: Header=BB2_1177 Depth=4
	v_and_b32_e32 v132, 7, v71
	v_lshrrev_b16 v149, 3, v71
	s_delay_alu instid0(VALU_DEP_2) | instskip(NEXT) | instid1(VALU_DEP_1)
	v_clz_i32_u32_e32 v146, v132
	v_min_u32_e32 v146, 32, v146
	s_delay_alu instid0(VALU_DEP_1) | instskip(SKIP_1) | instid1(VALU_DEP_2)
	v_subrev_nc_u32_e32 v148, 28, v146
	v_sub_nc_u32_e32 v146, 29, v146
	v_lshlrev_b32_e32 v148, v148, v71
	s_delay_alu instid0(VALU_DEP_1) | instskip(SKIP_1) | instid1(VALU_DEP_1)
	v_and_b32_e32 v148, 7, v148
	v_and_b32_e32 v149, 15, v149
	v_cmp_eq_u32_e32 vcc_lo, 0, v149
	s_delay_alu instid0(VALU_DEP_3) | instskip(SKIP_1) | instid1(VALU_DEP_2)
	v_dual_cndmask_b32 v132, v132, v148 :: v_dual_lshlrev_b32 v71, 24, v71
	v_cndmask_b32_e32 v146, v149, v146, vcc_lo
	v_lshlrev_b32_e32 v132, 20, v132
	s_delay_alu instid0(VALU_DEP_3) | instskip(NEXT) | instid1(VALU_DEP_3)
	v_and_b32_e32 v71, 0x80000000, v71
	v_lshl_add_u32 v146, v146, 23, 0x3b800000
	s_delay_alu instid0(VALU_DEP_1)
	v_or3_b32 v132, v71, v146, v132
.LBB2_1281:                             ;   in Loop: Header=BB2_1177 Depth=4
	s_or_b32 exec_lo, exec_lo, s13
	s_delay_alu instid0(VALU_DEP_1) | instskip(NEXT) | instid1(VALU_DEP_1)
	v_add_f32_e32 v132, v135, v132
	v_and_b32_e32 v71, 0x7f800000, v132
	s_delay_alu instid0(VALU_DEP_1)
	v_cmp_ne_u32_e32 vcc_lo, 0x7f800000, v71
	v_mov_b32_e32 v71, 0x80
	s_and_saveexec_b32 s3, vcc_lo
	s_cbranch_execz .LBB2_1289
; %bb.1282:                             ;   in Loop: Header=BB2_1177 Depth=4
	v_mov_b32_e32 v71, 0
	s_mov_b32 s24, exec_lo
	v_cmpx_ne_u32_e32 0, v132
	s_cbranch_execz .LBB2_1288
; %bb.1283:                             ;   in Loop: Header=BB2_1177 Depth=4
	v_bfe_u32 v71, v132, 23, 8
	s_delay_alu instid0(VALU_DEP_1) | instskip(SKIP_1) | instid1(VALU_DEP_2)
	v_sub_nc_u32_e32 v146, 0x78, v71
	v_cmp_gt_u32_e32 vcc_lo, 0x79, v71
	v_dual_cndmask_b32 v146, 0, v146 :: v_dual_and_b32 v135, 0x7fffff, v132
	s_delay_alu instid0(VALU_DEP_1) | instskip(SKIP_2) | instid1(VALU_DEP_4)
	v_or_b32_e32 v148, 0x800000, v135
	v_cmp_eq_u32_e32 vcc_lo, 0, v71
	v_add_nc_u32_e32 v71, 0xffffff89, v71
	v_cndmask_b32_e64 v146, v146, 0x77, vcc_lo
	s_delay_alu instid0(VALU_DEP_4) | instskip(NEXT) | instid1(VALU_DEP_3)
	v_cndmask_b32_e32 v135, v148, v135, vcc_lo
	v_cndmask_b32_e64 v71, v71, 0xffffff8a, vcc_lo
	s_delay_alu instid0(VALU_DEP_3) | instskip(NEXT) | instid1(VALU_DEP_3)
	v_lshl_add_u32 v148, 0x100000, v146, -1
	v_lshrrev_b32_e32 v149, v146, v135
	v_lshlrev_b32_e64 v151, v146, 0x80000
	s_delay_alu instid0(VALU_DEP_4) | instskip(NEXT) | instid1(VALU_DEP_4)
	v_add_nc_u32_e32 v146, v146, v71
	v_and_b32_e32 v135, v148, v135
	s_delay_alu instid0(VALU_DEP_4) | instskip(NEXT) | instid1(VALU_DEP_2)
	v_bfe_u32 v150, v149, 20, 1
	v_cmp_eq_u32_e64 s13, v135, v151
	s_delay_alu instid0(VALU_DEP_2) | instskip(NEXT) | instid1(VALU_DEP_1)
	v_add_nc_u32_e32 v148, -1, v150
	v_cndmask_b32_e64 v135, 0, v148, s13
	v_lshrrev_b32_e32 v148, 23, v149
	s_mov_b32 s13, exec_lo
	s_delay_alu instid0(VALU_DEP_2) | instskip(NEXT) | instid1(VALU_DEP_2)
	v_add_nc_u32_e32 v135, v135, v149
	v_xor_b32_e32 v148, 1, v148
	s_delay_alu instid0(VALU_DEP_2) | instskip(NEXT) | instid1(VALU_DEP_1)
	v_and_b32_e32 v71, 0xfffff, v135
	v_add_nc_u32_e32 v135, v71, v149
                                        ; implicit-def: $vgpr71
	s_delay_alu instid0(VALU_DEP_3)
	v_cmpx_ne_u32_e64 v146, v148
	s_xor_b32 s13, exec_lo, s13
; %bb.1284:                             ;   in Loop: Header=BB2_1177 Depth=4
	s_delay_alu instid0(VALU_DEP_2) | instskip(SKIP_2) | instid1(VALU_DEP_2)
	v_cmp_lt_u32_e32 vcc_lo, 0xffffff, v135
	v_sub_nc_u32_e32 v71, v146, v148
	v_cndmask_b32_e64 v146, 0, 1, vcc_lo
	v_add_co_ci_u32_e32 v71, vcc_lo, 0, v71, vcc_lo
	s_delay_alu instid0(VALU_DEP_2)
	v_lshrrev_b32_e32 v135, v146, v135
; %bb.1285:                             ;   in Loop: Header=BB2_1177 Depth=4
	s_and_not1_saveexec_b32 s13, s13
; %bb.1286:                             ;   in Loop: Header=BB2_1177 Depth=4
	s_delay_alu instid0(VALU_DEP_1)
	v_bfe_u32 v71, v135, 23, 1
; %bb.1287:                             ;   in Loop: Header=BB2_1177 Depth=4
	s_or_b32 exec_lo, exec_lo, s13
	v_lshrrev_b32_e32 v135, 20, v135
	s_delay_alu instid0(VALU_DEP_2) | instskip(SKIP_2) | instid1(VALU_DEP_2)
	v_cmp_gt_i32_e32 vcc_lo, 16, v71
	v_lshrrev_b32_e32 v132, 24, v132
	v_min_i32_e32 v146, 15, v71
	v_dual_cndmask_b32 v135, 7, v135 :: v_dual_and_b32 v132, 0x80, v132
	s_delay_alu instid0(VALU_DEP_2) | instskip(NEXT) | instid1(VALU_DEP_2)
	v_lshlrev_b32_e32 v146, 3, v146
	v_or_b32_e32 v71, v71, v135
	s_delay_alu instid0(VALU_DEP_1) | instskip(SKIP_1) | instid1(VALU_DEP_1)
	v_cmp_ne_u32_e32 vcc_lo, 0, v71
	v_and_b32_e32 v148, 7, v135
	v_or3_b32 v132, v146, v132, v148
	s_delay_alu instid0(VALU_DEP_1)
	v_cndmask_b32_e32 v71, 0, v132, vcc_lo
.LBB2_1288:                             ;   in Loop: Header=BB2_1177 Depth=4
	s_or_b32 exec_lo, exec_lo, s24
.LBB2_1289:                             ;   in Loop: Header=BB2_1177 Depth=4
	s_delay_alu instid0(SALU_CYCLE_1) | instskip(SKIP_3) | instid1(VALU_DEP_1)
	s_or_b32 exec_lo, exec_lo, s3
	v_and_b32_e32 v135, 0xff, v69
	s_mov_b32 s3, 0
	s_mov_b32 s24, exec_lo
                                        ; implicit-def: $sgpr13
	v_cmpx_lt_i16_e64 0x7f, v135
	s_xor_b32 s24, exec_lo, s24
	s_cbranch_execnz .LBB2_1359
; %bb.1290:                             ;   in Loop: Header=BB2_1177 Depth=4
	s_or_saveexec_b32 s24, s24
	v_mov_b32_e32 v132, s13
	s_xor_b32 exec_lo, exec_lo, s24
	s_cbranch_execnz .LBB2_1362
.LBB2_1291:                             ;   in Loop: Header=BB2_1177 Depth=4
	s_or_b32 exec_lo, exec_lo, s24
	s_and_saveexec_b32 s13, s3
	s_cbranch_execz .LBB2_1293
.LBB2_1292:                             ;   in Loop: Header=BB2_1177 Depth=4
	v_lshrrev_b16 v148, 3, v69
	s_delay_alu instid0(VALU_DEP_1) | instskip(NEXT) | instid1(VALU_DEP_1)
	v_and_b32_e32 v148, 15, v148
	v_cmp_eq_u32_e32 vcc_lo, 0, v148
	v_and_b32_e32 v132, 7, v69
	s_delay_alu instid0(VALU_DEP_1) | instskip(NEXT) | instid1(VALU_DEP_1)
	v_clz_i32_u32_e32 v135, v132
	v_min_u32_e32 v135, 32, v135
	s_delay_alu instid0(VALU_DEP_1) | instskip(SKIP_1) | instid1(VALU_DEP_1)
	v_subrev_nc_u32_e32 v146, 28, v135
	v_sub_nc_u32_e32 v135, 29, v135
	v_dual_cndmask_b32 v135, v148, v135 :: v_dual_lshlrev_b32 v146, v146, v69
	s_delay_alu instid0(VALU_DEP_1) | instskip(SKIP_1) | instid1(VALU_DEP_3)
	v_and_b32_e32 v146, 7, v146
	v_lshlrev_b32_e32 v69, 24, v69
	v_lshl_add_u32 v135, v135, 23, 0x3b800000
	s_delay_alu instid0(VALU_DEP_2) | instskip(NEXT) | instid1(VALU_DEP_1)
	v_dual_cndmask_b32 v132, v132, v146 :: v_dual_and_b32 v69, 0x80000000, v69
	v_lshlrev_b32_e32 v132, 20, v132
	s_delay_alu instid0(VALU_DEP_1)
	v_or3_b32 v132, v69, v135, v132
.LBB2_1293:                             ;   in Loop: Header=BB2_1177 Depth=4
	s_or_b32 exec_lo, exec_lo, s13
	s_waitcnt vmcnt(0) lgkmcnt(0)
	v_and_b32_e32 v135, 0xff, v68
	s_mov_b32 s3, 0
	s_mov_b32 s24, exec_lo
                                        ; implicit-def: $sgpr13
	s_delay_alu instid0(VALU_DEP_1)
	v_cmpx_lt_i16_e64 0x7f, v135
	s_xor_b32 s24, exec_lo, s24
	s_cbranch_execnz .LBB2_1363
; %bb.1294:                             ;   in Loop: Header=BB2_1177 Depth=4
	s_or_saveexec_b32 s24, s24
	v_mov_b32_e32 v69, s13
	s_xor_b32 exec_lo, exec_lo, s24
	s_cbranch_execnz .LBB2_1366
.LBB2_1295:                             ;   in Loop: Header=BB2_1177 Depth=4
	s_or_b32 exec_lo, exec_lo, s24
	s_and_saveexec_b32 s13, s3
	s_cbranch_execz .LBB2_1297
.LBB2_1296:                             ;   in Loop: Header=BB2_1177 Depth=4
	v_and_b32_e32 v69, 7, v68
	v_lshrrev_b16 v148, 3, v68
	s_delay_alu instid0(VALU_DEP_2) | instskip(NEXT) | instid1(VALU_DEP_2)
	v_clz_i32_u32_e32 v135, v69
	v_and_b32_e32 v148, 15, v148
	s_delay_alu instid0(VALU_DEP_2) | instskip(NEXT) | instid1(VALU_DEP_2)
	v_min_u32_e32 v135, 32, v135
	v_cmp_eq_u32_e32 vcc_lo, 0, v148
	s_delay_alu instid0(VALU_DEP_2) | instskip(SKIP_1) | instid1(VALU_DEP_1)
	v_subrev_nc_u32_e32 v146, 28, v135
	v_sub_nc_u32_e32 v135, 29, v135
	v_dual_cndmask_b32 v135, v148, v135 :: v_dual_lshlrev_b32 v146, v146, v68
	v_lshlrev_b32_e32 v68, 24, v68
	s_delay_alu instid0(VALU_DEP_2) | instskip(NEXT) | instid1(VALU_DEP_3)
	v_and_b32_e32 v146, 7, v146
	v_lshl_add_u32 v135, v135, 23, 0x3b800000
	s_delay_alu instid0(VALU_DEP_2) | instskip(NEXT) | instid1(VALU_DEP_1)
	v_dual_cndmask_b32 v69, v69, v146 :: v_dual_and_b32 v68, 0x80000000, v68
	v_lshlrev_b32_e32 v69, 20, v69
	s_delay_alu instid0(VALU_DEP_1)
	v_or3_b32 v69, v68, v135, v69
.LBB2_1297:                             ;   in Loop: Header=BB2_1177 Depth=4
	s_or_b32 exec_lo, exec_lo, s13
	s_delay_alu instid0(VALU_DEP_1) | instskip(NEXT) | instid1(VALU_DEP_1)
	v_add_f32_e32 v68, v132, v69
	v_and_b32_e32 v69, 0x7f800000, v68
	s_delay_alu instid0(VALU_DEP_1)
	v_cmp_ne_u32_e32 vcc_lo, 0x7f800000, v69
	v_mov_b32_e32 v69, 0x80
	s_and_saveexec_b32 s3, vcc_lo
	s_cbranch_execz .LBB2_1176
; %bb.1298:                             ;   in Loop: Header=BB2_1177 Depth=4
	v_mov_b32_e32 v69, 0
	s_mov_b32 s24, exec_lo
	v_cmpx_ne_u32_e32 0, v68
	s_cbranch_execz .LBB2_1175
; %bb.1299:                             ;   in Loop: Header=BB2_1177 Depth=4
	v_bfe_u32 v69, v68, 23, 8
	s_delay_alu instid0(VALU_DEP_1) | instskip(SKIP_1) | instid1(VALU_DEP_2)
	v_sub_nc_u32_e32 v135, 0x78, v69
	v_cmp_gt_u32_e32 vcc_lo, 0x79, v69
	v_dual_cndmask_b32 v135, 0, v135 :: v_dual_and_b32 v132, 0x7fffff, v68
	s_delay_alu instid0(VALU_DEP_1) | instskip(SKIP_2) | instid1(VALU_DEP_4)
	v_or_b32_e32 v146, 0x800000, v132
	v_cmp_eq_u32_e32 vcc_lo, 0, v69
	v_add_nc_u32_e32 v69, 0xffffff89, v69
	v_cndmask_b32_e64 v135, v135, 0x77, vcc_lo
	s_delay_alu instid0(VALU_DEP_4) | instskip(NEXT) | instid1(VALU_DEP_3)
	v_cndmask_b32_e32 v132, v146, v132, vcc_lo
	v_cndmask_b32_e64 v69, v69, 0xffffff8a, vcc_lo
	s_delay_alu instid0(VALU_DEP_3) | instskip(NEXT) | instid1(VALU_DEP_3)
	v_lshl_add_u32 v146, 0x100000, v135, -1
	v_lshrrev_b32_e32 v148, v135, v132
	v_lshlrev_b32_e64 v150, v135, 0x80000
	s_delay_alu instid0(VALU_DEP_4) | instskip(NEXT) | instid1(VALU_DEP_4)
	v_add_nc_u32_e32 v135, v135, v69
	v_and_b32_e32 v132, v146, v132
	s_delay_alu instid0(VALU_DEP_4) | instskip(NEXT) | instid1(VALU_DEP_2)
	v_bfe_u32 v149, v148, 20, 1
	v_cmp_eq_u32_e64 s13, v132, v150
	s_delay_alu instid0(VALU_DEP_2) | instskip(NEXT) | instid1(VALU_DEP_1)
	v_add_nc_u32_e32 v146, -1, v149
	v_cndmask_b32_e64 v132, 0, v146, s13
	v_lshrrev_b32_e32 v146, 23, v148
	s_mov_b32 s13, exec_lo
	s_delay_alu instid0(VALU_DEP_2) | instskip(NEXT) | instid1(VALU_DEP_2)
	v_add_nc_u32_e32 v132, v132, v148
	v_xor_b32_e32 v146, 1, v146
	s_delay_alu instid0(VALU_DEP_2) | instskip(NEXT) | instid1(VALU_DEP_1)
	v_and_b32_e32 v69, 0xfffff, v132
	v_add_nc_u32_e32 v132, v69, v148
                                        ; implicit-def: $vgpr69
	s_delay_alu instid0(VALU_DEP_3)
	v_cmpx_ne_u32_e64 v135, v146
	s_xor_b32 s13, exec_lo, s13
; %bb.1300:                             ;   in Loop: Header=BB2_1177 Depth=4
	s_delay_alu instid0(VALU_DEP_2) | instskip(SKIP_2) | instid1(VALU_DEP_2)
	v_cmp_lt_u32_e32 vcc_lo, 0xffffff, v132
	v_sub_nc_u32_e32 v69, v135, v146
	v_cndmask_b32_e64 v135, 0, 1, vcc_lo
	v_add_co_ci_u32_e32 v69, vcc_lo, 0, v69, vcc_lo
	s_delay_alu instid0(VALU_DEP_2)
	v_lshrrev_b32_e32 v132, v135, v132
; %bb.1301:                             ;   in Loop: Header=BB2_1177 Depth=4
	s_and_not1_saveexec_b32 s13, s13
	s_cbranch_execz .LBB2_1174
; %bb.1302:                             ;   in Loop: Header=BB2_1177 Depth=4
	s_delay_alu instid0(VALU_DEP_1)
	v_bfe_u32 v69, v132, 23, 1
	s_branch .LBB2_1174
.LBB2_1303:                             ;   in Loop: Header=BB2_1177 Depth=4
	s_mov_b32 s3, -1
	s_mov_b32 s34, exec_lo
                                        ; implicit-def: $sgpr13
	v_cmpx_eq_u16_e64 0x80, v160
; %bb.1304:                             ;   in Loop: Header=BB2_1177 Depth=4
	s_mov_b32 s13, 0x7f800001
	s_xor_b32 s3, exec_lo, -1
; %bb.1305:                             ;   in Loop: Header=BB2_1177 Depth=4
	s_or_b32 exec_lo, exec_lo, s34
	s_delay_alu instid0(SALU_CYCLE_1)
	s_and_b32 s3, s3, exec_lo
	s_or_saveexec_b32 s24, s24
	v_mov_b32_e32 v151, s13
	s_xor_b32 exec_lo, exec_lo, s24
	s_cbranch_execz .LBB2_1179
.LBB2_1306:                             ;   in Loop: Header=BB2_1177 Depth=4
	v_cmp_ne_u16_e64 vcc_lo, 0, v160
	v_mov_b32_e32 v151, 0
	s_and_not1_b32 s3, s3, exec_lo
	s_delay_alu instid0(VALU_DEP_2) | instskip(NEXT) | instid1(SALU_CYCLE_1)
	s_and_b32 s13, vcc_lo, exec_lo
	s_or_b32 s3, s3, s13
	s_or_b32 exec_lo, exec_lo, s24
	s_and_saveexec_b32 s13, s3
	s_cbranch_execnz .LBB2_1180
	s_branch .LBB2_1181
.LBB2_1307:                             ;   in Loop: Header=BB2_1177 Depth=4
	s_mov_b32 s3, -1
	s_mov_b32 s34, exec_lo
                                        ; implicit-def: $sgpr13
	v_cmpx_eq_u16_e64 0x80, v161
; %bb.1308:                             ;   in Loop: Header=BB2_1177 Depth=4
	s_mov_b32 s13, 0x7f800001
	s_xor_b32 s3, exec_lo, -1
; %bb.1309:                             ;   in Loop: Header=BB2_1177 Depth=4
	s_or_b32 exec_lo, exec_lo, s34
	s_delay_alu instid0(SALU_CYCLE_1)
	s_and_b32 s3, s3, exec_lo
                                        ; implicit-def: $vgpr161
	s_or_saveexec_b32 s24, s24
	v_mov_b32_e32 v160, s13
	s_xor_b32 exec_lo, exec_lo, s24
	s_cbranch_execz .LBB2_1183
.LBB2_1310:                             ;   in Loop: Header=BB2_1177 Depth=4
	v_cmp_ne_u16_e64 vcc_lo, 0, v161
	v_mov_b32_e32 v160, 0
	s_and_not1_b32 s3, s3, exec_lo
	s_delay_alu instid0(VALU_DEP_2) | instskip(NEXT) | instid1(SALU_CYCLE_1)
	s_and_b32 s13, vcc_lo, exec_lo
	s_or_b32 s3, s3, s13
	s_or_b32 exec_lo, exec_lo, s24
	s_and_saveexec_b32 s13, s3
	s_cbranch_execnz .LBB2_1184
	s_branch .LBB2_1185
.LBB2_1311:                             ;   in Loop: Header=BB2_1177 Depth=4
	s_mov_b32 s3, -1
	s_mov_b32 s34, exec_lo
                                        ; implicit-def: $sgpr13
	v_cmpx_eq_u16_e64 0x80, v160
; %bb.1312:                             ;   in Loop: Header=BB2_1177 Depth=4
	s_mov_b32 s13, 0x7f800001
	s_xor_b32 s3, exec_lo, -1
; %bb.1313:                             ;   in Loop: Header=BB2_1177 Depth=4
	s_or_b32 exec_lo, exec_lo, s34
	s_delay_alu instid0(SALU_CYCLE_1)
	s_and_b32 s3, s3, exec_lo
                                        ; implicit-def: $vgpr160
	s_or_saveexec_b32 s24, s24
	v_mov_b32_e32 v151, s13
	s_xor_b32 exec_lo, exec_lo, s24
	s_cbranch_execz .LBB2_1195
.LBB2_1314:                             ;   in Loop: Header=BB2_1177 Depth=4
	v_cmp_ne_u16_e64 vcc_lo, 0, v160
	v_mov_b32_e32 v151, 0
	s_and_not1_b32 s3, s3, exec_lo
	s_delay_alu instid0(VALU_DEP_2) | instskip(NEXT) | instid1(SALU_CYCLE_1)
	s_and_b32 s13, vcc_lo, exec_lo
	s_or_b32 s3, s3, s13
	s_or_b32 exec_lo, exec_lo, s24
	s_and_saveexec_b32 s13, s3
	s_cbranch_execnz .LBB2_1196
	s_branch .LBB2_1197
.LBB2_1315:                             ;   in Loop: Header=BB2_1177 Depth=4
	s_mov_b32 s3, -1
	s_mov_b32 s34, exec_lo
                                        ; implicit-def: $sgpr13
	v_cmpx_eq_u16_e64 0x80, v160
; %bb.1316:                             ;   in Loop: Header=BB2_1177 Depth=4
	s_mov_b32 s13, 0x7f800001
	s_xor_b32 s3, exec_lo, -1
; %bb.1317:                             ;   in Loop: Header=BB2_1177 Depth=4
	s_or_b32 exec_lo, exec_lo, s34
	s_delay_alu instid0(SALU_CYCLE_1)
	s_and_b32 s3, s3, exec_lo
                                        ; implicit-def: $vgpr160
	s_or_saveexec_b32 s24, s24
	v_mov_b32_e32 v150, s13
	s_xor_b32 exec_lo, exec_lo, s24
	s_cbranch_execz .LBB2_1199
.LBB2_1318:                             ;   in Loop: Header=BB2_1177 Depth=4
	v_cmp_ne_u16_e64 vcc_lo, 0, v160
	v_mov_b32_e32 v150, 0
	s_and_not1_b32 s3, s3, exec_lo
	s_delay_alu instid0(VALU_DEP_2) | instskip(NEXT) | instid1(SALU_CYCLE_1)
	s_and_b32 s13, vcc_lo, exec_lo
	s_or_b32 s3, s3, s13
	s_or_b32 exec_lo, exec_lo, s24
	s_and_saveexec_b32 s13, s3
	s_cbranch_execnz .LBB2_1200
	s_branch .LBB2_1201
.LBB2_1319:                             ;   in Loop: Header=BB2_1177 Depth=4
	s_mov_b32 s3, -1
	s_mov_b32 s34, exec_lo
                                        ; implicit-def: $sgpr13
	v_cmpx_eq_u16_e64 0x80, v151
; %bb.1320:                             ;   in Loop: Header=BB2_1177 Depth=4
	s_mov_b32 s13, 0x7f800001
	s_xor_b32 s3, exec_lo, -1
; %bb.1321:                             ;   in Loop: Header=BB2_1177 Depth=4
	s_or_b32 exec_lo, exec_lo, s34
	s_delay_alu instid0(SALU_CYCLE_1)
	s_and_b32 s3, s3, exec_lo
                                        ; implicit-def: $vgpr151
	s_or_saveexec_b32 s24, s24
	v_mov_b32_e32 v150, s13
	s_xor_b32 exec_lo, exec_lo, s24
	s_cbranch_execz .LBB2_1211
.LBB2_1322:                             ;   in Loop: Header=BB2_1177 Depth=4
	v_cmp_ne_u16_e64 vcc_lo, 0, v151
	v_mov_b32_e32 v150, 0
	s_and_not1_b32 s3, s3, exec_lo
	s_delay_alu instid0(VALU_DEP_2) | instskip(NEXT) | instid1(SALU_CYCLE_1)
	s_and_b32 s13, vcc_lo, exec_lo
	s_or_b32 s3, s3, s13
	s_or_b32 exec_lo, exec_lo, s24
	s_and_saveexec_b32 s13, s3
	s_cbranch_execnz .LBB2_1212
	s_branch .LBB2_1213
.LBB2_1323:                             ;   in Loop: Header=BB2_1177 Depth=4
	s_mov_b32 s3, -1
	s_mov_b32 s34, exec_lo
                                        ; implicit-def: $sgpr13
	v_cmpx_eq_u16_e64 0x80, v151
; %bb.1324:                             ;   in Loop: Header=BB2_1177 Depth=4
	s_mov_b32 s13, 0x7f800001
	s_xor_b32 s3, exec_lo, -1
; %bb.1325:                             ;   in Loop: Header=BB2_1177 Depth=4
	s_or_b32 exec_lo, exec_lo, s34
	s_delay_alu instid0(SALU_CYCLE_1)
	s_and_b32 s3, s3, exec_lo
                                        ; implicit-def: $vgpr151
	s_or_saveexec_b32 s24, s24
	v_mov_b32_e32 v149, s13
	s_xor_b32 exec_lo, exec_lo, s24
	s_cbranch_execz .LBB2_1215
.LBB2_1326:                             ;   in Loop: Header=BB2_1177 Depth=4
	v_cmp_ne_u16_e64 vcc_lo, 0, v151
	v_mov_b32_e32 v149, 0
	s_and_not1_b32 s3, s3, exec_lo
	s_delay_alu instid0(VALU_DEP_2) | instskip(NEXT) | instid1(SALU_CYCLE_1)
	s_and_b32 s13, vcc_lo, exec_lo
	s_or_b32 s3, s3, s13
	s_or_b32 exec_lo, exec_lo, s24
	s_and_saveexec_b32 s13, s3
	s_cbranch_execnz .LBB2_1216
	s_branch .LBB2_1217
.LBB2_1327:                             ;   in Loop: Header=BB2_1177 Depth=4
	s_mov_b32 s3, -1
	s_mov_b32 s34, exec_lo
                                        ; implicit-def: $sgpr13
	v_cmpx_eq_u16_e64 0x80, v150
; %bb.1328:                             ;   in Loop: Header=BB2_1177 Depth=4
	s_mov_b32 s13, 0x7f800001
	s_xor_b32 s3, exec_lo, -1
; %bb.1329:                             ;   in Loop: Header=BB2_1177 Depth=4
	s_or_b32 exec_lo, exec_lo, s34
	s_delay_alu instid0(SALU_CYCLE_1)
	s_and_b32 s3, s3, exec_lo
                                        ; implicit-def: $vgpr150
	s_or_saveexec_b32 s24, s24
	v_mov_b32_e32 v149, s13
	s_xor_b32 exec_lo, exec_lo, s24
	s_cbranch_execz .LBB2_1227
.LBB2_1330:                             ;   in Loop: Header=BB2_1177 Depth=4
	v_cmp_ne_u16_e64 vcc_lo, 0, v150
	v_mov_b32_e32 v149, 0
	s_and_not1_b32 s3, s3, exec_lo
	s_delay_alu instid0(VALU_DEP_2) | instskip(NEXT) | instid1(SALU_CYCLE_1)
	s_and_b32 s13, vcc_lo, exec_lo
	s_or_b32 s3, s3, s13
	s_or_b32 exec_lo, exec_lo, s24
	s_and_saveexec_b32 s13, s3
	s_cbranch_execnz .LBB2_1228
	s_branch .LBB2_1229
.LBB2_1331:                             ;   in Loop: Header=BB2_1177 Depth=4
	s_mov_b32 s3, -1
	s_mov_b32 s34, exec_lo
                                        ; implicit-def: $sgpr13
	v_cmpx_eq_u16_e64 0x80, v150
; %bb.1332:                             ;   in Loop: Header=BB2_1177 Depth=4
	s_mov_b32 s13, 0x7f800001
	s_xor_b32 s3, exec_lo, -1
; %bb.1333:                             ;   in Loop: Header=BB2_1177 Depth=4
	s_or_b32 exec_lo, exec_lo, s34
	s_delay_alu instid0(SALU_CYCLE_1)
	s_and_b32 s3, s3, exec_lo
                                        ; implicit-def: $vgpr150
	s_or_saveexec_b32 s24, s24
	v_mov_b32_e32 v148, s13
	s_xor_b32 exec_lo, exec_lo, s24
	s_cbranch_execz .LBB2_1231
.LBB2_1334:                             ;   in Loop: Header=BB2_1177 Depth=4
	v_cmp_ne_u16_e64 vcc_lo, 0, v150
	v_mov_b32_e32 v148, 0
	s_and_not1_b32 s3, s3, exec_lo
	s_delay_alu instid0(VALU_DEP_2) | instskip(NEXT) | instid1(SALU_CYCLE_1)
	s_and_b32 s13, vcc_lo, exec_lo
	s_or_b32 s3, s3, s13
	s_or_b32 exec_lo, exec_lo, s24
	s_and_saveexec_b32 s13, s3
	s_cbranch_execnz .LBB2_1232
	s_branch .LBB2_1233
.LBB2_1335:                             ;   in Loop: Header=BB2_1177 Depth=4
	s_mov_b32 s3, -1
	s_mov_b32 s34, exec_lo
                                        ; implicit-def: $sgpr13
	v_cmpx_eq_u16_e64 0x80, v149
; %bb.1336:                             ;   in Loop: Header=BB2_1177 Depth=4
	s_mov_b32 s13, 0x7f800001
	s_xor_b32 s3, exec_lo, -1
; %bb.1337:                             ;   in Loop: Header=BB2_1177 Depth=4
	s_or_b32 exec_lo, exec_lo, s34
	s_delay_alu instid0(SALU_CYCLE_1)
	s_and_b32 s3, s3, exec_lo
                                        ; implicit-def: $vgpr149
	s_or_saveexec_b32 s24, s24
	v_mov_b32_e32 v148, s13
	s_xor_b32 exec_lo, exec_lo, s24
	s_cbranch_execz .LBB2_1243
.LBB2_1338:                             ;   in Loop: Header=BB2_1177 Depth=4
	v_cmp_ne_u16_e64 vcc_lo, 0, v149
	v_mov_b32_e32 v148, 0
	s_and_not1_b32 s3, s3, exec_lo
	s_delay_alu instid0(VALU_DEP_2) | instskip(NEXT) | instid1(SALU_CYCLE_1)
	s_and_b32 s13, vcc_lo, exec_lo
	s_or_b32 s3, s3, s13
	s_or_b32 exec_lo, exec_lo, s24
	s_and_saveexec_b32 s13, s3
	s_cbranch_execnz .LBB2_1244
	s_branch .LBB2_1245
.LBB2_1339:                             ;   in Loop: Header=BB2_1177 Depth=4
	s_mov_b32 s3, -1
	s_mov_b32 s34, exec_lo
                                        ; implicit-def: $sgpr13
	v_cmpx_eq_u16_e64 0x80, v149
; %bb.1340:                             ;   in Loop: Header=BB2_1177 Depth=4
	s_mov_b32 s13, 0x7f800001
	s_xor_b32 s3, exec_lo, -1
; %bb.1341:                             ;   in Loop: Header=BB2_1177 Depth=4
	s_or_b32 exec_lo, exec_lo, s34
	s_delay_alu instid0(SALU_CYCLE_1)
	s_and_b32 s3, s3, exec_lo
                                        ; implicit-def: $vgpr149
	s_or_saveexec_b32 s24, s24
	v_mov_b32_e32 v146, s13
	s_xor_b32 exec_lo, exec_lo, s24
	s_cbranch_execz .LBB2_1247
.LBB2_1342:                             ;   in Loop: Header=BB2_1177 Depth=4
	v_cmp_ne_u16_e64 vcc_lo, 0, v149
	v_mov_b32_e32 v146, 0
	s_and_not1_b32 s3, s3, exec_lo
	s_delay_alu instid0(VALU_DEP_2) | instskip(NEXT) | instid1(SALU_CYCLE_1)
	s_and_b32 s13, vcc_lo, exec_lo
	s_or_b32 s3, s3, s13
	s_or_b32 exec_lo, exec_lo, s24
	s_and_saveexec_b32 s13, s3
	s_cbranch_execnz .LBB2_1248
	s_branch .LBB2_1249
.LBB2_1343:                             ;   in Loop: Header=BB2_1177 Depth=4
	s_mov_b32 s3, -1
	s_mov_b32 s34, exec_lo
                                        ; implicit-def: $sgpr13
	v_cmpx_eq_u16_e64 0x80, v148
; %bb.1344:                             ;   in Loop: Header=BB2_1177 Depth=4
	s_mov_b32 s13, 0x7f800001
	s_xor_b32 s3, exec_lo, -1
; %bb.1345:                             ;   in Loop: Header=BB2_1177 Depth=4
	s_or_b32 exec_lo, exec_lo, s34
	s_delay_alu instid0(SALU_CYCLE_1)
	s_and_b32 s3, s3, exec_lo
                                        ; implicit-def: $vgpr148
	s_or_saveexec_b32 s24, s24
	v_mov_b32_e32 v146, s13
	s_xor_b32 exec_lo, exec_lo, s24
	s_cbranch_execz .LBB2_1259
.LBB2_1346:                             ;   in Loop: Header=BB2_1177 Depth=4
	v_cmp_ne_u16_e64 vcc_lo, 0, v148
	v_mov_b32_e32 v146, 0
	s_and_not1_b32 s3, s3, exec_lo
	s_delay_alu instid0(VALU_DEP_2) | instskip(NEXT) | instid1(SALU_CYCLE_1)
	s_and_b32 s13, vcc_lo, exec_lo
	s_or_b32 s3, s3, s13
	s_or_b32 exec_lo, exec_lo, s24
	s_and_saveexec_b32 s13, s3
	s_cbranch_execnz .LBB2_1260
	s_branch .LBB2_1261
.LBB2_1347:                             ;   in Loop: Header=BB2_1177 Depth=4
	s_mov_b32 s3, -1
	s_mov_b32 s34, exec_lo
                                        ; implicit-def: $sgpr13
	v_cmpx_eq_u16_e64 0x80, v148
; %bb.1348:                             ;   in Loop: Header=BB2_1177 Depth=4
	s_mov_b32 s13, 0x7f800001
	s_xor_b32 s3, exec_lo, -1
; %bb.1349:                             ;   in Loop: Header=BB2_1177 Depth=4
	s_or_b32 exec_lo, exec_lo, s34
	s_delay_alu instid0(SALU_CYCLE_1)
	s_and_b32 s3, s3, exec_lo
                                        ; implicit-def: $vgpr148
	s_or_saveexec_b32 s24, s24
	v_mov_b32_e32 v135, s13
	s_xor_b32 exec_lo, exec_lo, s24
	s_cbranch_execz .LBB2_1263
.LBB2_1350:                             ;   in Loop: Header=BB2_1177 Depth=4
	v_cmp_ne_u16_e64 vcc_lo, 0, v148
	v_mov_b32_e32 v135, 0
	s_and_not1_b32 s3, s3, exec_lo
	s_delay_alu instid0(VALU_DEP_2) | instskip(NEXT) | instid1(SALU_CYCLE_1)
	s_and_b32 s13, vcc_lo, exec_lo
	s_or_b32 s3, s3, s13
	s_or_b32 exec_lo, exec_lo, s24
	s_and_saveexec_b32 s13, s3
	s_cbranch_execnz .LBB2_1264
	s_branch .LBB2_1265
.LBB2_1351:                             ;   in Loop: Header=BB2_1177 Depth=4
	s_mov_b32 s3, -1
	s_mov_b32 s34, exec_lo
                                        ; implicit-def: $sgpr13
	v_cmpx_eq_u16_e64 0x80, v146
; %bb.1352:                             ;   in Loop: Header=BB2_1177 Depth=4
	s_mov_b32 s13, 0x7f800001
	s_xor_b32 s3, exec_lo, -1
; %bb.1353:                             ;   in Loop: Header=BB2_1177 Depth=4
	s_or_b32 exec_lo, exec_lo, s34
	s_delay_alu instid0(SALU_CYCLE_1)
	s_and_b32 s3, s3, exec_lo
                                        ; implicit-def: $vgpr146
	s_or_saveexec_b32 s24, s24
	v_mov_b32_e32 v135, s13
	s_xor_b32 exec_lo, exec_lo, s24
	s_cbranch_execz .LBB2_1275
.LBB2_1354:                             ;   in Loop: Header=BB2_1177 Depth=4
	v_cmp_ne_u16_e64 vcc_lo, 0, v146
	v_mov_b32_e32 v135, 0
	s_and_not1_b32 s3, s3, exec_lo
	s_delay_alu instid0(VALU_DEP_2) | instskip(NEXT) | instid1(SALU_CYCLE_1)
	s_and_b32 s13, vcc_lo, exec_lo
	s_or_b32 s3, s3, s13
	s_or_b32 exec_lo, exec_lo, s24
	s_and_saveexec_b32 s13, s3
	s_cbranch_execnz .LBB2_1276
	s_branch .LBB2_1277
.LBB2_1355:                             ;   in Loop: Header=BB2_1177 Depth=4
	s_mov_b32 s3, -1
	s_mov_b32 s34, exec_lo
                                        ; implicit-def: $sgpr13
	v_cmpx_eq_u16_e64 0x80, v146
; %bb.1356:                             ;   in Loop: Header=BB2_1177 Depth=4
	s_mov_b32 s13, 0x7f800001
	s_xor_b32 s3, exec_lo, -1
; %bb.1357:                             ;   in Loop: Header=BB2_1177 Depth=4
	s_or_b32 exec_lo, exec_lo, s34
	s_delay_alu instid0(SALU_CYCLE_1)
	s_and_b32 s3, s3, exec_lo
                                        ; implicit-def: $vgpr146
	s_or_saveexec_b32 s24, s24
	v_mov_b32_e32 v132, s13
	s_xor_b32 exec_lo, exec_lo, s24
	s_cbranch_execz .LBB2_1279
.LBB2_1358:                             ;   in Loop: Header=BB2_1177 Depth=4
	v_cmp_ne_u16_e64 vcc_lo, 0, v146
	v_mov_b32_e32 v132, 0
	s_and_not1_b32 s3, s3, exec_lo
	s_delay_alu instid0(VALU_DEP_2) | instskip(NEXT) | instid1(SALU_CYCLE_1)
	s_and_b32 s13, vcc_lo, exec_lo
	s_or_b32 s3, s3, s13
	s_or_b32 exec_lo, exec_lo, s24
	s_and_saveexec_b32 s13, s3
	s_cbranch_execnz .LBB2_1280
	s_branch .LBB2_1281
.LBB2_1359:                             ;   in Loop: Header=BB2_1177 Depth=4
	s_mov_b32 s3, -1
	s_mov_b32 s34, exec_lo
                                        ; implicit-def: $sgpr13
	v_cmpx_eq_u16_e64 0x80, v135
; %bb.1360:                             ;   in Loop: Header=BB2_1177 Depth=4
	s_mov_b32 s13, 0x7f800001
	s_xor_b32 s3, exec_lo, -1
; %bb.1361:                             ;   in Loop: Header=BB2_1177 Depth=4
	s_or_b32 exec_lo, exec_lo, s34
	s_delay_alu instid0(SALU_CYCLE_1)
	s_and_b32 s3, s3, exec_lo
                                        ; implicit-def: $vgpr135
	s_or_saveexec_b32 s24, s24
	v_mov_b32_e32 v132, s13
	s_xor_b32 exec_lo, exec_lo, s24
	s_cbranch_execz .LBB2_1291
.LBB2_1362:                             ;   in Loop: Header=BB2_1177 Depth=4
	v_cmp_ne_u16_e64 vcc_lo, 0, v135
	v_mov_b32_e32 v132, 0
	s_and_not1_b32 s3, s3, exec_lo
	s_delay_alu instid0(VALU_DEP_2) | instskip(NEXT) | instid1(SALU_CYCLE_1)
	s_and_b32 s13, vcc_lo, exec_lo
	s_or_b32 s3, s3, s13
	s_or_b32 exec_lo, exec_lo, s24
	s_and_saveexec_b32 s13, s3
	s_cbranch_execnz .LBB2_1292
	s_branch .LBB2_1293
.LBB2_1363:                             ;   in Loop: Header=BB2_1177 Depth=4
	s_mov_b32 s3, -1
	s_mov_b32 s34, exec_lo
                                        ; implicit-def: $sgpr13
	v_cmpx_eq_u16_e64 0x80, v135
; %bb.1364:                             ;   in Loop: Header=BB2_1177 Depth=4
	s_mov_b32 s13, 0x7f800001
	s_xor_b32 s3, exec_lo, -1
; %bb.1365:                             ;   in Loop: Header=BB2_1177 Depth=4
	s_or_b32 exec_lo, exec_lo, s34
	s_delay_alu instid0(SALU_CYCLE_1)
	s_and_b32 s3, s3, exec_lo
                                        ; implicit-def: $vgpr135
	s_or_saveexec_b32 s24, s24
	v_mov_b32_e32 v69, s13
	s_xor_b32 exec_lo, exec_lo, s24
	s_cbranch_execz .LBB2_1295
.LBB2_1366:                             ;   in Loop: Header=BB2_1177 Depth=4
	v_cmp_ne_u16_e64 vcc_lo, 0, v135
	v_mov_b32_e32 v69, 0
	s_and_not1_b32 s3, s3, exec_lo
	s_delay_alu instid0(VALU_DEP_2) | instskip(NEXT) | instid1(SALU_CYCLE_1)
	s_and_b32 s13, vcc_lo, exec_lo
	s_or_b32 s3, s3, s13
	s_or_b32 exec_lo, exec_lo, s24
	s_and_saveexec_b32 s13, s3
	s_cbranch_execnz .LBB2_1296
	s_branch .LBB2_1297
.LBB2_1367:                             ;   in Loop: Header=BB2_305 Depth=3
	s_or_b32 exec_lo, exec_lo, s31
.LBB2_1368:                             ;   in Loop: Header=BB2_305 Depth=3
	s_delay_alu instid0(SALU_CYCLE_1) | instskip(SKIP_2) | instid1(VALU_DEP_1)
	s_or_b32 exec_lo, exec_lo, s30
	v_lshlrev_b32_e32 v8, 8, v67
	s_mov_b32 s3, exec_lo
	v_cmpx_ne_u32_e64 v15, v8
	s_cbranch_execz .LBB2_1397
; %bb.1369:                             ;   in Loop: Header=BB2_305 Depth=3
	v_ashrrev_i32_e32 v9, 31, v66
	v_lshlrev_b32_e32 v2, 5, v2
	s_delay_alu instid0(VALU_DEP_2) | instskip(NEXT) | instid1(VALU_DEP_1)
	v_lshrrev_b32_e32 v9, 27, v9
	v_add_nc_u32_e32 v9, v66, v9
	s_delay_alu instid0(VALU_DEP_1) | instskip(NEXT) | instid1(VALU_DEP_1)
	v_and_b32_e32 v9, 0xffffffe0, v9
	v_sub_nc_u32_e32 v9, v66, v9
	s_delay_alu instid0(VALU_DEP_1) | instskip(NEXT) | instid1(VALU_DEP_1)
	v_sub_nc_u32_e32 v2, v9, v2
	v_add_nc_u32_e32 v8, v8, v2
	s_delay_alu instid0(VALU_DEP_1) | instskip(NEXT) | instid1(VALU_DEP_1)
	v_sub_nc_u32_e32 v2, v15, v8
	v_cmp_lt_i32_e32 vcc_lo, 0, v2
	s_and_b32 exec_lo, exec_lo, vcc_lo
	s_cbranch_execz .LBB2_1397
; %bb.1370:                             ;   in Loop: Header=BB2_305 Depth=3
	s_cbranch_execnz .LBB2_4676
; %bb.1371:                             ;   in Loop: Header=BB2_305 Depth=3
	ds_load_b128 v[9:12], v0
	ds_load_b64 v[66:67], v0
	v_add_nc_u32_e32 v13, v8, v14
	s_mov_b32 s30, 0
	s_delay_alu instid0(VALU_DEP_1) | instskip(SKIP_2) | instid1(VALU_DEP_2)
	v_ashrrev_i32_e32 v14, 31, v13
	s_waitcnt lgkmcnt(1)
	v_add_co_u32 v8, vcc_lo, v9, v13
	v_add_co_ci_u32_e32 v9, vcc_lo, v10, v14, vcc_lo
	v_add_co_u32 v10, vcc_lo, v11, v13
	v_add_co_ci_u32_e32 v11, vcc_lo, v12, v14, vcc_lo
	s_waitcnt lgkmcnt(0)
	v_add_co_u32 v12, vcc_lo, v66, v13
	v_add_co_ci_u32_e32 v13, vcc_lo, v67, v14, vcc_lo
	s_branch .LBB2_1375
.LBB2_1372:                             ;   in Loop: Header=BB2_1375 Depth=4
	s_or_b32 exec_lo, exec_lo, s13
	s_delay_alu instid0(VALU_DEP_1) | instskip(NEXT) | instid1(VALU_DEP_2)
	v_lshrrev_b32_e32 v66, 20, v66
	v_cmp_gt_i32_e32 vcc_lo, 16, v15
	v_lshrrev_b32_e32 v14, 24, v14
	v_min_i32_e32 v67, 15, v15
	s_delay_alu instid0(VALU_DEP_4) | instskip(NEXT) | instid1(VALU_DEP_3)
	v_cndmask_b32_e32 v66, 7, v66, vcc_lo
	v_and_b32_e32 v14, 0x80, v14
	s_delay_alu instid0(VALU_DEP_3) | instskip(NEXT) | instid1(VALU_DEP_3)
	v_lshlrev_b32_e32 v67, 3, v67
	v_and_b32_e32 v68, 7, v66
	v_or_b32_e32 v15, v15, v66
	s_delay_alu instid0(VALU_DEP_2) | instskip(NEXT) | instid1(VALU_DEP_2)
	v_or3_b32 v14, v67, v14, v68
	v_cmp_ne_u32_e32 vcc_lo, 0, v15
	s_delay_alu instid0(VALU_DEP_2)
	v_cndmask_b32_e32 v15, 0, v14, vcc_lo
.LBB2_1373:                             ;   in Loop: Header=BB2_1375 Depth=4
	s_or_b32 exec_lo, exec_lo, s31
.LBB2_1374:                             ;   in Loop: Header=BB2_1375 Depth=4
	s_delay_alu instid0(SALU_CYCLE_1)
	s_or_b32 exec_lo, exec_lo, s24
	v_add_co_u32 v8, vcc_lo, v8, v114
	v_sub_nc_u32_e32 v2, v2, v99
	v_add_co_ci_u32_e32 v9, vcc_lo, v9, v115, vcc_lo
	v_add_co_u32 v10, vcc_lo, v10, v114
	v_add_co_ci_u32_e32 v11, vcc_lo, v11, v115, vcc_lo
	flat_store_b8 v[12:13], v15 glc slc dlc
	v_cmp_gt_i32_e32 vcc_lo, 1, v2
	v_add_co_u32 v12, s13, v12, v114
	s_delay_alu instid0(VALU_DEP_1) | instskip(SKIP_1) | instid1(SALU_CYCLE_1)
	v_add_co_ci_u32_e64 v13, s13, v13, v115, s13
	s_or_b32 s30, vcc_lo, s30
	s_and_not1_b32 exec_lo, exec_lo, s30
	s_cbranch_execz .LBB2_1397
.LBB2_1375:                             ;   Parent Loop BB2_51 Depth=1
                                        ;     Parent Loop BB2_303 Depth=2
                                        ;       Parent Loop BB2_305 Depth=3
                                        ; =>      This Inner Loop Header: Depth=4
	flat_load_u8 v66, v[8:9] slc dlc
	flat_load_u8 v14, v[10:11] slc dlc
	s_mov_b32 s13, 0
	s_mov_b32 s31, exec_lo
                                        ; implicit-def: $sgpr24
	s_waitcnt vmcnt(1) lgkmcnt(1)
	v_cmpx_lt_i16_e32 0x7f, v66
	s_xor_b32 s31, exec_lo, s31
	s_cbranch_execnz .LBB2_1389
; %bb.1376:                             ;   in Loop: Header=BB2_1375 Depth=4
	s_or_saveexec_b32 s31, s31
	v_mov_b32_e32 v15, s24
	s_xor_b32 exec_lo, exec_lo, s31
	s_cbranch_execnz .LBB2_1392
.LBB2_1377:                             ;   in Loop: Header=BB2_1375 Depth=4
	s_or_b32 exec_lo, exec_lo, s31
	s_and_saveexec_b32 s24, s13
	s_cbranch_execz .LBB2_1379
.LBB2_1378:                             ;   in Loop: Header=BB2_1375 Depth=4
	v_and_b32_e32 v15, 0xffff, v66
	s_delay_alu instid0(VALU_DEP_1) | instskip(NEXT) | instid1(VALU_DEP_1)
	v_and_b32_e32 v67, 7, v15
	v_clz_i32_u32_e32 v68, v67
	s_delay_alu instid0(VALU_DEP_1) | instskip(NEXT) | instid1(VALU_DEP_1)
	v_min_u32_e32 v68, 32, v68
	v_subrev_nc_u32_e32 v69, 28, v68
	v_sub_nc_u32_e32 v68, 29, v68
	s_delay_alu instid0(VALU_DEP_2) | instskip(SKIP_1) | instid1(VALU_DEP_2)
	v_lshlrev_b32_e32 v69, v69, v15
	v_bfe_u32 v15, v15, 3, 4
	v_and_b32_e32 v69, 7, v69
	s_delay_alu instid0(VALU_DEP_2) | instskip(SKIP_1) | instid1(VALU_DEP_1)
	v_cmp_eq_u32_e32 vcc_lo, 0, v15
	v_dual_cndmask_b32 v15, v15, v68 :: v_dual_lshlrev_b32 v66, 24, v66
	v_dual_cndmask_b32 v67, v67, v69 :: v_dual_and_b32 v66, 0x80000000, v66
	s_delay_alu instid0(VALU_DEP_2) | instskip(NEXT) | instid1(VALU_DEP_2)
	v_lshl_add_u32 v15, v15, 23, 0x3b800000
	v_lshlrev_b32_e32 v67, 20, v67
	s_delay_alu instid0(VALU_DEP_1)
	v_or3_b32 v15, v66, v15, v67
.LBB2_1379:                             ;   in Loop: Header=BB2_1375 Depth=4
	s_or_b32 exec_lo, exec_lo, s24
	s_waitcnt vmcnt(0) lgkmcnt(0)
	v_and_b32_e32 v67, 0xff, v14
	s_mov_b32 s13, 0
	s_mov_b32 s31, exec_lo
                                        ; implicit-def: $sgpr24
	s_delay_alu instid0(VALU_DEP_1)
	v_cmpx_lt_i16_e32 0x7f, v67
	s_xor_b32 s31, exec_lo, s31
	s_cbranch_execnz .LBB2_1393
; %bb.1380:                             ;   in Loop: Header=BB2_1375 Depth=4
	s_or_saveexec_b32 s31, s31
	v_mov_b32_e32 v66, s24
	s_xor_b32 exec_lo, exec_lo, s31
	s_cbranch_execnz .LBB2_1396
.LBB2_1381:                             ;   in Loop: Header=BB2_1375 Depth=4
	s_or_b32 exec_lo, exec_lo, s31
	s_and_saveexec_b32 s24, s13
	s_cbranch_execz .LBB2_1383
.LBB2_1382:                             ;   in Loop: Header=BB2_1375 Depth=4
	v_lshrrev_b16 v69, 3, v14
	s_delay_alu instid0(VALU_DEP_1) | instskip(NEXT) | instid1(VALU_DEP_1)
	v_and_b32_e32 v69, 15, v69
	v_cmp_eq_u32_e32 vcc_lo, 0, v69
	v_and_b32_e32 v66, 7, v14
	s_delay_alu instid0(VALU_DEP_1) | instskip(NEXT) | instid1(VALU_DEP_1)
	v_clz_i32_u32_e32 v67, v66
	v_min_u32_e32 v67, 32, v67
	s_delay_alu instid0(VALU_DEP_1) | instskip(SKIP_1) | instid1(VALU_DEP_1)
	v_subrev_nc_u32_e32 v68, 28, v67
	v_sub_nc_u32_e32 v67, 29, v67
	v_dual_cndmask_b32 v67, v69, v67 :: v_dual_lshlrev_b32 v68, v68, v14
	v_lshlrev_b32_e32 v14, 24, v14
	s_delay_alu instid0(VALU_DEP_2) | instskip(NEXT) | instid1(VALU_DEP_3)
	v_and_b32_e32 v68, 7, v68
	v_lshl_add_u32 v67, v67, 23, 0x3b800000
	s_delay_alu instid0(VALU_DEP_3) | instskip(NEXT) | instid1(VALU_DEP_3)
	v_and_b32_e32 v14, 0x80000000, v14
	v_cndmask_b32_e32 v66, v66, v68, vcc_lo
	s_delay_alu instid0(VALU_DEP_1) | instskip(NEXT) | instid1(VALU_DEP_1)
	v_lshlrev_b32_e32 v66, 20, v66
	v_or3_b32 v66, v14, v67, v66
.LBB2_1383:                             ;   in Loop: Header=BB2_1375 Depth=4
	s_or_b32 exec_lo, exec_lo, s24
	s_delay_alu instid0(VALU_DEP_1) | instskip(NEXT) | instid1(VALU_DEP_1)
	v_add_f32_e32 v14, v15, v66
	v_and_b32_e32 v15, 0x7f800000, v14
	s_delay_alu instid0(VALU_DEP_1)
	v_cmp_ne_u32_e32 vcc_lo, 0x7f800000, v15
	v_mov_b32_e32 v15, 0x80
	s_and_saveexec_b32 s24, vcc_lo
	s_cbranch_execz .LBB2_1374
; %bb.1384:                             ;   in Loop: Header=BB2_1375 Depth=4
	v_mov_b32_e32 v15, 0
	s_mov_b32 s31, exec_lo
	v_cmpx_ne_u32_e32 0, v14
	s_cbranch_execz .LBB2_1373
; %bb.1385:                             ;   in Loop: Header=BB2_1375 Depth=4
	v_bfe_u32 v15, v14, 23, 8
	s_delay_alu instid0(VALU_DEP_1) | instskip(SKIP_1) | instid1(VALU_DEP_2)
	v_sub_nc_u32_e32 v67, 0x78, v15
	v_cmp_gt_u32_e32 vcc_lo, 0x79, v15
	v_dual_cndmask_b32 v67, 0, v67 :: v_dual_and_b32 v66, 0x7fffff, v14
	s_delay_alu instid0(VALU_DEP_1) | instskip(SKIP_2) | instid1(VALU_DEP_4)
	v_or_b32_e32 v68, 0x800000, v66
	v_cmp_eq_u32_e32 vcc_lo, 0, v15
	v_add_nc_u32_e32 v15, 0xffffff89, v15
	v_cndmask_b32_e64 v67, v67, 0x77, vcc_lo
	s_delay_alu instid0(VALU_DEP_4) | instskip(NEXT) | instid1(VALU_DEP_3)
	v_cndmask_b32_e32 v66, v68, v66, vcc_lo
	v_cndmask_b32_e64 v15, v15, 0xffffff8a, vcc_lo
	s_delay_alu instid0(VALU_DEP_3) | instskip(NEXT) | instid1(VALU_DEP_3)
	v_lshl_add_u32 v68, 0x100000, v67, -1
	v_lshrrev_b32_e32 v69, v67, v66
	v_lshlrev_b32_e64 v71, v67, 0x80000
	s_delay_alu instid0(VALU_DEP_4) | instskip(NEXT) | instid1(VALU_DEP_4)
	v_add_nc_u32_e32 v67, v67, v15
	v_and_b32_e32 v66, v68, v66
	s_delay_alu instid0(VALU_DEP_4) | instskip(NEXT) | instid1(VALU_DEP_2)
	v_bfe_u32 v70, v69, 20, 1
	v_cmp_eq_u32_e64 s13, v66, v71
	s_delay_alu instid0(VALU_DEP_2) | instskip(NEXT) | instid1(VALU_DEP_1)
	v_add_nc_u32_e32 v68, -1, v70
	v_cndmask_b32_e64 v66, 0, v68, s13
	v_lshrrev_b32_e32 v68, 23, v69
	s_mov_b32 s13, exec_lo
	s_delay_alu instid0(VALU_DEP_2) | instskip(NEXT) | instid1(VALU_DEP_2)
	v_add_nc_u32_e32 v66, v66, v69
	v_xor_b32_e32 v68, 1, v68
	s_delay_alu instid0(VALU_DEP_2) | instskip(NEXT) | instid1(VALU_DEP_1)
	v_and_b32_e32 v15, 0xfffff, v66
	v_add_nc_u32_e32 v66, v15, v69
                                        ; implicit-def: $vgpr15
	s_delay_alu instid0(VALU_DEP_3)
	v_cmpx_ne_u32_e64 v67, v68
	s_xor_b32 s13, exec_lo, s13
; %bb.1386:                             ;   in Loop: Header=BB2_1375 Depth=4
	s_delay_alu instid0(VALU_DEP_2) | instskip(SKIP_2) | instid1(VALU_DEP_2)
	v_cmp_lt_u32_e32 vcc_lo, 0xffffff, v66
	v_sub_nc_u32_e32 v15, v67, v68
	v_cndmask_b32_e64 v67, 0, 1, vcc_lo
	v_add_co_ci_u32_e32 v15, vcc_lo, 0, v15, vcc_lo
	s_delay_alu instid0(VALU_DEP_2)
	v_lshrrev_b32_e32 v66, v67, v66
; %bb.1387:                             ;   in Loop: Header=BB2_1375 Depth=4
	s_and_not1_saveexec_b32 s13, s13
	s_cbranch_execz .LBB2_1372
; %bb.1388:                             ;   in Loop: Header=BB2_1375 Depth=4
	s_delay_alu instid0(VALU_DEP_1)
	v_bfe_u32 v15, v66, 23, 1
	s_branch .LBB2_1372
.LBB2_1389:                             ;   in Loop: Header=BB2_1375 Depth=4
	s_mov_b32 s13, -1
	s_mov_b32 s34, exec_lo
                                        ; implicit-def: $sgpr24
	v_cmpx_eq_u16_e32 0x80, v66
; %bb.1390:                             ;   in Loop: Header=BB2_1375 Depth=4
	s_mov_b32 s24, 0x7f800001
	s_xor_b32 s13, exec_lo, -1
; %bb.1391:                             ;   in Loop: Header=BB2_1375 Depth=4
	s_or_b32 exec_lo, exec_lo, s34
	s_delay_alu instid0(SALU_CYCLE_1)
	s_and_b32 s13, s13, exec_lo
	s_or_saveexec_b32 s31, s31
	v_mov_b32_e32 v15, s24
	s_xor_b32 exec_lo, exec_lo, s31
	s_cbranch_execz .LBB2_1377
.LBB2_1392:                             ;   in Loop: Header=BB2_1375 Depth=4
	v_cmp_ne_u16_e32 vcc_lo, 0, v66
	v_mov_b32_e32 v15, 0
	s_and_not1_b32 s13, s13, exec_lo
	s_and_b32 s24, vcc_lo, exec_lo
	s_delay_alu instid0(SALU_CYCLE_1)
	s_or_b32 s13, s13, s24
	s_or_b32 exec_lo, exec_lo, s31
	s_and_saveexec_b32 s24, s13
	s_cbranch_execnz .LBB2_1378
	s_branch .LBB2_1379
.LBB2_1393:                             ;   in Loop: Header=BB2_1375 Depth=4
	s_mov_b32 s13, -1
	s_mov_b32 s34, exec_lo
                                        ; implicit-def: $sgpr24
	v_cmpx_eq_u16_e32 0x80, v67
; %bb.1394:                             ;   in Loop: Header=BB2_1375 Depth=4
	s_mov_b32 s24, 0x7f800001
	s_xor_b32 s13, exec_lo, -1
; %bb.1395:                             ;   in Loop: Header=BB2_1375 Depth=4
	s_or_b32 exec_lo, exec_lo, s34
	s_delay_alu instid0(SALU_CYCLE_1)
	s_and_b32 s13, s13, exec_lo
                                        ; implicit-def: $vgpr67
	s_or_saveexec_b32 s31, s31
	v_mov_b32_e32 v66, s24
	s_xor_b32 exec_lo, exec_lo, s31
	s_cbranch_execz .LBB2_1381
.LBB2_1396:                             ;   in Loop: Header=BB2_1375 Depth=4
	v_cmp_ne_u16_e32 vcc_lo, 0, v67
	v_mov_b32_e32 v66, 0
	s_and_not1_b32 s13, s13, exec_lo
	s_and_b32 s24, vcc_lo, exec_lo
	s_delay_alu instid0(SALU_CYCLE_1)
	s_or_b32 s13, s13, s24
	s_or_b32 exec_lo, exec_lo, s31
	s_and_saveexec_b32 s24, s13
	s_cbranch_execnz .LBB2_1382
	s_branch .LBB2_1383
.LBB2_1397:                             ;   in Loop: Header=BB2_305 Depth=3
	s_or_b32 exec_lo, exec_lo, s3
.LBB2_1398:                             ;   in Loop: Header=BB2_305 Depth=3
	s_delay_alu instid0(SALU_CYCLE_1)
	s_or_b32 exec_lo, exec_lo, s14
.LBB2_1399:                             ;   in Loop: Header=BB2_305 Depth=3
	s_and_saveexec_b32 s3, s37
	s_cbranch_execz .LBB2_1421
; %bb.1400:                             ;   in Loop: Header=BB2_305 Depth=3
	s_and_saveexec_b32 s13, s4
	s_delay_alu instid0(SALU_CYCLE_1)
	s_xor_b32 s13, exec_lo, s13
	s_cbranch_execz .LBB2_1418
; %bb.1401:                             ;   in Loop: Header=BB2_305 Depth=3
	s_and_saveexec_b32 s14, s1
	s_cbranch_execz .LBB2_1417
; %bb.1402:                             ;   in Loop: Header=BB2_305 Depth=3
	s_mov_b32 s30, exec_lo
	s_mov_b32 s24, exec_lo
	v_mbcnt_lo_u32_b32 v2, s30, 0
	s_waitcnt lgkmcnt(0)
	s_waitcnt_vscnt null, 0x0
	buffer_gl1_inv
	buffer_gl0_inv
	v_cmpx_eq_u32_e32 0, v2
	s_cbranch_execz .LBB2_1404
; %bb.1403:                             ;   in Loop: Header=BB2_305 Depth=3
	s_bcnt1_i32_b32 vcc_lo, s30
	s_delay_alu instid0(SALU_CYCLE_1)
	v_mov_b32_e32 v2, vcc_lo
	ds_add_u64 v0, v[2:3]
	s_cbranch_execnz .LBB2_4656
.LBB2_1404:                             ;   in Loop: Header=BB2_305 Depth=3
	s_or_b32 exec_lo, exec_lo, s24
	s_cbranch_execnz .LBB2_4632
; %bb.1405:                             ;   in Loop: Header=BB2_305 Depth=3
	ds_load_b64 v[8:9], v0
	v_add_co_u32 v32, vcc_lo, v32, v83
	v_add_co_ci_u32_e32 v33, vcc_lo, 0, v33, vcc_lo
	s_mov_b32 s24, exec_lo
	s_waitcnt lgkmcnt(0)
	s_delay_alu instid0(VALU_DEP_1)
	v_cmpx_lt_u64_e64 v[8:9], v[32:33]
	s_cbranch_execz .LBB2_1416
; %bb.1406:                             ;   in Loop: Header=BB2_305 Depth=3
	s_mov_b32 s30, 0
	s_mov_b32 s35, 0
                                        ; implicit-def: $sgpr31
                                        ; implicit-def: $sgpr34
	s_branch .LBB2_1408
.LBB2_1407:                             ;   in Loop: Header=BB2_1408 Depth=4
	s_or_b32 exec_lo, exec_lo, s38
	s_delay_alu instid0(SALU_CYCLE_1) | instskip(NEXT) | instid1(SALU_CYCLE_1)
	s_and_b32 vcc_lo, exec_lo, vcc_lo
	s_or_b32 s30, vcc_lo, s30
	s_and_not1_b32 vcc_lo, s31, exec_lo
	s_and_b32 s31, s34, exec_lo
	s_delay_alu instid0(SALU_CYCLE_1)
	s_or_b32 s31, vcc_lo, s31
	s_and_not1_b32 exec_lo, exec_lo, s30
	s_cbranch_execz .LBB2_1414
.LBB2_1408:                             ;   Parent Loop BB2_51 Depth=1
                                        ;     Parent Loop BB2_303 Depth=2
                                        ;       Parent Loop BB2_305 Depth=3
                                        ; =>      This Inner Loop Header: Depth=4
	s_add_i32 s35, s35, 1
                                        ; implicit-def: $sgpr38
	s_delay_alu instid0(SALU_CYCLE_1) | instskip(SKIP_1) | instid1(SALU_CYCLE_1)
	s_cmpk_lg_i32 s35, 0x2710
	s_cselect_b32 s36, -1, 0
	s_and_b32 vcc_lo, exec_lo, s36
	s_cbranch_vccz .LBB2_1412
.LBB2_1409:                             ;   in Loop: Header=BB2_1408 Depth=4
	s_and_not1_b32 s34, s34, exec_lo
	s_and_b32 s38, s38, exec_lo
	s_mov_b32 vcc_lo, -1
	s_or_b32 s34, s34, s38
	s_and_saveexec_b32 s38, s36
	s_cbranch_execz .LBB2_1407
; %bb.1410:                             ;   in Loop: Header=BB2_1408 Depth=4
	s_sleep 1
	s_cbranch_execnz .LBB2_4710
; %bb.1411:                             ;   in Loop: Header=BB2_1408 Depth=4
	ds_load_b64 v[8:9], v0
	s_and_not1_b32 s34, s34, exec_lo
	s_waitcnt lgkmcnt(0)
	v_cmp_ge_u64_e32 vcc_lo, v[8:9], v[32:33]
	s_or_not1_b32 vcc_lo, vcc_lo, exec_lo
	s_branch .LBB2_1407
.LBB2_1412:                             ;   in Loop: Header=BB2_1408 Depth=4
	s_cbranch_execnz .LBB2_4722
; %bb.1413:                             ;   in Loop: Header=BB2_1408 Depth=4
	ds_load_b64 v[8:9], v0
	s_and_not1_b32 s36, s36, exec_lo
	s_mov_b32 s35, 0
	s_mov_b32 s38, -1
	s_waitcnt lgkmcnt(0)
	flat_load_b32 v2, v[8:9] glc
	s_waitcnt vmcnt(0) lgkmcnt(0)
	buffer_gl1_inv
	buffer_gl0_inv
	v_cmp_eq_u32_e32 vcc_lo, 0, v2
	s_and_b32 vcc_lo, vcc_lo, exec_lo
	s_delay_alu instid0(SALU_CYCLE_1)
	s_or_b32 s36, s36, vcc_lo
	s_branch .LBB2_1409
.LBB2_1414:                             ;   in Loop: Header=BB2_305 Depth=3
	s_or_b32 exec_lo, exec_lo, s30
	s_and_saveexec_b32 vcc_lo, s31
	s_delay_alu instid0(SALU_CYCLE_1)
	s_xor_b32 vcc_lo, exec_lo, vcc_lo
	s_cbranch_execz .LBB2_1416
; %bb.1415:                             ;   in Loop: Header=BB2_305 Depth=3
	ds_store_b32 v0, v119
	s_cbranch_execnz .LBB2_4854
.LBB2_1416:                             ;   in Loop: Header=BB2_305 Depth=3
	s_or_b32 exec_lo, exec_lo, s24
	;;#ASMSTART
	s_wakeup
	;;#ASMEND
.LBB2_1417:                             ;   in Loop: Header=BB2_305 Depth=3
	s_or_b32 exec_lo, exec_lo, s14
.LBB2_1418:                             ;   in Loop: Header=BB2_305 Depth=3
	s_and_not1_saveexec_b32 s13, s13
	s_cbranch_execz .LBB2_1420
; %bb.1419:                             ;   in Loop: Header=BB2_305 Depth=3
	s_waitcnt lgkmcnt(0)
	s_waitcnt_vscnt null, 0x0
	buffer_gl1_inv
	buffer_gl0_inv
	s_barrier
.LBB2_1420:                             ;   in Loop: Header=BB2_305 Depth=3
	s_or_b32 exec_lo, exec_lo, s13
.LBB2_1421:                             ;   in Loop: Header=BB2_305 Depth=3
	s_delay_alu instid0(SALU_CYCLE_1) | instskip(SKIP_1) | instid1(SALU_CYCLE_1)
	s_or_b32 exec_lo, exec_lo, s3
                                        ; implicit-def: $vgpr2
	s_and_saveexec_b32 s3, s7
	s_xor_b32 s3, exec_lo, s3
	s_cbranch_execz .LBB2_1425
; %bb.1422:                             ;   in Loop: Header=BB2_305 Depth=3
	v_and_b32_e32 v2, 16, v30
	v_cmp_lt_i32_e32 vcc_lo, 0, v55
	s_delay_alu instid0(VALU_DEP_2) | instskip(SKIP_1) | instid1(VALU_DEP_2)
	v_cmp_ne_u32_e64 s13, 0, v2
	v_and_b32_e32 v2, 16, v30
	s_and_b32 s14, s13, vcc_lo
	s_delay_alu instid0(SALU_CYCLE_1)
	s_and_saveexec_b32 s13, s14
	s_cbranch_execz .LBB2_1424
; %bb.1423:                             ;   in Loop: Header=BB2_305 Depth=3
	v_mov_b32_e32 v2, 1
	s_waitcnt lgkmcnt(0)
	s_waitcnt_vscnt null, 0x0
	buffer_gl1_inv
	buffer_gl0_inv
.LBB2_1424:                             ;   in Loop: Header=BB2_305 Depth=3
	s_or_b32 exec_lo, exec_lo, s13
.LBB2_1425:                             ;   in Loop: Header=BB2_305 Depth=3
	s_and_not1_saveexec_b32 s3, s3
	s_cbranch_execz .LBB2_1447
; %bb.1426:                             ;   in Loop: Header=BB2_305 Depth=3
	s_and_saveexec_b32 s13, s4
	s_delay_alu instid0(SALU_CYCLE_1)
	s_xor_b32 s13, exec_lo, s13
	s_cbranch_execz .LBB2_1444
; %bb.1427:                             ;   in Loop: Header=BB2_305 Depth=3
	s_and_saveexec_b32 s14, s1
	s_cbranch_execz .LBB2_1443
; %bb.1428:                             ;   in Loop: Header=BB2_305 Depth=3
	s_mov_b32 s30, exec_lo
	s_mov_b32 s24, exec_lo
	v_mbcnt_lo_u32_b32 v2, s30, 0
	;;#ASMSTART
	s_waitcnt lgkmcnt(0) vmcnt(0)
	;;#ASMEND
	s_delay_alu instid0(VALU_DEP_1)
	v_cmpx_eq_u32_e32 0, v2
	s_cbranch_execz .LBB2_1430
; %bb.1429:                             ;   in Loop: Header=BB2_305 Depth=3
	s_bcnt1_i32_b32 vcc_lo, s30
	s_delay_alu instid0(SALU_CYCLE_1)
	v_mov_b32_e32 v2, vcc_lo
	ds_add_u64 v0, v[2:3]
	s_cbranch_execnz .LBB2_4658
.LBB2_1430:                             ;   in Loop: Header=BB2_305 Depth=3
	s_or_b32 exec_lo, exec_lo, s24
	s_cbranch_execnz .LBB2_4636
; %bb.1431:                             ;   in Loop: Header=BB2_305 Depth=3
	ds_load_b64 v[8:9], v0
	v_add_co_u32 v32, vcc_lo, v32, v83
	v_add_co_ci_u32_e32 v33, vcc_lo, 0, v33, vcc_lo
	s_mov_b32 s24, exec_lo
	s_waitcnt lgkmcnt(0)
	s_delay_alu instid0(VALU_DEP_1)
	v_cmpx_lt_u64_e64 v[8:9], v[32:33]
	s_cbranch_execz .LBB2_1442
; %bb.1432:                             ;   in Loop: Header=BB2_305 Depth=3
	s_mov_b32 s30, 0
	s_mov_b32 s35, 0
                                        ; implicit-def: $sgpr31
                                        ; implicit-def: $sgpr34
	s_branch .LBB2_1434
.LBB2_1433:                             ;   in Loop: Header=BB2_1434 Depth=4
	s_or_b32 exec_lo, exec_lo, s38
	s_delay_alu instid0(SALU_CYCLE_1) | instskip(NEXT) | instid1(SALU_CYCLE_1)
	s_and_b32 vcc_lo, exec_lo, vcc_lo
	s_or_b32 s30, vcc_lo, s30
	s_and_not1_b32 vcc_lo, s31, exec_lo
	s_and_b32 s31, s34, exec_lo
	s_delay_alu instid0(SALU_CYCLE_1)
	s_or_b32 s31, vcc_lo, s31
	s_and_not1_b32 exec_lo, exec_lo, s30
	s_cbranch_execz .LBB2_1440
.LBB2_1434:                             ;   Parent Loop BB2_51 Depth=1
                                        ;     Parent Loop BB2_303 Depth=2
                                        ;       Parent Loop BB2_305 Depth=3
                                        ; =>      This Inner Loop Header: Depth=4
	s_add_i32 s35, s35, 1
                                        ; implicit-def: $sgpr38
	s_delay_alu instid0(SALU_CYCLE_1) | instskip(SKIP_1) | instid1(SALU_CYCLE_1)
	s_cmpk_lg_i32 s35, 0x2710
	s_cselect_b32 s36, -1, 0
	s_and_b32 vcc_lo, exec_lo, s36
	s_cbranch_vccz .LBB2_1438
.LBB2_1435:                             ;   in Loop: Header=BB2_1434 Depth=4
	s_and_not1_b32 s34, s34, exec_lo
	s_and_b32 s38, s38, exec_lo
	s_mov_b32 vcc_lo, -1
	s_or_b32 s34, s34, s38
	s_and_saveexec_b32 s38, s36
	s_cbranch_execz .LBB2_1433
; %bb.1436:                             ;   in Loop: Header=BB2_1434 Depth=4
	s_sleep 1
	s_cbranch_execnz .LBB2_4712
; %bb.1437:                             ;   in Loop: Header=BB2_1434 Depth=4
	ds_load_b64 v[8:9], v0
	s_and_not1_b32 s34, s34, exec_lo
	s_waitcnt lgkmcnt(0)
	v_cmp_ge_u64_e32 vcc_lo, v[8:9], v[32:33]
	s_or_not1_b32 vcc_lo, vcc_lo, exec_lo
	s_branch .LBB2_1433
.LBB2_1438:                             ;   in Loop: Header=BB2_1434 Depth=4
	s_cbranch_execnz .LBB2_4730
; %bb.1439:                             ;   in Loop: Header=BB2_1434 Depth=4
	ds_load_b64 v[8:9], v0
	s_and_not1_b32 s36, s36, exec_lo
	s_mov_b32 s35, 0
	s_mov_b32 s38, -1
	s_waitcnt lgkmcnt(0)
	s_waitcnt_vscnt null, 0x0
	flat_load_b32 v2, v[8:9] glc
	s_waitcnt vmcnt(0) lgkmcnt(0)
	buffer_gl1_inv
	buffer_gl0_inv
	v_cmp_eq_u32_e32 vcc_lo, 0, v2
	s_and_b32 vcc_lo, vcc_lo, exec_lo
	s_delay_alu instid0(SALU_CYCLE_1)
	s_or_b32 s36, s36, vcc_lo
	s_branch .LBB2_1435
.LBB2_1440:                             ;   in Loop: Header=BB2_305 Depth=3
	s_or_b32 exec_lo, exec_lo, s30
	s_and_saveexec_b32 vcc_lo, s31
	s_delay_alu instid0(SALU_CYCLE_1)
	s_xor_b32 vcc_lo, exec_lo, vcc_lo
	s_cbranch_execz .LBB2_1442
; %bb.1441:                             ;   in Loop: Header=BB2_305 Depth=3
	ds_store_b32 v0, v119
	s_cbranch_execnz .LBB2_4856
.LBB2_1442:                             ;   in Loop: Header=BB2_305 Depth=3
	s_or_b32 exec_lo, exec_lo, s24
	;;#ASMSTART
	s_wakeup
	;;#ASMEND
.LBB2_1443:                             ;   in Loop: Header=BB2_305 Depth=3
	s_or_b32 exec_lo, exec_lo, s14
.LBB2_1444:                             ;   in Loop: Header=BB2_305 Depth=3
	s_and_not1_saveexec_b32 s13, s13
	s_cbranch_execz .LBB2_1446
; %bb.1445:                             ;   in Loop: Header=BB2_305 Depth=3
	;;#ASMSTART
	s_waitcnt lgkmcnt(0) vmcnt(0)
	;;#ASMEND
	s_waitcnt lgkmcnt(0)
	s_waitcnt_vscnt null, 0x0
	s_barrier
.LBB2_1446:                             ;   in Loop: Header=BB2_305 Depth=3
	s_or_b32 exec_lo, exec_lo, s13
	v_and_b32_e32 v2, 16, v30
.LBB2_1447:                             ;   in Loop: Header=BB2_305 Depth=3
	s_or_b32 exec_lo, exec_lo, s3
	s_delay_alu instid0(VALU_DEP_1) | instskip(SKIP_1) | instid1(SALU_CYCLE_1)
	v_cmp_ne_u32_e32 vcc_lo, 0, v2
	s_xor_b32 s3, s10, -1
	s_and_b32 s13, vcc_lo, s3
	s_delay_alu instid0(SALU_CYCLE_1)
	s_and_saveexec_b32 s3, s13
	s_cbranch_execz .LBB2_1449
; %bb.1448:                             ;   in Loop: Header=BB2_305 Depth=3
	s_waitcnt lgkmcnt(0)
	s_waitcnt_vscnt null, 0x0
	flat_store_b32 v[28:29], v119
.LBB2_1449:                             ;   in Loop: Header=BB2_305 Depth=3
	s_or_b32 exec_lo, exec_lo, s3
	v_and_b32_e32 v2, 48, v30
	s_mov_b32 s3, exec_lo
	s_delay_alu instid0(VALU_DEP_1)
	v_cmpx_ne_u32_e32 0, v2
	s_cbranch_execz .LBB2_1451
; %bb.1450:                             ;   in Loop: Header=BB2_305 Depth=3
	v_add_co_u32 v24, vcc_lo, v24, 2
	v_add_co_ci_u32_e32 v25, vcc_lo, 0, v25, vcc_lo
	s_waitcnt lgkmcnt(0)
	s_waitcnt_vscnt null, 0x0
	flat_store_b64 v[22:23], v[24:25]
.LBB2_1451:                             ;   in Loop: Header=BB2_305 Depth=3
	s_or_b32 exec_lo, exec_lo, s3
	v_add_nc_u32_e32 v131, v54, v131
	v_readlane_b32 s3, v42, 10
	v_readlane_b32 s14, v42, 5
	;; [unrolled: 1-line block ×4, first 2 shown]
	v_cmp_ge_i32_e32 vcc_lo, v131, v130
	s_xor_b32 s3, s3, -1
	v_readlane_b32 s34, v42, 9
	v_readlane_b32 s35, v42, 8
	s_mov_b32 s24, 2
	s_or_b32 s3, s3, vcc_lo
	s_mov_b32 s36, s2
	s_and_b32 s13, exec_lo, s3
	v_readlane_b32 s3, v42, 11
	s_or_b32 s17, s13, s17
	s_mov_b32 s13, 0
	s_delay_alu instid0(VALU_DEP_1)
	v_mov_b32_e32 v2, s3
	s_mov_b32 s3, s4
	s_and_not1_b32 exec_lo, exec_lo, s17
	s_cbranch_execnz .LBB2_305
; %bb.1452:                             ;   in Loop: Header=BB2_303 Depth=2
	s_or_b32 exec_lo, exec_lo, s17
.LBB2_1453:                             ;   in Loop: Header=BB2_303 Depth=2
	s_delay_alu instid0(SALU_CYCLE_1) | instskip(NEXT) | instid1(SALU_CYCLE_1)
	s_or_b32 exec_lo, exec_lo, s16
	s_mov_b32 s16, exec_lo
	v_cmpx_gt_i32_e32 2, v2
	s_cbranch_execz .LBB2_1539
; %bb.1454:                             ;   in Loop: Header=BB2_303 Depth=2
	v_cmp_eq_u32_e64 s13, 0, v2
	s_mov_b32 s17, 0
.LBB2_1455:                             ;   Parent Loop BB2_51 Depth=1
                                        ;     Parent Loop BB2_303 Depth=2
                                        ; =>    This Loop Header: Depth=3
                                        ;         Child Loop BB2_1461 Depth 4
                                        ;         Child Loop BB2_1493 Depth 4
                                        ;         Child Loop BB2_1515 Depth 4
	v_and_b32_e32 v2, 12, v30
	s_mov_b32 s38, -1
	s_mov_b32 s2, exec_lo
	s_delay_alu instid0(VALU_DEP_1)
	v_cmpx_ne_u32_e32 0, v2
	s_cbranch_execz .LBB2_1469
; %bb.1456:                             ;   in Loop: Header=BB2_1455 Depth=3
	v_and_b32_e32 v2, 8, v30
	s_mov_b32 s4, s37
	s_mov_b32 s24, s29
	s_delay_alu instid0(VALU_DEP_1) | instskip(SKIP_3) | instid1(VALU_DEP_1)
	v_add_co_u32 v10, vcc_lo, v34, v2
	v_add_co_ci_u32_e32 v11, vcc_lo, 0, v35, vcc_lo
	v_add_co_u32 v8, vcc_lo, v24, 2
	v_add_co_ci_u32_e32 v9, vcc_lo, 0, v25, vcc_lo
	v_cmp_lt_u64_e32 vcc_lo, v[10:11], v[8:9]
	v_mov_b32_e32 v10, 1
	s_and_saveexec_b32 s29, vcc_lo
	s_cbranch_execz .LBB2_1468
; %bb.1457:                             ;   in Loop: Header=BB2_1455 Depth=3
	v_mov_b32_e32 v10, 0
	s_mov_b32 s37, 0
                                        ; implicit-def: $sgpr38
	s_branch .LBB2_1461
.LBB2_1458:                             ;   in Loop: Header=BB2_1461 Depth=4
	s_or_b32 exec_lo, exec_lo, s42
	v_mov_b32_e32 v11, 0
	s_or_not1_b32 s41, s41, exec_lo
.LBB2_1459:                             ;   in Loop: Header=BB2_1461 Depth=4
	s_or_b32 exec_lo, exec_lo, s40
	s_delay_alu instid0(VALU_DEP_1) | instskip(SKIP_2) | instid1(SALU_CYCLE_1)
	v_mov_b32_e32 v10, v11
	s_and_not1_b32 vcc_lo, s38, exec_lo
	s_and_b32 s38, s41, exec_lo
	s_or_b32 s38, vcc_lo, s38
.LBB2_1460:                             ;   in Loop: Header=BB2_1461 Depth=4
	s_or_b32 exec_lo, exec_lo, s39
	s_waitcnt vmcnt(0) lgkmcnt(0)
	v_add_co_u32 v11, vcc_lo, v34, v2
	v_add_co_ci_u32_e32 v12, vcc_lo, 0, v35, vcc_lo
	s_xor_b32 s39, s38, -1
	s_delay_alu instid0(VALU_DEP_1) | instskip(SKIP_1) | instid1(SALU_CYCLE_1)
	v_cmp_ge_u64_e32 vcc_lo, v[11:12], v[8:9]
	s_or_b32 vcc_lo, s39, vcc_lo
	s_and_b32 vcc_lo, exec_lo, vcc_lo
	s_delay_alu instid0(SALU_CYCLE_1) | instskip(NEXT) | instid1(SALU_CYCLE_1)
	s_or_b32 s37, vcc_lo, s37
	s_and_not1_b32 exec_lo, exec_lo, s37
	s_cbranch_execz .LBB2_1467
.LBB2_1461:                             ;   Parent Loop BB2_51 Depth=1
                                        ;     Parent Loop BB2_303 Depth=2
                                        ;       Parent Loop BB2_1455 Depth=3
                                        ; =>      This Inner Loop Header: Depth=4
	s_sleep 1
	flat_load_b64 v[34:35], v[22:23] glc
	v_and_b32_e32 v11, 64, v30
	s_and_not1_b32 s38, s38, exec_lo
	s_mov_b32 s39, exec_lo
	s_delay_alu instid0(VALU_DEP_1)
	v_cmpx_eq_u32_e32 0, v11
	s_cbranch_execz .LBB2_1460
; %bb.1462:                             ;   in Loop: Header=BB2_1461 Depth=4
	v_add_nc_u32_e32 v11, 1, v10
	s_mov_b32 s41, -1
	s_mov_b32 s40, exec_lo
	v_cmpx_lt_i32_e32 0x270e, v10
	s_cbranch_execz .LBB2_1459
; %bb.1463:                             ;   in Loop: Header=BB2_1461 Depth=4
	s_cbranch_execnz .LBB2_4456
; %bb.1464:                             ;   in Loop: Header=BB2_1461 Depth=4
	ds_load_b64 v[10:11], v0
	s_mov_b32 s42, exec_lo
	s_waitcnt vmcnt(0) lgkmcnt(0)
	s_waitcnt_vscnt null, 0x0
	flat_load_b32 v10, v[10:11] glc
	s_waitcnt vmcnt(0) lgkmcnt(0)
	buffer_gl1_inv
	buffer_gl0_inv
	v_cmpx_ne_u32_e32 0, v10
	s_cbranch_execz .LBB2_1458
; %bb.1465:                             ;   in Loop: Header=BB2_1461 Depth=4
	ds_store_b32 v0, v10
	s_cbranch_execnz .LBB2_4504
; %bb.1466:                             ;   in Loop: Header=BB2_1461 Depth=4
	v_or_b32_e32 v30, 64, v30
	s_xor_b32 s41, exec_lo, -1
	s_branch .LBB2_1458
.LBB2_1467:                             ;   in Loop: Header=BB2_1455 Depth=3
	s_or_b32 exec_lo, exec_lo, s37
	v_and_b32_e32 v10, 12, v30
.LBB2_1468:                             ;   in Loop: Header=BB2_1455 Depth=3
	s_or_b32 exec_lo, exec_lo, s29
	s_delay_alu instid0(VALU_DEP_1)
	v_cmp_eq_u32_e32 vcc_lo, 0, v10
	s_mov_b32 s29, s24
	s_mov_b32 s37, s4
	;;#ASMSTART
	s_wakeup
	;;#ASMEND
	s_or_not1_b32 s38, vcc_lo, exec_lo
.LBB2_1469:                             ;   in Loop: Header=BB2_1455 Depth=3
	s_or_b32 exec_lo, exec_lo, s2
	v_sub_nc_u32_e32 v2, v130, v131
	s_xor_b32 s2, s13, -1
	s_delay_alu instid0(SALU_CYCLE_1) | instskip(NEXT) | instid1(SALU_CYCLE_1)
	s_and_b32 s2, exec_lo, s2
	s_or_b32 s17, s2, s17
	s_delay_alu instid0(VALU_DEP_1) | instskip(SKIP_1) | instid1(SALU_CYCLE_1)
	v_min_i32_e32 v54, v54, v2
	s_xor_b32 s4, s38, -1
	s_and_saveexec_b32 s2, s4
	s_cbranch_execz .LBB2_1484
; %bb.1470:                             ;   in Loop: Header=BB2_1455 Depth=3
	v_and_b32_e32 v2, 0x108, v30
	s_mov_b32 s4, s37
	s_mov_b32 s24, s29
	s_mov_b32 s13, exec_lo
	s_delay_alu instid0(VALU_DEP_1)
	v_cmpx_ne_u32_e32 0x108, v2
	s_xor_b32 s13, exec_lo, s13
                                        ; implicit-def: $vgpr8_vgpr9
; %bb.1471:                             ;   in Loop: Header=BB2_1455 Depth=3
	v_and_b32_e32 v8, 7, v24
; %bb.1472:                             ;   in Loop: Header=BB2_1455 Depth=3
	s_and_not1_saveexec_b32 s13, s13
	s_cbranch_execz .LBB2_1474
; %bb.1473:                             ;   in Loop: Header=BB2_1455 Depth=3
	v_and_b32_e32 v8, 7, v24
	v_ashrrev_i32_e32 v55, 31, v54
	s_delay_alu instid0(VALU_DEP_2)
	v_mad_u64_u32 v[9:10], null, v8, 24, v[6:7]
	flat_store_b64 v[9:10], v[54:55] offset:8
.LBB2_1474:                             ;   in Loop: Header=BB2_1455 Depth=3
	s_or_b32 exec_lo, exec_lo, s13
	v_and_b32_e32 v2, 0x100, v30
	s_mov_b32 s13, -1
	s_mov_b32 s29, exec_lo
                                        ; implicit-def: $vgpr9_vgpr10
	s_delay_alu instid0(VALU_DEP_1)
	v_cmpx_ne_u32_e32 0, v2
	s_cbranch_execnz .LBB2_1477
; %bb.1475:                             ;   in Loop: Header=BB2_1455 Depth=3
	s_or_b32 exec_lo, exec_lo, s29
	s_and_saveexec_b32 s29, s13
	s_cbranch_execnz .LBB2_1480
.LBB2_1476:                             ;   in Loop: Header=BB2_1455 Depth=3
	s_or_b32 exec_lo, exec_lo, s29
	s_cbranch_execnz .LBB2_4448
	s_branch .LBB2_1481
.LBB2_1477:                             ;   in Loop: Header=BB2_1455 Depth=3
	v_mad_u64_u32 v[11:12], null, v8, 24, v[6:7]
	s_mov_b32 s37, exec_lo
	s_delay_alu instid0(VALU_DEP_1) | instskip(NEXT) | instid1(VALU_DEP_1)
	v_mov_b32_e32 v2, v12
	v_mad_u64_u32 v[9:10], null, v3, 24, v[2:3]
	s_delay_alu instid0(VALU_DEP_1)
	v_mov_b32_e32 v12, v9
                                        ; implicit-def: $vgpr9_vgpr10
	flat_load_b32 v2, v[11:12]
	s_waitcnt vmcnt(0) lgkmcnt(0)
	v_cmp_ne_u32_e32 vcc_lo, 1, v2
	v_cmpx_eq_u32_e32 1, v2
	s_cbranch_execz .LBB2_1479
; %bb.1478:                             ;   in Loop: Header=BB2_1455 Depth=3
	flat_load_b32 v9, v[11:12] offset:4 glc
	s_waitcnt vmcnt(0) lgkmcnt(0)
	v_ashrrev_i32_e32 v10, 31, v9
.LBB2_1479:                             ;   in Loop: Header=BB2_1455 Depth=3
	s_or_b32 exec_lo, exec_lo, s37
	s_delay_alu instid0(SALU_CYCLE_1)
	s_or_not1_b32 s13, vcc_lo, exec_lo
	s_or_b32 exec_lo, exec_lo, s29
	s_and_saveexec_b32 s29, s13
	s_cbranch_execz .LBB2_1476
.LBB2_1480:                             ;   in Loop: Header=BB2_1455 Depth=3
	v_mul_lo_u32 v2, v3, v80
	v_mul_lo_u32 v11, v8, v82
	v_mad_u64_u32 v[9:10], null, v8, v80, 0
	s_delay_alu instid0(VALU_DEP_1)
	v_add3_u32 v10, v10, v11, v2
	s_or_b32 exec_lo, exec_lo, s29
	s_cbranch_execnz .LBB2_4448
.LBB2_1481:                             ;   in Loop: Header=BB2_1455 Depth=3
	s_delay_alu instid0(VALU_DEP_2)
	v_add_co_u32 v8, vcc_lo, v26, v9
	v_and_b32_e32 v2, 0x2000, v30
	v_add_co_ci_u32_e32 v9, vcc_lo, v27, v10, vcc_lo
	s_mov_b32 s13, exec_lo
	ds_store_b64 v0, v[8:9]
	v_cmpx_ne_u32_e32 0, v2
	s_cbranch_execz .LBB2_1483
; %bb.1482:                             ;   in Loop: Header=BB2_1455 Depth=3
	ds_load_b64 v[8:9], v0 offset:584
	s_waitcnt lgkmcnt(0)
	v_add_co_u32 v8, vcc_lo, v8, 1
	v_add_co_ci_u32_e32 v9, vcc_lo, 0, v9, vcc_lo
	ds_store_b64 v0, v[8:9] offset:584
.LBB2_1483:                             ;   in Loop: Header=BB2_1455 Depth=3
	s_or_b32 exec_lo, exec_lo, s13
	v_add_co_u32 v24, vcc_lo, v24, 2
	v_add_co_ci_u32_e32 v25, vcc_lo, 0, v25, vcc_lo
	s_mov_b32 s29, s24
	s_mov_b32 s37, s4
.LBB2_1484:                             ;   in Loop: Header=BB2_1455 Depth=3
	s_or_b32 exec_lo, exec_lo, s2
	s_and_saveexec_b32 s4, s37
	s_cbranch_execz .LBB2_1506
; %bb.1485:                             ;   in Loop: Header=BB2_1455 Depth=3
	s_mov_b32 s2, s29
	s_mov_b32 s13, s3
	s_and_saveexec_b32 s24, s3
	s_delay_alu instid0(SALU_CYCLE_1)
	s_xor_b32 s3, exec_lo, s24
	s_cbranch_execz .LBB2_1503
; %bb.1486:                             ;   in Loop: Header=BB2_1455 Depth=3
	s_and_saveexec_b32 s24, s1
	s_cbranch_execz .LBB2_1502
; %bb.1487:                             ;   in Loop: Header=BB2_1455 Depth=3
	s_mov_b32 s38, exec_lo
	s_mov_b32 s29, exec_lo
	v_mbcnt_lo_u32_b32 v2, s38, 0
	s_waitcnt lgkmcnt(0)
	s_waitcnt_vscnt null, 0x0
	buffer_gl1_inv
	buffer_gl0_inv
	v_cmpx_eq_u32_e32 0, v2
	s_cbranch_execz .LBB2_1489
; %bb.1488:                             ;   in Loop: Header=BB2_1455 Depth=3
	s_bcnt1_i32_b32 vcc_lo, s38
	s_delay_alu instid0(SALU_CYCLE_1)
	v_mov_b32_e32 v2, vcc_lo
	ds_add_u64 v0, v[2:3]
	s_cbranch_execnz .LBB2_4558
.LBB2_1489:                             ;   in Loop: Header=BB2_1455 Depth=3
	s_or_b32 exec_lo, exec_lo, s29
	s_cbranch_execnz .LBB2_4524
; %bb.1490:                             ;   in Loop: Header=BB2_1455 Depth=3
	ds_load_b64 v[8:9], v0
	v_add_co_u32 v32, vcc_lo, v32, v83
	v_add_co_ci_u32_e32 v33, vcc_lo, 0, v33, vcc_lo
	s_mov_b32 s29, exec_lo
	s_waitcnt lgkmcnt(0)
	s_delay_alu instid0(VALU_DEP_1)
	v_cmpx_lt_u64_e64 v[8:9], v[32:33]
	s_cbranch_execz .LBB2_1501
; %bb.1491:                             ;   in Loop: Header=BB2_1455 Depth=3
	s_mov_b32 s38, 0
	s_mov_b32 s41, 0
                                        ; implicit-def: $sgpr39
                                        ; implicit-def: $sgpr40
	s_branch .LBB2_1493
.LBB2_1492:                             ;   in Loop: Header=BB2_1493 Depth=4
	s_or_b32 exec_lo, exec_lo, s43
	s_delay_alu instid0(SALU_CYCLE_1) | instskip(NEXT) | instid1(SALU_CYCLE_1)
	s_and_b32 vcc_lo, exec_lo, vcc_lo
	s_or_b32 s38, vcc_lo, s38
	s_and_not1_b32 vcc_lo, s39, exec_lo
	s_and_b32 s39, s40, exec_lo
	s_delay_alu instid0(SALU_CYCLE_1)
	s_or_b32 s39, vcc_lo, s39
	s_and_not1_b32 exec_lo, exec_lo, s38
	s_cbranch_execz .LBB2_1499
.LBB2_1493:                             ;   Parent Loop BB2_51 Depth=1
                                        ;     Parent Loop BB2_303 Depth=2
                                        ;       Parent Loop BB2_1455 Depth=3
                                        ; =>      This Inner Loop Header: Depth=4
	s_add_i32 s41, s41, 1
                                        ; implicit-def: $sgpr43
	s_delay_alu instid0(SALU_CYCLE_1) | instskip(SKIP_1) | instid1(SALU_CYCLE_1)
	s_cmpk_lg_i32 s41, 0x2710
	s_cselect_b32 s42, -1, 0
	s_and_b32 vcc_lo, exec_lo, s42
	s_cbranch_vccz .LBB2_1497
.LBB2_1494:                             ;   in Loop: Header=BB2_1493 Depth=4
	s_and_not1_b32 s40, s40, exec_lo
	s_and_b32 s43, s43, exec_lo
	s_mov_b32 vcc_lo, -1
	s_or_b32 s40, s40, s43
	s_and_saveexec_b32 s43, s42
	s_cbranch_execz .LBB2_1492
; %bb.1495:                             ;   in Loop: Header=BB2_1493 Depth=4
	s_sleep 1
	s_cbranch_execnz .LBB2_4606
; %bb.1496:                             ;   in Loop: Header=BB2_1493 Depth=4
	ds_load_b64 v[8:9], v0
	s_and_not1_b32 s40, s40, exec_lo
	s_waitcnt lgkmcnt(0)
	v_cmp_ge_u64_e32 vcc_lo, v[8:9], v[32:33]
	s_or_not1_b32 vcc_lo, vcc_lo, exec_lo
	s_branch .LBB2_1492
.LBB2_1497:                             ;   in Loop: Header=BB2_1493 Depth=4
	s_cbranch_execnz .LBB2_4616
; %bb.1498:                             ;   in Loop: Header=BB2_1493 Depth=4
	ds_load_b64 v[8:9], v0
	s_and_not1_b32 s42, s42, exec_lo
	s_mov_b32 s41, 0
	s_mov_b32 s43, -1
	s_waitcnt lgkmcnt(0)
	flat_load_b32 v2, v[8:9] glc
	s_waitcnt vmcnt(0) lgkmcnt(0)
	buffer_gl1_inv
	buffer_gl0_inv
	v_cmp_eq_u32_e32 vcc_lo, 0, v2
	s_and_b32 vcc_lo, vcc_lo, exec_lo
	s_delay_alu instid0(SALU_CYCLE_1)
	s_or_b32 s42, s42, vcc_lo
	s_branch .LBB2_1494
.LBB2_1499:                             ;   in Loop: Header=BB2_1455 Depth=3
	s_or_b32 exec_lo, exec_lo, s38
	s_and_saveexec_b32 vcc_lo, s39
	s_delay_alu instid0(SALU_CYCLE_1)
	s_xor_b32 vcc_lo, exec_lo, vcc_lo
	s_cbranch_execz .LBB2_1501
; %bb.1500:                             ;   in Loop: Header=BB2_1455 Depth=3
	ds_store_b32 v0, v119
	s_cbranch_execnz .LBB2_4816
.LBB2_1501:                             ;   in Loop: Header=BB2_1455 Depth=3
	s_or_b32 exec_lo, exec_lo, s29
	;;#ASMSTART
	s_wakeup
	;;#ASMEND
.LBB2_1502:                             ;   in Loop: Header=BB2_1455 Depth=3
	s_or_b32 exec_lo, exec_lo, s24
.LBB2_1503:                             ;   in Loop: Header=BB2_1455 Depth=3
	s_and_not1_saveexec_b32 s3, s3
	s_cbranch_execz .LBB2_1505
; %bb.1504:                             ;   in Loop: Header=BB2_1455 Depth=3
	s_waitcnt lgkmcnt(0)
	s_waitcnt_vscnt null, 0x0
	buffer_gl1_inv
	buffer_gl0_inv
	s_barrier
.LBB2_1505:                             ;   in Loop: Header=BB2_1455 Depth=3
	s_or_b32 exec_lo, exec_lo, s3
	s_mov_b32 s29, s2
	s_mov_b32 s3, s13
.LBB2_1506:                             ;   in Loop: Header=BB2_1455 Depth=3
	s_mov_b32 s2, s29
	s_or_b32 exec_lo, exec_lo, s4
	s_mov_b32 s4, vcc_hi
                                        ; implicit-def: $vgpr2
	s_and_saveexec_b32 s13, vcc_hi
	s_delay_alu instid0(SALU_CYCLE_1)
	s_xor_b32 s13, exec_lo, s13
	s_cbranch_execz .LBB2_1528
; %bb.1507:                             ;   in Loop: Header=BB2_1455 Depth=3
	s_mov_b32 s29, s3
	s_and_saveexec_b32 s24, s3
	s_delay_alu instid0(SALU_CYCLE_1)
	s_xor_b32 s3, exec_lo, s24
	s_cbranch_execz .LBB2_1525
; %bb.1508:                             ;   in Loop: Header=BB2_1455 Depth=3
	s_and_saveexec_b32 s24, s1
	s_cbranch_execz .LBB2_1524
; %bb.1509:                             ;   in Loop: Header=BB2_1455 Depth=3
	s_mov_b32 s38, exec_lo
	s_mov_b32 vcc_hi, exec_lo
	v_mbcnt_lo_u32_b32 v2, s38, 0
	;;#ASMSTART
	s_waitcnt lgkmcnt(0) vmcnt(0)
	;;#ASMEND
	s_delay_alu instid0(VALU_DEP_1)
	v_cmpx_eq_u32_e32 0, v2
	s_cbranch_execz .LBB2_1511
; %bb.1510:                             ;   in Loop: Header=BB2_1455 Depth=3
	s_bcnt1_i32_b32 vcc_lo, s38
	s_delay_alu instid0(SALU_CYCLE_1)
	v_mov_b32_e32 v2, vcc_lo
	ds_add_u64 v0, v[2:3]
	s_cbranch_execnz .LBB2_4566
.LBB2_1511:                             ;   in Loop: Header=BB2_1455 Depth=3
	s_or_b32 exec_lo, exec_lo, vcc_hi
	s_cbranch_execnz .LBB2_4534
; %bb.1512:                             ;   in Loop: Header=BB2_1455 Depth=3
	ds_load_b64 v[8:9], v0
	v_add_co_u32 v32, vcc_lo, v32, v83
	v_add_co_ci_u32_e32 v33, vcc_lo, 0, v33, vcc_lo
	s_mov_b32 vcc_hi, exec_lo
	s_waitcnt lgkmcnt(0)
	s_delay_alu instid0(VALU_DEP_1)
	v_cmpx_lt_u64_e64 v[8:9], v[32:33]
	s_cbranch_execz .LBB2_1523
; %bb.1513:                             ;   in Loop: Header=BB2_1455 Depth=3
	s_mov_b32 s38, 0
	s_mov_b32 s41, 0
                                        ; implicit-def: $sgpr39
                                        ; implicit-def: $sgpr40
	s_branch .LBB2_1515
.LBB2_1514:                             ;   in Loop: Header=BB2_1515 Depth=4
	s_or_b32 exec_lo, exec_lo, s43
	s_delay_alu instid0(SALU_CYCLE_1) | instskip(NEXT) | instid1(SALU_CYCLE_1)
	s_and_b32 vcc_lo, exec_lo, vcc_lo
	s_or_b32 s38, vcc_lo, s38
	s_and_not1_b32 vcc_lo, s39, exec_lo
	s_and_b32 s39, s40, exec_lo
	s_delay_alu instid0(SALU_CYCLE_1)
	s_or_b32 s39, vcc_lo, s39
	s_and_not1_b32 exec_lo, exec_lo, s38
	s_cbranch_execz .LBB2_1521
.LBB2_1515:                             ;   Parent Loop BB2_51 Depth=1
                                        ;     Parent Loop BB2_303 Depth=2
                                        ;       Parent Loop BB2_1455 Depth=3
                                        ; =>      This Inner Loop Header: Depth=4
	s_add_i32 s41, s41, 1
                                        ; implicit-def: $sgpr43
	s_delay_alu instid0(SALU_CYCLE_1) | instskip(SKIP_1) | instid1(SALU_CYCLE_1)
	s_cmpk_lg_i32 s41, 0x2710
	s_cselect_b32 s42, -1, 0
	s_and_b32 vcc_lo, exec_lo, s42
	s_cbranch_vccz .LBB2_1519
.LBB2_1516:                             ;   in Loop: Header=BB2_1515 Depth=4
	s_and_not1_b32 s40, s40, exec_lo
	s_and_b32 s43, s43, exec_lo
	s_mov_b32 vcc_lo, -1
	s_or_b32 s40, s40, s43
	s_and_saveexec_b32 s43, s42
	s_cbranch_execz .LBB2_1514
; %bb.1517:                             ;   in Loop: Header=BB2_1515 Depth=4
	s_sleep 1
	s_cbranch_execnz .LBB2_4610
; %bb.1518:                             ;   in Loop: Header=BB2_1515 Depth=4
	ds_load_b64 v[8:9], v0
	s_and_not1_b32 s40, s40, exec_lo
	s_waitcnt lgkmcnt(0)
	v_cmp_ge_u64_e32 vcc_lo, v[8:9], v[32:33]
	s_or_not1_b32 vcc_lo, vcc_lo, exec_lo
	s_branch .LBB2_1514
.LBB2_1519:                             ;   in Loop: Header=BB2_1515 Depth=4
	s_cbranch_execnz .LBB2_4628
; %bb.1520:                             ;   in Loop: Header=BB2_1515 Depth=4
	ds_load_b64 v[8:9], v0
	s_and_not1_b32 s42, s42, exec_lo
	s_mov_b32 s41, 0
	s_mov_b32 s43, -1
	s_waitcnt lgkmcnt(0)
	s_waitcnt_vscnt null, 0x0
	flat_load_b32 v2, v[8:9] glc
	s_waitcnt vmcnt(0) lgkmcnt(0)
	buffer_gl1_inv
	buffer_gl0_inv
	v_cmp_eq_u32_e32 vcc_lo, 0, v2
	s_and_b32 vcc_lo, vcc_lo, exec_lo
	s_delay_alu instid0(SALU_CYCLE_1)
	s_or_b32 s42, s42, vcc_lo
	s_branch .LBB2_1516
.LBB2_1521:                             ;   in Loop: Header=BB2_1455 Depth=3
	s_or_b32 exec_lo, exec_lo, s38
	s_and_saveexec_b32 vcc_lo, s39
	s_delay_alu instid0(SALU_CYCLE_1)
	s_xor_b32 vcc_lo, exec_lo, vcc_lo
	s_cbranch_execz .LBB2_1523
; %bb.1522:                             ;   in Loop: Header=BB2_1455 Depth=3
	ds_store_b32 v0, v119
	s_cbranch_execnz .LBB2_4820
.LBB2_1523:                             ;   in Loop: Header=BB2_1455 Depth=3
	s_or_b32 exec_lo, exec_lo, vcc_hi
	;;#ASMSTART
	s_wakeup
	;;#ASMEND
.LBB2_1524:                             ;   in Loop: Header=BB2_1455 Depth=3
	s_or_b32 exec_lo, exec_lo, s24
.LBB2_1525:                             ;   in Loop: Header=BB2_1455 Depth=3
	s_and_not1_saveexec_b32 s3, s3
	s_cbranch_execz .LBB2_1527
; %bb.1526:                             ;   in Loop: Header=BB2_1455 Depth=3
	;;#ASMSTART
	s_waitcnt lgkmcnt(0) vmcnt(0)
	;;#ASMEND
	s_waitcnt lgkmcnt(0)
	s_waitcnt_vscnt null, 0x0
	s_barrier
.LBB2_1527:                             ;   in Loop: Header=BB2_1455 Depth=3
	s_or_b32 exec_lo, exec_lo, s3
	v_and_b32_e32 v2, 16, v30
	s_mov_b32 s3, s29
.LBB2_1528:                             ;   in Loop: Header=BB2_1455 Depth=3
	s_and_not1_saveexec_b32 s24, s13
	s_cbranch_execz .LBB2_1533
; %bb.1529:                             ;   in Loop: Header=BB2_1455 Depth=3
	s_cbranch_execnz .LBB2_4470
; %bb.1530:                             ;   in Loop: Header=BB2_1455 Depth=3
	ds_load_b32 v2, v0
	v_cmp_lt_i32_e32 vcc_lo, 0, v54
	s_waitcnt lgkmcnt(0)
	v_readfirstlane_b32 s13, v2
	v_and_b32_e32 v2, 16, v30
	s_delay_alu instid0(VALU_DEP_2) | instskip(NEXT) | instid1(VALU_DEP_1)
	s_cmp_eq_u32 s13, 0
	v_cmp_ne_u32_e64 s13, 0, v2
	s_cselect_b32 s29, -1, 0
	v_and_b32_e32 v2, 16, v30
	s_and_b32 s29, vcc_lo, s29
	s_delay_alu instid0(VALU_DEP_2) | instid1(SALU_CYCLE_1)
	s_and_b32 s29, s13, s29
	s_delay_alu instid0(SALU_CYCLE_1)
	s_and_saveexec_b32 s13, s29
	s_cbranch_execz .LBB2_1532
; %bb.1531:                             ;   in Loop: Header=BB2_1455 Depth=3
	v_mov_b32_e32 v2, 1
	s_waitcnt_vscnt null, 0x0
	buffer_gl1_inv
	buffer_gl0_inv
.LBB2_1532:                             ;   in Loop: Header=BB2_1455 Depth=3
	s_or_b32 exec_lo, exec_lo, s13
.LBB2_1533:                             ;   in Loop: Header=BB2_1455 Depth=3
	s_delay_alu instid0(SALU_CYCLE_1) | instskip(SKIP_2) | instid1(SALU_CYCLE_1)
	s_or_b32 exec_lo, exec_lo, s24
	v_cmp_ne_u32_e32 vcc_lo, 0, v2
	s_xor_b32 s13, s10, -1
	s_and_b32 s24, vcc_lo, s13
	s_delay_alu instid0(SALU_CYCLE_1)
	s_and_saveexec_b32 s13, s24
	s_cbranch_execz .LBB2_1535
; %bb.1534:                             ;   in Loop: Header=BB2_1455 Depth=3
	s_waitcnt lgkmcnt(0)
	s_waitcnt_vscnt null, 0x0
	flat_store_b32 v[28:29], v119
.LBB2_1535:                             ;   in Loop: Header=BB2_1455 Depth=3
	s_or_b32 exec_lo, exec_lo, s13
	v_and_b32_e32 v2, 48, v30
	s_mov_b32 s13, exec_lo
	s_delay_alu instid0(VALU_DEP_1)
	v_cmpx_ne_u32_e32 0, v2
	s_cbranch_execz .LBB2_1537
; %bb.1536:                             ;   in Loop: Header=BB2_1455 Depth=3
	v_add_co_u32 v24, vcc_lo, v24, 2
	v_add_co_ci_u32_e32 v25, vcc_lo, 0, v25, vcc_lo
	s_waitcnt lgkmcnt(0)
	s_waitcnt_vscnt null, 0x0
	flat_store_b64 v[22:23], v[24:25]
.LBB2_1537:                             ;   in Loop: Header=BB2_1455 Depth=3
	s_or_b32 exec_lo, exec_lo, s13
	v_add_nc_u32_e32 v131, v54, v131
	s_mov_b32 s13, 0
	s_mov_b32 vcc_hi, s4
	s_mov_b32 s29, s2
	s_and_not1_b32 exec_lo, exec_lo, s17
	s_cbranch_execnz .LBB2_1455
; %bb.1538:                             ;   in Loop: Header=BB2_303 Depth=2
	s_or_b32 exec_lo, exec_lo, s17
.LBB2_1539:                             ;   in Loop: Header=BB2_303 Depth=2
	s_delay_alu instid0(SALU_CYCLE_1) | instskip(SKIP_1) | instid1(SALU_CYCLE_1)
	s_or_b32 exec_lo, exec_lo, s16
	s_add_i32 s15, s15, 1
	s_cmp_eq_u32 s15, s19
	s_cbranch_scc0 .LBB2_303
.LBB2_1540:                             ;   in Loop: Header=BB2_51 Depth=1
	v_mul_lo_u32 v2, v51, s19
	v_mul_lo_u32 v10, v50, s21
	v_mad_u64_u32 v[8:9], null, v50, s19, 0
	s_mov_b32 s17, 0
	v_mov_b32_e32 v131, 0
	s_delay_alu instid0(VALU_DEP_2) | instskip(NEXT) | instid1(VALU_DEP_3)
	v_add3_u32 v9, v9, v10, v2
	v_sub_co_u32 v10, vcc_lo, v52, v8
	s_delay_alu instid0(VALU_DEP_2) | instskip(NEXT) | instid1(VALU_DEP_1)
	v_sub_co_ci_u32_e32 v11, vcc_lo, v53, v9, vcc_lo
	v_cmp_lt_i64_e32 vcc_lo, v[50:51], v[10:11]
	v_cndmask_b32_e32 v10, v10, v50, vcc_lo
	s_delay_alu instid0(VALU_DEP_1) | instskip(SKIP_1) | instid1(VALU_DEP_2)
	v_max_i32_e32 v130, 0, v10
	v_cmp_lt_i32_e32 vcc_lo, 0, v10
	v_add_nc_u32_e32 v2, 31, v130
	s_and_b32 s4, s34, vcc_lo
	s_delay_alu instid0(VALU_DEP_1) | instskip(NEXT) | instid1(VALU_DEP_1)
	v_lshrrev_b32_e32 v2, 1, v2
	v_dual_mov_b32 v2, 0 :: v_dual_and_b32 v11, 0x3ffffff0, v2
	s_delay_alu instid0(VALU_DEP_1)
	v_max_i32_e32 v54, s28, v11
	s_and_saveexec_b32 s2, s4
	s_cbranch_execz .LBB2_3716
; %bb.1541:                             ;   in Loop: Header=BB2_51 Depth=1
	v_add_co_u32 v132, vcc_lo, v8, v128
	v_add_co_ci_u32_e32 v133, vcc_lo, v9, v129, vcc_lo
	v_mov_b32_e32 v131, 0
	s_mov_b32 s38, 1
	s_mov_b32 s16, -1
	v_writelane_b32 v42, s2, 1
.LBB2_1542:                             ;   Parent Loop BB2_51 Depth=1
                                        ; =>  This Loop Header: Depth=2
                                        ;       Child Loop BB2_1551 Depth 3
                                        ;       Child Loop BB2_1581 Depth 3
	;; [unrolled: 1-line block ×4, first 2 shown]
                                        ;         Child Loop BB2_1886 Depth 4
                                        ;       Child Loop BB2_2021 Depth 3
                                        ;         Child Loop BB2_2278 Depth 4
                                        ;       Child Loop BB2_2420 Depth 3
                                        ;       Child Loop BB2_2615 Depth 3
                                        ;         Child Loop BB2_2632 Depth 4
                                        ;       Child Loop BB2_2656 Depth 3
                                        ;       Child Loop BB2_3046 Depth 3
                                        ;       Child Loop BB2_3440 Depth 3
                                        ;       Child Loop BB2_3638 Depth 3
                                        ;       Child Loop BB2_3671 Depth 3
                                        ;       Child Loop BB2_3697 Depth 3
	s_and_saveexec_b32 s2, s0
	s_cbranch_execz .LBB2_1545
; %bb.1543:                             ;   in Loop: Header=BB2_1542 Depth=2
	s_cbranch_execnz .LBB2_4438
; %bb.1544:                             ;   in Loop: Header=BB2_1542 Depth=2
	ds_load_2addr_b64 v[8:11], v0 offset1:1
	ds_load_b64 v[12:13], v0
	v_ashrrev_i32_e32 v2, 31, v131
	s_waitcnt lgkmcnt(1)
	v_add_co_u32 v8, vcc_lo, v8, v132
	v_add_co_ci_u32_e32 v9, vcc_lo, v9, v133, vcc_lo
	v_add_co_u32 v10, vcc_lo, v10, v132
	v_add_co_ci_u32_e32 v11, vcc_lo, v11, v133, vcc_lo
	s_waitcnt lgkmcnt(0)
	v_add_co_u32 v14, vcc_lo, v12, v132
	v_add_co_ci_u32_e32 v15, vcc_lo, v13, v133, vcc_lo
	v_add_co_u32 v8, vcc_lo, v8, v131
	v_add_co_ci_u32_e32 v9, vcc_lo, v9, v2, vcc_lo
	s_delay_alu instid0(VALU_DEP_4) | instskip(NEXT) | instid1(VALU_DEP_4)
	v_add_co_u32 v14, vcc_lo, v14, v131
	v_add_co_ci_u32_e32 v15, vcc_lo, v15, v2, vcc_lo
	v_cmp_ne_u64_e32 vcc_lo, 0, v[12:13]
	v_add_co_u32 v10, s13, v10, v131
	s_delay_alu instid0(VALU_DEP_1) | instskip(NEXT) | instid1(VALU_DEP_4)
	v_add_co_ci_u32_e64 v11, s13, v11, v2, s13
	v_dual_cndmask_b32 v13, 0, v15 :: v_dual_cndmask_b32 v12, 0, v14
	ds_store_b64 v0, v[8:9]
	ds_store_b64 v0, v[10:11]
	;; [unrolled: 1-line block ×3, first 2 shown]
.LBB2_1545:                             ;   in Loop: Header=BB2_1542 Depth=2
	s_or_b32 exec_lo, exec_lo, s2
	v_and_b32_e32 v2, 12, v30
	s_mov_b32 s24, -1
	s_mov_b32 s2, exec_lo
	s_delay_alu instid0(VALU_DEP_1)
	v_cmpx_ne_u32_e32 0, v2
	s_cbranch_execz .LBB2_1559
; %bb.1546:                             ;   in Loop: Header=BB2_1542 Depth=2
	v_and_b32_e32 v2, 8, v30
	s_mov_b32 s4, s37
	s_mov_b32 s13, s29
	s_mov_b32 s15, s38
	s_delay_alu instid0(VALU_DEP_1) | instskip(SKIP_3) | instid1(VALU_DEP_1)
	v_add_co_u32 v10, vcc_lo, v34, v2
	v_add_co_ci_u32_e32 v11, vcc_lo, 0, v35, vcc_lo
	v_add_co_u32 v8, vcc_lo, v24, 2
	v_add_co_ci_u32_e32 v9, vcc_lo, 0, v25, vcc_lo
	v_cmp_lt_u64_e32 vcc_lo, v[10:11], v[8:9]
	v_mov_b32_e32 v10, 1
	s_and_saveexec_b32 s24, vcc_lo
	s_cbranch_execz .LBB2_1558
; %bb.1547:                             ;   in Loop: Header=BB2_1542 Depth=2
	v_mov_b32_e32 v10, 0
	s_mov_b32 s29, 0
                                        ; implicit-def: $sgpr37
	s_branch .LBB2_1551
.LBB2_1548:                             ;   in Loop: Header=BB2_1551 Depth=3
	s_or_b32 exec_lo, exec_lo, s41
	v_mov_b32_e32 v11, 0
	s_or_not1_b32 s40, s40, exec_lo
.LBB2_1549:                             ;   in Loop: Header=BB2_1551 Depth=3
	s_or_b32 exec_lo, exec_lo, s39
	s_delay_alu instid0(VALU_DEP_1) | instskip(SKIP_2) | instid1(SALU_CYCLE_1)
	v_mov_b32_e32 v10, v11
	s_and_not1_b32 vcc_lo, s37, exec_lo
	s_and_b32 s37, s40, exec_lo
	s_or_b32 s37, vcc_lo, s37
.LBB2_1550:                             ;   in Loop: Header=BB2_1551 Depth=3
	s_or_b32 exec_lo, exec_lo, s38
	s_waitcnt vmcnt(0) lgkmcnt(0)
	v_add_co_u32 v11, vcc_lo, v34, v2
	v_add_co_ci_u32_e32 v12, vcc_lo, 0, v35, vcc_lo
	s_xor_b32 s38, s37, -1
	s_delay_alu instid0(VALU_DEP_1) | instskip(SKIP_1) | instid1(SALU_CYCLE_1)
	v_cmp_ge_u64_e32 vcc_lo, v[11:12], v[8:9]
	s_or_b32 vcc_lo, s38, vcc_lo
	s_and_b32 vcc_lo, exec_lo, vcc_lo
	s_delay_alu instid0(SALU_CYCLE_1) | instskip(NEXT) | instid1(SALU_CYCLE_1)
	s_or_b32 s29, vcc_lo, s29
	s_and_not1_b32 exec_lo, exec_lo, s29
	s_cbranch_execz .LBB2_1557
.LBB2_1551:                             ;   Parent Loop BB2_51 Depth=1
                                        ;     Parent Loop BB2_1542 Depth=2
                                        ; =>    This Inner Loop Header: Depth=3
	s_sleep 1
	flat_load_b64 v[34:35], v[22:23] glc
	v_and_b32_e32 v11, 64, v30
	s_and_not1_b32 s37, s37, exec_lo
	s_mov_b32 s38, exec_lo
	s_delay_alu instid0(VALU_DEP_1)
	v_cmpx_eq_u32_e32 0, v11
	s_cbranch_execz .LBB2_1550
; %bb.1552:                             ;   in Loop: Header=BB2_1551 Depth=3
	v_add_nc_u32_e32 v11, 1, v10
	s_mov_b32 s40, -1
	s_mov_b32 s39, exec_lo
	v_cmpx_lt_i32_e32 0x270e, v10
	s_cbranch_execz .LBB2_1549
; %bb.1553:                             ;   in Loop: Header=BB2_1551 Depth=3
	s_cbranch_execnz .LBB2_4464
; %bb.1554:                             ;   in Loop: Header=BB2_1551 Depth=3
	ds_load_b64 v[10:11], v0
	s_mov_b32 s41, exec_lo
	s_waitcnt vmcnt(0) lgkmcnt(0)
	s_waitcnt_vscnt null, 0x0
	flat_load_b32 v10, v[10:11] glc
	s_waitcnt vmcnt(0) lgkmcnt(0)
	buffer_gl1_inv
	buffer_gl0_inv
	v_cmpx_ne_u32_e32 0, v10
	s_cbranch_execz .LBB2_1548
; %bb.1555:                             ;   in Loop: Header=BB2_1551 Depth=3
	ds_store_b32 v0, v10
	s_cbranch_execnz .LBB2_4518
; %bb.1556:                             ;   in Loop: Header=BB2_1551 Depth=3
	v_or_b32_e32 v30, 64, v30
	s_xor_b32 s40, exec_lo, -1
	s_branch .LBB2_1548
.LBB2_1557:                             ;   in Loop: Header=BB2_1542 Depth=2
	s_or_b32 exec_lo, exec_lo, s29
	v_and_b32_e32 v10, 12, v30
.LBB2_1558:                             ;   in Loop: Header=BB2_1542 Depth=2
	s_or_b32 exec_lo, exec_lo, s24
	s_delay_alu instid0(VALU_DEP_1)
	v_cmp_eq_u32_e32 vcc_lo, 0, v10
	s_mov_b32 s38, s15
	s_mov_b32 s29, s13
	;; [unrolled: 1-line block ×3, first 2 shown]
	;;#ASMSTART
	s_wakeup
	;;#ASMEND
	s_or_not1_b32 s24, vcc_lo, exec_lo
.LBB2_1559:                             ;   in Loop: Header=BB2_1542 Depth=2
	s_or_b32 exec_lo, exec_lo, s2
	v_sub_nc_u32_e32 v2, v130, v131
	s_xor_b32 s2, s24, -1
	s_delay_alu instid0(VALU_DEP_1)
	v_min_i32_e32 v54, v54, v2
	s_and_saveexec_b32 s15, s2
	s_cbranch_execz .LBB2_1572
; %bb.1560:                             ;   in Loop: Header=BB2_1542 Depth=2
	v_and_b32_e32 v2, 0x108, v30
	s_mov_b32 s24, s37
	s_mov_b32 s37, s3
	;; [unrolled: 1-line block ×4, first 2 shown]
	v_cmp_ne_u32_e32 vcc_lo, 0x108, v2
	v_and_b32_e32 v2, 7, v24
	s_mov_b32 s3, s38
	s_mov_b32 s2, s17
	s_and_saveexec_b32 s13, vcc_lo
	s_delay_alu instid0(SALU_CYCLE_1) | instskip(NEXT) | instid1(SALU_CYCLE_1)
	s_xor_b32 s13, exec_lo, s13
	s_and_not1_saveexec_b32 s13, s13
	s_cbranch_execz .LBB2_1562
; %bb.1561:                             ;   in Loop: Header=BB2_1542 Depth=2
	v_mad_u64_u32 v[8:9], null, v2, 24, v[6:7]
	v_ashrrev_i32_e32 v55, 31, v54
	flat_store_b64 v[8:9], v[54:55] offset:8
.LBB2_1562:                             ;   in Loop: Header=BB2_1542 Depth=2
	s_or_b32 exec_lo, exec_lo, s13
	v_and_b32_e32 v8, 0x100, v30
	s_mov_b32 s13, -1
	s_delay_alu instid0(VALU_DEP_1)
	v_cmp_ne_u32_e32 vcc_lo, 0, v8
                                        ; implicit-def: $vgpr8_vgpr9
	s_and_saveexec_b32 s17, vcc_lo
	s_cbranch_execnz .LBB2_1565
; %bb.1563:                             ;   in Loop: Header=BB2_1542 Depth=2
	s_or_b32 exec_lo, exec_lo, s17
	s_and_saveexec_b32 s17, s13
	s_cbranch_execnz .LBB2_1568
.LBB2_1564:                             ;   in Loop: Header=BB2_1542 Depth=2
	s_or_b32 exec_lo, exec_lo, s17
	s_cbranch_execnz .LBB2_4458
	s_branch .LBB2_1569
.LBB2_1565:                             ;   in Loop: Header=BB2_1542 Depth=2
	v_mad_u64_u32 v[10:11], null, v2, 24, v[6:7]
	s_delay_alu instid0(VALU_DEP_1) | instskip(NEXT) | instid1(VALU_DEP_1)
	v_mov_b32_e32 v8, v11
	v_mad_u64_u32 v[11:12], null, v3, 24, v[8:9]
	flat_load_b32 v8, v[10:11]
	s_waitcnt vmcnt(0) lgkmcnt(0)
	v_cmp_ne_u32_e32 vcc_lo, 1, v8
	v_cmp_eq_u32_e64 s13, 1, v8
                                        ; implicit-def: $vgpr8_vgpr9
	s_delay_alu instid0(VALU_DEP_1)
	s_and_saveexec_b32 s29, s13
	s_cbranch_execz .LBB2_1567
; %bb.1566:                             ;   in Loop: Header=BB2_1542 Depth=2
	flat_load_b32 v8, v[10:11] offset:4 glc
	s_waitcnt vmcnt(0) lgkmcnt(0)
	v_ashrrev_i32_e32 v9, 31, v8
.LBB2_1567:                             ;   in Loop: Header=BB2_1542 Depth=2
	s_or_b32 exec_lo, exec_lo, s29
	s_delay_alu instid0(SALU_CYCLE_1)
	s_or_not1_b32 s13, vcc_lo, exec_lo
	s_or_b32 exec_lo, exec_lo, s17
	s_and_saveexec_b32 s17, s13
	s_cbranch_execz .LBB2_1564
.LBB2_1568:                             ;   in Loop: Header=BB2_1542 Depth=2
	v_mul_lo_u32 v10, v3, v80
	v_mul_lo_u32 v11, v2, v82
	v_mad_u64_u32 v[8:9], null, v2, v80, 0
	s_delay_alu instid0(VALU_DEP_1)
	v_add3_u32 v9, v9, v11, v10
	s_or_b32 exec_lo, exec_lo, s17
	s_cbranch_execnz .LBB2_4458
.LBB2_1569:                             ;   in Loop: Header=BB2_1542 Depth=2
	s_delay_alu instid0(VALU_DEP_2)
	v_add_co_u32 v8, vcc_lo, v26, v8
	v_and_b32_e32 v2, 0x2000, v30
	v_add_co_ci_u32_e32 v9, vcc_lo, v27, v9, vcc_lo
	s_mov_b32 s13, exec_lo
	ds_store_b64 v0, v[8:9]
	v_cmpx_ne_u32_e32 0, v2
	s_cbranch_execz .LBB2_1571
; %bb.1570:                             ;   in Loop: Header=BB2_1542 Depth=2
	ds_load_b64 v[8:9], v0 offset:584
	s_waitcnt lgkmcnt(0)
	v_add_co_u32 v8, vcc_lo, v8, 1
	v_add_co_ci_u32_e32 v9, vcc_lo, 0, v9, vcc_lo
	ds_store_b64 v0, v[8:9] offset:584
.LBB2_1571:                             ;   in Loop: Header=BB2_1542 Depth=2
	s_or_b32 exec_lo, exec_lo, s13
	v_add_co_u32 v24, vcc_lo, v24, 2
	v_add_co_ci_u32_e32 v25, vcc_lo, 0, v25, vcc_lo
	s_mov_b32 s17, s2
	s_mov_b32 s38, s3
	;; [unrolled: 1-line block ×6, first 2 shown]
.LBB2_1572:                             ;   in Loop: Header=BB2_1542 Depth=2
	v_writelane_b32 v42, s16, 2
	s_mov_b32 s4, s3
	v_writelane_b32 v42, s38, 3
	v_writelane_b32 v42, s17, 4
	;; [unrolled: 1-line block ×7, first 2 shown]
	s_or_b32 exec_lo, exec_lo, s15
	s_and_saveexec_b32 s3, s37
	s_mov_b32 s2, s36
	s_cbranch_execz .LBB2_1594
; %bb.1573:                             ;   in Loop: Header=BB2_1542 Depth=2
	s_and_saveexec_b32 s13, s4
	s_delay_alu instid0(SALU_CYCLE_1)
	s_xor_b32 s13, exec_lo, s13
	s_cbranch_execz .LBB2_1591
; %bb.1574:                             ;   in Loop: Header=BB2_1542 Depth=2
	s_and_saveexec_b32 s14, s1
	s_cbranch_execz .LBB2_1590
; %bb.1575:                             ;   in Loop: Header=BB2_1542 Depth=2
	s_mov_b32 s16, exec_lo
	s_mov_b32 s15, exec_lo
	v_mbcnt_lo_u32_b32 v2, s16, 0
	s_waitcnt lgkmcnt(0)
	s_waitcnt_vscnt null, 0x0
	buffer_gl1_inv
	buffer_gl0_inv
	v_cmpx_eq_u32_e32 0, v2
	s_cbranch_execz .LBB2_1577
; %bb.1576:                             ;   in Loop: Header=BB2_1542 Depth=2
	s_bcnt1_i32_b32 s16, s16
	s_delay_alu instid0(SALU_CYCLE_1)
	v_mov_b32_e32 v2, s16
	ds_add_u64 v0, v[2:3]
	s_cbranch_execnz .LBB2_4572
.LBB2_1577:                             ;   in Loop: Header=BB2_1542 Depth=2
	s_or_b32 exec_lo, exec_lo, s15
	s_cbranch_execnz .LBB2_4546
; %bb.1578:                             ;   in Loop: Header=BB2_1542 Depth=2
	ds_load_b64 v[8:9], v0
	v_add_co_u32 v32, vcc_lo, v32, v83
	v_add_co_ci_u32_e32 v33, vcc_lo, 0, v33, vcc_lo
	s_mov_b32 s15, exec_lo
	s_waitcnt lgkmcnt(0)
	s_delay_alu instid0(VALU_DEP_1)
	v_cmpx_lt_u64_e64 v[8:9], v[32:33]
	s_cbranch_execz .LBB2_1589
; %bb.1579:                             ;   in Loop: Header=BB2_1542 Depth=2
	s_mov_b32 s16, 0
	s_mov_b32 s30, 0
                                        ; implicit-def: $sgpr17
                                        ; implicit-def: $sgpr24
	s_branch .LBB2_1581
.LBB2_1580:                             ;   in Loop: Header=BB2_1581 Depth=3
	s_or_b32 exec_lo, exec_lo, s34
	s_delay_alu instid0(SALU_CYCLE_1) | instskip(NEXT) | instid1(SALU_CYCLE_1)
	s_and_b32 vcc_lo, exec_lo, vcc_lo
	s_or_b32 s16, vcc_lo, s16
	s_and_not1_b32 s17, s17, exec_lo
	s_and_b32 vcc_lo, s24, exec_lo
	s_delay_alu instid0(SALU_CYCLE_1)
	s_or_b32 s17, s17, vcc_lo
	s_and_not1_b32 exec_lo, exec_lo, s16
	s_cbranch_execz .LBB2_1587
.LBB2_1581:                             ;   Parent Loop BB2_51 Depth=1
                                        ;     Parent Loop BB2_1542 Depth=2
                                        ; =>    This Inner Loop Header: Depth=3
	s_add_i32 s30, s30, 1
                                        ; implicit-def: $sgpr34
	s_delay_alu instid0(SALU_CYCLE_1) | instskip(SKIP_1) | instid1(SALU_CYCLE_1)
	s_cmpk_lg_i32 s30, 0x2710
	s_cselect_b32 s31, -1, 0
	s_and_b32 vcc_lo, exec_lo, s31
	s_cbranch_vccz .LBB2_1585
.LBB2_1582:                             ;   in Loop: Header=BB2_1581 Depth=3
	s_and_not1_b32 s24, s24, exec_lo
	s_and_b32 s34, s34, exec_lo
	s_mov_b32 vcc_lo, -1
	s_or_b32 s24, s24, s34
	s_and_saveexec_b32 s34, s31
	s_cbranch_execz .LBB2_1580
; %bb.1583:                             ;   in Loop: Header=BB2_1581 Depth=3
	s_sleep 1
	s_cbranch_execnz .LBB2_4620
; %bb.1584:                             ;   in Loop: Header=BB2_1581 Depth=3
	ds_load_b64 v[8:9], v0
	s_and_not1_b32 s24, s24, exec_lo
	s_waitcnt lgkmcnt(0)
	v_cmp_ge_u64_e32 vcc_lo, v[8:9], v[32:33]
	s_or_not1_b32 vcc_lo, vcc_lo, exec_lo
	s_branch .LBB2_1580
.LBB2_1585:                             ;   in Loop: Header=BB2_1581 Depth=3
	s_cbranch_execnz .LBB2_4634
; %bb.1586:                             ;   in Loop: Header=BB2_1581 Depth=3
	ds_load_b64 v[8:9], v0
	s_and_not1_b32 s31, s31, exec_lo
	s_mov_b32 s30, 0
	s_mov_b32 s34, -1
	s_waitcnt lgkmcnt(0)
	flat_load_b32 v2, v[8:9] glc
	s_waitcnt vmcnt(0) lgkmcnt(0)
	buffer_gl1_inv
	buffer_gl0_inv
	v_cmp_eq_u32_e32 vcc_lo, 0, v2
	s_and_b32 vcc_lo, vcc_lo, exec_lo
	s_delay_alu instid0(SALU_CYCLE_1)
	s_or_b32 s31, s31, vcc_lo
	s_branch .LBB2_1582
.LBB2_1587:                             ;   in Loop: Header=BB2_1542 Depth=2
	s_or_b32 exec_lo, exec_lo, s16
	s_and_saveexec_b32 s16, s17
	s_delay_alu instid0(SALU_CYCLE_1)
	s_xor_b32 s16, exec_lo, s16
	s_cbranch_execz .LBB2_1589
; %bb.1588:                             ;   in Loop: Header=BB2_1542 Depth=2
	ds_store_b32 v0, v119
	s_cbranch_execnz .LBB2_4826
.LBB2_1589:                             ;   in Loop: Header=BB2_1542 Depth=2
	s_or_b32 exec_lo, exec_lo, s15
	;;#ASMSTART
	s_wakeup
	;;#ASMEND
.LBB2_1590:                             ;   in Loop: Header=BB2_1542 Depth=2
	s_or_b32 exec_lo, exec_lo, s14
.LBB2_1591:                             ;   in Loop: Header=BB2_1542 Depth=2
	s_and_not1_saveexec_b32 s13, s13
	s_cbranch_execz .LBB2_1593
; %bb.1592:                             ;   in Loop: Header=BB2_1542 Depth=2
	s_waitcnt lgkmcnt(0)
	s_waitcnt_vscnt null, 0x0
	buffer_gl1_inv
	buffer_gl0_inv
	s_barrier
.LBB2_1593:                             ;   in Loop: Header=BB2_1542 Depth=2
	s_or_b32 exec_lo, exec_lo, s13
.LBB2_1594:                             ;   in Loop: Header=BB2_1542 Depth=2
	s_delay_alu instid0(SALU_CYCLE_1)
	s_or_b32 exec_lo, exec_lo, s3
	s_cbranch_execnz .LBB2_4444
; %bb.1595:                             ;   in Loop: Header=BB2_1542 Depth=2
	ds_load_b32 v8, v0
	v_and_b32_e32 v2, 0x4000, v30
	s_xor_b32 s3, s2, -1
	s_delay_alu instid0(VALU_DEP_1) | instskip(SKIP_1) | instid1(SALU_CYCLE_1)
	v_cmp_ne_u32_e32 vcc_lo, 0, v2
	s_and_b32 s13, s3, vcc_lo
	s_and_saveexec_b32 s3, s13
	s_cbranch_execz .LBB2_1617
; %bb.1596:                             ;   in Loop: Header=BB2_1542 Depth=2
	s_and_saveexec_b32 s13, s4
	s_delay_alu instid0(SALU_CYCLE_1)
	s_xor_b32 s13, exec_lo, s13
	s_cbranch_execz .LBB2_1614
; %bb.1597:                             ;   in Loop: Header=BB2_1542 Depth=2
	s_and_saveexec_b32 s14, s1
	s_cbranch_execz .LBB2_1613
; %bb.1598:                             ;   in Loop: Header=BB2_1542 Depth=2
	s_mov_b32 s16, exec_lo
	s_mov_b32 s15, exec_lo
	v_mbcnt_lo_u32_b32 v2, s16, 0
	s_waitcnt lgkmcnt(0)
	s_waitcnt_vscnt null, 0x0
	buffer_gl1_inv
	buffer_gl0_inv
	v_cmpx_eq_u32_e32 0, v2
	s_cbranch_execz .LBB2_1600
; %bb.1599:                             ;   in Loop: Header=BB2_1542 Depth=2
	s_bcnt1_i32_b32 s16, s16
	s_delay_alu instid0(SALU_CYCLE_1)
	v_mov_b32_e32 v2, s16
	ds_add_u64 v0, v[2:3]
	s_cbranch_execnz .LBB2_4612
.LBB2_1600:                             ;   in Loop: Header=BB2_1542 Depth=2
	s_or_b32 exec_lo, exec_lo, s15
	s_cbranch_execnz .LBB2_4582
; %bb.1601:                             ;   in Loop: Header=BB2_1542 Depth=2
	ds_load_b64 v[9:10], v0
	v_add_co_u32 v32, vcc_lo, v32, v83
	v_add_co_ci_u32_e32 v33, vcc_lo, 0, v33, vcc_lo
	s_mov_b32 s15, exec_lo
	s_waitcnt lgkmcnt(0)
	s_delay_alu instid0(VALU_DEP_1)
	v_cmpx_lt_u64_e64 v[9:10], v[32:33]
	s_cbranch_execz .LBB2_1612
; %bb.1602:                             ;   in Loop: Header=BB2_1542 Depth=2
	s_mov_b32 s16, 0
	s_mov_b32 s30, 0
                                        ; implicit-def: $sgpr17
                                        ; implicit-def: $sgpr24
	s_branch .LBB2_1604
.LBB2_1603:                             ;   in Loop: Header=BB2_1604 Depth=3
	s_or_b32 exec_lo, exec_lo, s34
	s_delay_alu instid0(SALU_CYCLE_1) | instskip(NEXT) | instid1(SALU_CYCLE_1)
	s_and_b32 vcc_lo, exec_lo, vcc_lo
	s_or_b32 s16, vcc_lo, s16
	s_and_not1_b32 s17, s17, exec_lo
	s_and_b32 vcc_lo, s24, exec_lo
	s_delay_alu instid0(SALU_CYCLE_1)
	s_or_b32 s17, s17, vcc_lo
	s_and_not1_b32 exec_lo, exec_lo, s16
	s_cbranch_execz .LBB2_1610
.LBB2_1604:                             ;   Parent Loop BB2_51 Depth=1
                                        ;     Parent Loop BB2_1542 Depth=2
                                        ; =>    This Inner Loop Header: Depth=3
	s_add_i32 s30, s30, 1
                                        ; implicit-def: $sgpr34
	s_delay_alu instid0(SALU_CYCLE_1) | instskip(SKIP_1) | instid1(SALU_CYCLE_1)
	s_cmpk_lg_i32 s30, 0x2710
	s_cselect_b32 s31, -1, 0
	s_and_b32 vcc_lo, exec_lo, s31
	s_cbranch_vccz .LBB2_1608
.LBB2_1605:                             ;   in Loop: Header=BB2_1604 Depth=3
	s_and_not1_b32 s24, s24, exec_lo
	s_and_b32 s34, s34, exec_lo
	s_mov_b32 vcc_lo, -1
	s_or_b32 s24, s24, s34
	s_and_saveexec_b32 s34, s31
	s_cbranch_execz .LBB2_1603
; %bb.1606:                             ;   in Loop: Header=BB2_1604 Depth=3
	s_sleep 1
	s_cbranch_execnz .LBB2_4672
; %bb.1607:                             ;   in Loop: Header=BB2_1604 Depth=3
	ds_load_b64 v[9:10], v0
	s_and_not1_b32 s24, s24, exec_lo
	s_waitcnt lgkmcnt(0)
	v_cmp_ge_u64_e32 vcc_lo, v[9:10], v[32:33]
	s_or_not1_b32 vcc_lo, vcc_lo, exec_lo
	s_branch .LBB2_1603
.LBB2_1608:                             ;   in Loop: Header=BB2_1604 Depth=3
	s_cbranch_execnz .LBB2_4688
; %bb.1609:                             ;   in Loop: Header=BB2_1604 Depth=3
	ds_load_b64 v[9:10], v0
	s_and_not1_b32 s31, s31, exec_lo
	s_mov_b32 s30, 0
	s_mov_b32 s34, -1
	s_waitcnt lgkmcnt(0)
	flat_load_b32 v2, v[9:10] glc
	s_waitcnt vmcnt(0) lgkmcnt(0)
	buffer_gl1_inv
	buffer_gl0_inv
	v_cmp_eq_u32_e32 vcc_lo, 0, v2
	s_and_b32 vcc_lo, vcc_lo, exec_lo
	s_delay_alu instid0(SALU_CYCLE_1)
	s_or_b32 s31, s31, vcc_lo
	s_branch .LBB2_1605
.LBB2_1610:                             ;   in Loop: Header=BB2_1542 Depth=2
	s_or_b32 exec_lo, exec_lo, s16
	s_and_saveexec_b32 s16, s17
	s_delay_alu instid0(SALU_CYCLE_1)
	s_xor_b32 s16, exec_lo, s16
	s_cbranch_execz .LBB2_1612
; %bb.1611:                             ;   in Loop: Header=BB2_1542 Depth=2
	ds_store_b32 v0, v119
	s_cbranch_execnz .LBB2_4850
.LBB2_1612:                             ;   in Loop: Header=BB2_1542 Depth=2
	s_or_b32 exec_lo, exec_lo, s15
	;;#ASMSTART
	s_wakeup
	;;#ASMEND
.LBB2_1613:                             ;   in Loop: Header=BB2_1542 Depth=2
	s_or_b32 exec_lo, exec_lo, s14
.LBB2_1614:                             ;   in Loop: Header=BB2_1542 Depth=2
	s_and_not1_saveexec_b32 s13, s13
	s_cbranch_execz .LBB2_1616
; %bb.1615:                             ;   in Loop: Header=BB2_1542 Depth=2
	s_waitcnt lgkmcnt(0)
	s_waitcnt_vscnt null, 0x0
	buffer_gl1_inv
	buffer_gl0_inv
	s_barrier
.LBB2_1616:                             ;   in Loop: Header=BB2_1542 Depth=2
	s_or_b32 exec_lo, exec_lo, s13
.LBB2_1617:                             ;   in Loop: Header=BB2_1542 Depth=2
	s_delay_alu instid0(SALU_CYCLE_1)
	s_or_b32 exec_lo, exec_lo, s3
	s_cbranch_execnz .LBB2_4478
; %bb.1618:                             ;   in Loop: Header=BB2_1542 Depth=2
	ds_load_b64 v[9:10], v0
	v_mov_b32_e32 v55, 0
	s_waitcnt lgkmcnt(0)
	v_cmp_eq_u64_e32 vcc_lo, 0, v[9:10]
	s_or_b32 s3, vcc_lo, vcc_lo
	s_delay_alu instid0(SALU_CYCLE_1)
	s_and_b32 vcc_lo, exec_lo, s3
	s_cbranch_vccnz .LBB2_3662
; %bb.1619:                             ;   in Loop: Header=BB2_1542 Depth=2
	v_cmp_eq_u32_e32 vcc_lo, 0, v8
	s_cbranch_execnz .LBB2_4538
; %bb.1620:                             ;   in Loop: Header=BB2_1542 Depth=2
	ds_load_b64 v[8:9], v0
	v_cndmask_b32_e32 v55, 0, v54, vcc_lo
	s_mov_b32 s3, -1
	s_waitcnt lgkmcnt(0)
	v_cmp_ne_u64_e64 s13, 0, v[8:9]
	s_delay_alu instid0(VALU_DEP_1)
	s_and_b32 vcc_lo, exec_lo, s13
	s_cbranch_vccz .LBB2_2644
; %bb.1621:                             ;   in Loop: Header=BB2_1542 Depth=2
	s_and_saveexec_b32 s13, s12
	s_cbranch_execz .LBB2_1623
; %bb.1622:                             ;   in Loop: Header=BB2_1542 Depth=2
	ds_load_b32 v2, v0 offset:720
	s_waitcnt lgkmcnt(0)
	v_and_b32_e32 v2, 15, v2
	s_delay_alu instid0(VALU_DEP_1)
	v_cmp_eq_u32_e32 vcc_lo, 0, v2
	s_or_not1_b32 s3, vcc_lo, exec_lo
.LBB2_1623:                             ;   in Loop: Header=BB2_1542 Depth=2
	s_or_b32 exec_lo, exec_lo, s13
	s_and_saveexec_b32 s13, s12
	s_cbranch_execz .LBB2_1625
; %bb.1624:                             ;   in Loop: Header=BB2_1542 Depth=2
	ds_load_b32 v2, v0 offset:784
	s_waitcnt lgkmcnt(0)
	v_and_b32_e32 v2, 15, v2
	s_delay_alu instid0(VALU_DEP_1) | instskip(SKIP_3) | instid1(SALU_CYCLE_1)
	v_cmp_eq_u32_e32 vcc_lo, 0, v2
	s_and_b32 s14, s3, vcc_lo
	s_and_not1_b32 s3, s3, exec_lo
	s_and_b32 s14, s14, exec_lo
	s_or_b32 s3, s3, s14
.LBB2_1625:                             ;   in Loop: Header=BB2_1542 Depth=2
	s_or_b32 exec_lo, exec_lo, s13
	s_xor_b32 s3, s3, -1
	v_dual_mov_b32 v64, 0 :: v_dual_mov_b32 v65, v55
	v_cndmask_b32_e64 v2, 0, 1, s3
	;;#ASMSTART
	;;#ASMEND
	s_delay_alu instid0(VALU_DEP_1)
	v_cmp_ne_u32_e32 vcc_lo, 0, v2
	v_mov_b32_e32 v66, v0
	v_mov_b32_e32 v8, v84
	s_mov_b32 s3, -1
	s_cbranch_vccnz .LBB2_2413
; %bb.1626:                             ;   in Loop: Header=BB2_1542 Depth=2
	v_ashrrev_i32_e32 v2, 31, v55
	v_sub_nc_u32_e32 v134, v55, v116
	s_mov_b32 s16, exec_lo
	s_delay_alu instid0(VALU_DEP_2) | instskip(NEXT) | instid1(VALU_DEP_1)
	v_lshrrev_b32_e32 v2, 23, v2
	v_add_nc_u32_e32 v8, v55, v2
	s_delay_alu instid0(VALU_DEP_1) | instskip(SKIP_1) | instid1(VALU_DEP_2)
	v_and_b32_e32 v2, 0xfffffe00, v8
	v_ashrrev_i32_e32 v8, 9, v8
	v_sub_nc_u32_e32 v135, v55, v2
	s_delay_alu instid0(VALU_DEP_1) | instskip(NEXT) | instid1(VALU_DEP_1)
	v_cmp_lt_i32_e64 s13, 15, v135
	v_add_co_ci_u32_e64 v144, vcc_lo, v8, v117, s13
	v_cmpx_lt_i32_e32 15, v134
	s_cbranch_execz .LBB2_2017
; %bb.1627:                             ;   in Loop: Header=BB2_1542 Depth=2
	s_cbranch_execnz .LBB2_4708
; %bb.1628:                             ;   in Loop: Header=BB2_1542 Depth=2
	ds_load_b128 v[8:11], v0
	s_mov_b32 s17, 0
	s_waitcnt lgkmcnt(0)
	v_add_co_u32 v64, vcc_lo, v8, v116
	v_add_co_ci_u32_e32 v65, vcc_lo, v9, v118, vcc_lo
	v_add_co_u32 v66, vcc_lo, v10, v116
	v_add_co_ci_u32_e32 v67, vcc_lo, v11, v118, vcc_lo
	s_delay_alu instid0(VALU_DEP_3) | instskip(NEXT) | instid1(VALU_DEP_2)
	v_dual_mov_b32 v69, v65 :: v_dual_mov_b32 v68, v64
	v_dual_mov_b32 v71, v67 :: v_dual_mov_b32 v70, v66
.LBB2_1629:                             ;   Parent Loop BB2_51 Depth=1
                                        ;     Parent Loop BB2_1542 Depth=2
                                        ; =>    This Loop Header: Depth=3
                                        ;         Child Loop BB2_1886 Depth 4
	global_load_b128 v[12:15], v[68:69], off slc dlc
	global_load_b128 v[8:11], v[70:71], off slc dlc
	s_mov_b32 s3, 0
	s_mov_b32 s15, exec_lo
                                        ; implicit-def: $sgpr14
	s_waitcnt vmcnt(1)
	v_and_b32_e32 v146, 0xff, v12
	s_delay_alu instid0(VALU_DEP_1)
	v_cmpx_lt_i16_e64 0x7f, v146
	s_xor_b32 s15, exec_lo, s15
	s_cbranch_execnz .LBB2_1888
; %bb.1630:                             ;   in Loop: Header=BB2_1629 Depth=3
	s_or_saveexec_b32 s15, s15
	v_mov_b32_e32 v145, s14
	s_xor_b32 exec_lo, exec_lo, s15
	s_cbranch_execnz .LBB2_1891
.LBB2_1631:                             ;   in Loop: Header=BB2_1629 Depth=3
	s_or_b32 exec_lo, exec_lo, s15
	s_and_saveexec_b32 s14, s3
	s_cbranch_execz .LBB2_1633
.LBB2_1632:                             ;   in Loop: Header=BB2_1629 Depth=3
	v_bfe_u32 v148, v12, 3, 4
	v_lshlrev_b32_e32 v149, 24, v12
	s_delay_alu instid0(VALU_DEP_2) | instskip(SKIP_1) | instid1(VALU_DEP_1)
	v_cmp_eq_u32_e32 vcc_lo, 0, v148
	v_and_b32_e32 v145, 7, v12
	v_clz_i32_u32_e32 v146, v145
	s_delay_alu instid0(VALU_DEP_1) | instskip(NEXT) | instid1(VALU_DEP_1)
	v_min_u32_e32 v146, 32, v146
	v_subrev_nc_u32_e32 v147, 28, v146
	v_sub_nc_u32_e32 v146, 29, v146
	s_delay_alu instid0(VALU_DEP_1) | instskip(NEXT) | instid1(VALU_DEP_1)
	v_dual_cndmask_b32 v146, v148, v146 :: v_dual_lshlrev_b32 v147, v147, v12
	v_and_b32_e32 v147, 7, v147
	s_delay_alu instid0(VALU_DEP_2) | instskip(NEXT) | instid1(VALU_DEP_2)
	v_lshl_add_u32 v146, v146, 23, 0x3b800000
	v_cndmask_b32_e32 v145, v145, v147, vcc_lo
	v_and_b32_e32 v147, 0x80000000, v149
	s_delay_alu instid0(VALU_DEP_2) | instskip(NEXT) | instid1(VALU_DEP_1)
	v_lshlrev_b32_e32 v145, 20, v145
	v_or3_b32 v145, v147, v146, v145
.LBB2_1633:                             ;   in Loop: Header=BB2_1629 Depth=3
	s_or_b32 exec_lo, exec_lo, s14
	s_waitcnt vmcnt(0)
	v_and_b32_e32 v147, 0xff, v8
	s_mov_b32 s3, 0
	s_mov_b32 s15, exec_lo
                                        ; implicit-def: $sgpr14
	s_delay_alu instid0(VALU_DEP_1)
	v_cmpx_lt_i16_e64 0x7f, v147
	s_xor_b32 s15, exec_lo, s15
	s_cbranch_execnz .LBB2_1892
; %bb.1634:                             ;   in Loop: Header=BB2_1629 Depth=3
	s_or_saveexec_b32 s15, s15
	v_mov_b32_e32 v146, s14
	s_xor_b32 exec_lo, exec_lo, s15
	s_cbranch_execnz .LBB2_1895
.LBB2_1635:                             ;   in Loop: Header=BB2_1629 Depth=3
	s_or_b32 exec_lo, exec_lo, s15
	s_and_saveexec_b32 s14, s3
	s_cbranch_execz .LBB2_1637
.LBB2_1636:                             ;   in Loop: Header=BB2_1629 Depth=3
	v_bfe_u32 v149, v8, 3, 4
	v_lshlrev_b32_e32 v150, 24, v8
	s_delay_alu instid0(VALU_DEP_2) | instskip(SKIP_1) | instid1(VALU_DEP_1)
	v_cmp_eq_u32_e32 vcc_lo, 0, v149
	v_and_b32_e32 v146, 7, v8
	v_clz_i32_u32_e32 v147, v146
	s_delay_alu instid0(VALU_DEP_1) | instskip(NEXT) | instid1(VALU_DEP_1)
	v_min_u32_e32 v147, 32, v147
	v_subrev_nc_u32_e32 v148, 28, v147
	v_sub_nc_u32_e32 v147, 29, v147
	s_delay_alu instid0(VALU_DEP_1) | instskip(NEXT) | instid1(VALU_DEP_1)
	v_dual_cndmask_b32 v147, v149, v147 :: v_dual_lshlrev_b32 v148, v148, v8
	v_and_b32_e32 v148, 7, v148
	s_delay_alu instid0(VALU_DEP_2) | instskip(NEXT) | instid1(VALU_DEP_2)
	v_lshl_add_u32 v147, v147, 23, 0x3b800000
	v_cndmask_b32_e32 v146, v146, v148, vcc_lo
	v_and_b32_e32 v148, 0x80000000, v150
	s_delay_alu instid0(VALU_DEP_2) | instskip(NEXT) | instid1(VALU_DEP_1)
	v_lshlrev_b32_e32 v146, 20, v146
	v_or3_b32 v146, v148, v147, v146
.LBB2_1637:                             ;   in Loop: Header=BB2_1629 Depth=3
	s_or_b32 exec_lo, exec_lo, s14
	s_delay_alu instid0(VALU_DEP_1) | instskip(NEXT) | instid1(VALU_DEP_1)
	v_add_f32_e32 v146, v145, v146
	v_and_b32_e32 v145, 0x7f800000, v146
	s_delay_alu instid0(VALU_DEP_1)
	v_cmp_ne_u32_e32 vcc_lo, 0x7f800000, v145
	v_mov_b32_e32 v145, 0x80
	s_and_saveexec_b32 s3, vcc_lo
	s_cbranch_execz .LBB2_1645
; %bb.1638:                             ;   in Loop: Header=BB2_1629 Depth=3
	v_mov_b32_e32 v145, 0
	s_mov_b32 s15, exec_lo
	v_cmpx_ne_u32_e32 0, v146
	s_cbranch_execz .LBB2_1644
; %bb.1639:                             ;   in Loop: Header=BB2_1629 Depth=3
	v_bfe_u32 v145, v146, 23, 8
	s_delay_alu instid0(VALU_DEP_1) | instskip(SKIP_1) | instid1(VALU_DEP_2)
	v_sub_nc_u32_e32 v148, 0x78, v145
	v_cmp_gt_u32_e32 vcc_lo, 0x79, v145
	v_dual_cndmask_b32 v148, 0, v148 :: v_dual_and_b32 v147, 0x7fffff, v146
	s_delay_alu instid0(VALU_DEP_1) | instskip(SKIP_2) | instid1(VALU_DEP_4)
	v_or_b32_e32 v149, 0x800000, v147
	v_cmp_eq_u32_e32 vcc_lo, 0, v145
	v_add_nc_u32_e32 v145, 0xffffff89, v145
	v_cndmask_b32_e64 v148, v148, 0x77, vcc_lo
	s_delay_alu instid0(VALU_DEP_2) | instskip(SKIP_1) | instid1(VALU_DEP_3)
	v_cndmask_b32_e64 v145, v145, 0xffffff8a, vcc_lo
	v_cndmask_b32_e32 v147, v149, v147, vcc_lo
	v_lshl_add_u32 v149, 0x100000, v148, -1
	v_lshlrev_b32_e64 v160, v148, 0x80000
	s_delay_alu instid0(VALU_DEP_3) | instskip(SKIP_1) | instid1(VALU_DEP_4)
	v_lshrrev_b32_e32 v150, v148, v147
	v_add_nc_u32_e32 v148, v148, v145
	v_and_b32_e32 v147, v149, v147
	s_delay_alu instid0(VALU_DEP_3) | instskip(NEXT) | instid1(VALU_DEP_2)
	v_bfe_u32 v151, v150, 20, 1
	v_cmp_eq_u32_e64 s14, v147, v160
	s_delay_alu instid0(VALU_DEP_2) | instskip(NEXT) | instid1(VALU_DEP_1)
	v_add_nc_u32_e32 v149, -1, v151
	v_cndmask_b32_e64 v147, 0, v149, s14
	v_lshrrev_b32_e32 v149, 23, v150
	s_mov_b32 s14, exec_lo
	s_delay_alu instid0(VALU_DEP_2) | instskip(NEXT) | instid1(VALU_DEP_2)
	v_add_nc_u32_e32 v147, v147, v150
	v_xor_b32_e32 v149, 1, v149
	s_delay_alu instid0(VALU_DEP_2) | instskip(NEXT) | instid1(VALU_DEP_1)
	v_and_b32_e32 v145, 0xfffff, v147
	v_add_nc_u32_e32 v147, v145, v150
                                        ; implicit-def: $vgpr145
	s_delay_alu instid0(VALU_DEP_3)
	v_cmpx_ne_u32_e64 v148, v149
	s_xor_b32 s14, exec_lo, s14
; %bb.1640:                             ;   in Loop: Header=BB2_1629 Depth=3
	s_delay_alu instid0(VALU_DEP_2) | instskip(SKIP_2) | instid1(VALU_DEP_2)
	v_cmp_lt_u32_e32 vcc_lo, 0xffffff, v147
	v_sub_nc_u32_e32 v145, v148, v149
	v_cndmask_b32_e64 v148, 0, 1, vcc_lo
	v_add_co_ci_u32_e32 v145, vcc_lo, 0, v145, vcc_lo
	s_delay_alu instid0(VALU_DEP_2)
	v_lshrrev_b32_e32 v147, v148, v147
; %bb.1641:                             ;   in Loop: Header=BB2_1629 Depth=3
	s_and_not1_saveexec_b32 s14, s14
; %bb.1642:                             ;   in Loop: Header=BB2_1629 Depth=3
	s_delay_alu instid0(VALU_DEP_1)
	v_bfe_u32 v145, v147, 23, 1
; %bb.1643:                             ;   in Loop: Header=BB2_1629 Depth=3
	s_or_b32 exec_lo, exec_lo, s14
	v_lshrrev_b32_e32 v147, 20, v147
	s_delay_alu instid0(VALU_DEP_2) | instskip(SKIP_2) | instid1(VALU_DEP_2)
	v_cmp_gt_i32_e32 vcc_lo, 16, v145
	v_lshrrev_b32_e32 v146, 24, v146
	v_min_i32_e32 v148, 15, v145
	v_dual_cndmask_b32 v147, 7, v147 :: v_dual_and_b32 v146, 0x80, v146
	s_delay_alu instid0(VALU_DEP_1) | instskip(SKIP_1) | instid1(VALU_DEP_2)
	v_or_b32_e32 v145, v145, v147
	v_and_b32_e32 v149, 7, v147
	v_cmp_ne_u32_e32 vcc_lo, 0, v145
	v_lshlrev_b32_e32 v148, 3, v148
	s_delay_alu instid0(VALU_DEP_1) | instskip(NEXT) | instid1(VALU_DEP_1)
	v_or3_b32 v146, v148, v146, v149
	v_cndmask_b32_e32 v145, 0, v146, vcc_lo
.LBB2_1644:                             ;   in Loop: Header=BB2_1629 Depth=3
	s_or_b32 exec_lo, exec_lo, s15
.LBB2_1645:                             ;   in Loop: Header=BB2_1629 Depth=3
	s_delay_alu instid0(SALU_CYCLE_1) | instskip(SKIP_3) | instid1(VALU_DEP_1)
	s_or_b32 exec_lo, exec_lo, s3
	v_lshrrev_b16 v147, 8, v12
	s_mov_b32 s3, 0
	s_mov_b32 s15, exec_lo
                                        ; implicit-def: $sgpr14
	v_cmpx_lt_i16_e64 0x7f, v147
	s_xor_b32 s15, exec_lo, s15
	s_cbranch_execnz .LBB2_1896
; %bb.1646:                             ;   in Loop: Header=BB2_1629 Depth=3
	s_or_saveexec_b32 s15, s15
	v_mov_b32_e32 v146, s14
	s_xor_b32 exec_lo, exec_lo, s15
	s_cbranch_execnz .LBB2_1899
.LBB2_1647:                             ;   in Loop: Header=BB2_1629 Depth=3
	s_or_b32 exec_lo, exec_lo, s15
	s_and_saveexec_b32 s14, s3
	s_cbranch_execz .LBB2_1649
.LBB2_1648:                             ;   in Loop: Header=BB2_1629 Depth=3
	v_and_b32_e32 v146, 0xffff, v147
	s_delay_alu instid0(VALU_DEP_1) | instskip(NEXT) | instid1(VALU_DEP_1)
	v_and_b32_e32 v148, 7, v146
	v_clz_i32_u32_e32 v149, v148
	s_delay_alu instid0(VALU_DEP_1) | instskip(NEXT) | instid1(VALU_DEP_1)
	v_min_u32_e32 v149, 32, v149
	v_subrev_nc_u32_e32 v150, 28, v149
	v_sub_nc_u32_e32 v149, 29, v149
	s_delay_alu instid0(VALU_DEP_2) | instskip(SKIP_1) | instid1(VALU_DEP_2)
	v_lshlrev_b32_e32 v150, v150, v146
	v_bfe_u32 v146, v146, 3, 4
	v_and_b32_e32 v150, 7, v150
	s_delay_alu instid0(VALU_DEP_2) | instskip(SKIP_1) | instid1(VALU_DEP_1)
	v_cmp_eq_u32_e32 vcc_lo, 0, v146
	v_dual_cndmask_b32 v146, v146, v149 :: v_dual_lshlrev_b32 v147, 24, v147
	v_dual_cndmask_b32 v148, v148, v150 :: v_dual_and_b32 v147, 0x80000000, v147
	s_delay_alu instid0(VALU_DEP_2) | instskip(NEXT) | instid1(VALU_DEP_2)
	v_lshl_add_u32 v146, v146, 23, 0x3b800000
	v_lshlrev_b32_e32 v148, 20, v148
	s_delay_alu instid0(VALU_DEP_1)
	v_or3_b32 v146, v147, v146, v148
.LBB2_1649:                             ;   in Loop: Header=BB2_1629 Depth=3
	s_or_b32 exec_lo, exec_lo, s14
	v_lshrrev_b16 v147, 8, v8
	s_mov_b32 s3, 0
	s_mov_b32 s15, exec_lo
                                        ; implicit-def: $sgpr14
	s_delay_alu instid0(VALU_DEP_1)
	v_cmpx_lt_i16_e64 0x7f, v147
	s_xor_b32 s15, exec_lo, s15
	s_cbranch_execnz .LBB2_1900
; %bb.1650:                             ;   in Loop: Header=BB2_1629 Depth=3
	s_or_saveexec_b32 s15, s15
	v_mov_b32_e32 v148, s14
	s_xor_b32 exec_lo, exec_lo, s15
	s_cbranch_execnz .LBB2_1903
.LBB2_1651:                             ;   in Loop: Header=BB2_1629 Depth=3
	s_or_b32 exec_lo, exec_lo, s15
	s_and_saveexec_b32 s14, s3
	s_cbranch_execz .LBB2_1653
.LBB2_1652:                             ;   in Loop: Header=BB2_1629 Depth=3
	v_and_b32_e32 v148, 0xffff, v147
	v_lshlrev_b32_e32 v147, 24, v147
	s_delay_alu instid0(VALU_DEP_2) | instskip(NEXT) | instid1(VALU_DEP_2)
	v_and_b32_e32 v149, 7, v148
	v_and_b32_e32 v147, 0x80000000, v147
	s_delay_alu instid0(VALU_DEP_2) | instskip(NEXT) | instid1(VALU_DEP_1)
	v_clz_i32_u32_e32 v150, v149
	v_min_u32_e32 v150, 32, v150
	s_delay_alu instid0(VALU_DEP_1) | instskip(SKIP_1) | instid1(VALU_DEP_2)
	v_subrev_nc_u32_e32 v151, 28, v150
	v_sub_nc_u32_e32 v150, 29, v150
	v_lshlrev_b32_e32 v151, v151, v148
	v_bfe_u32 v148, v148, 3, 4
	s_delay_alu instid0(VALU_DEP_2) | instskip(NEXT) | instid1(VALU_DEP_2)
	v_and_b32_e32 v151, 7, v151
	v_cmp_eq_u32_e32 vcc_lo, 0, v148
	s_delay_alu instid0(VALU_DEP_2) | instskip(NEXT) | instid1(VALU_DEP_1)
	v_dual_cndmask_b32 v148, v148, v150 :: v_dual_cndmask_b32 v149, v149, v151
	v_lshl_add_u32 v148, v148, 23, 0x3b800000
	s_delay_alu instid0(VALU_DEP_2) | instskip(NEXT) | instid1(VALU_DEP_1)
	v_lshlrev_b32_e32 v149, 20, v149
	v_or3_b32 v148, v147, v148, v149
.LBB2_1653:                             ;   in Loop: Header=BB2_1629 Depth=3
	s_or_b32 exec_lo, exec_lo, s14
	s_delay_alu instid0(VALU_DEP_1) | instskip(NEXT) | instid1(VALU_DEP_1)
	v_add_f32_e32 v147, v146, v148
	v_and_b32_e32 v146, 0x7f800000, v147
	s_delay_alu instid0(VALU_DEP_1)
	v_cmp_ne_u32_e32 vcc_lo, 0x7f800000, v146
	v_mov_b32_e32 v146, 0x80
	s_and_saveexec_b32 s3, vcc_lo
	s_cbranch_execz .LBB2_1661
; %bb.1654:                             ;   in Loop: Header=BB2_1629 Depth=3
	v_mov_b32_e32 v146, 0
	s_mov_b32 s15, exec_lo
	v_cmpx_ne_u32_e32 0, v147
	s_cbranch_execz .LBB2_1660
; %bb.1655:                             ;   in Loop: Header=BB2_1629 Depth=3
	v_bfe_u32 v146, v147, 23, 8
	s_delay_alu instid0(VALU_DEP_1) | instskip(SKIP_1) | instid1(VALU_DEP_2)
	v_sub_nc_u32_e32 v149, 0x78, v146
	v_cmp_gt_u32_e32 vcc_lo, 0x79, v146
	v_dual_cndmask_b32 v149, 0, v149 :: v_dual_and_b32 v148, 0x7fffff, v147
	s_delay_alu instid0(VALU_DEP_1) | instskip(SKIP_2) | instid1(VALU_DEP_4)
	v_or_b32_e32 v150, 0x800000, v148
	v_cmp_eq_u32_e32 vcc_lo, 0, v146
	v_add_nc_u32_e32 v146, 0xffffff89, v146
	v_cndmask_b32_e64 v149, v149, 0x77, vcc_lo
	s_delay_alu instid0(VALU_DEP_2) | instskip(SKIP_1) | instid1(VALU_DEP_3)
	v_cndmask_b32_e64 v146, v146, 0xffffff8a, vcc_lo
	v_cndmask_b32_e32 v148, v150, v148, vcc_lo
	v_lshl_add_u32 v150, 0x100000, v149, -1
	v_lshlrev_b32_e64 v161, v149, 0x80000
	s_delay_alu instid0(VALU_DEP_3) | instskip(SKIP_1) | instid1(VALU_DEP_4)
	v_lshrrev_b32_e32 v151, v149, v148
	v_add_nc_u32_e32 v149, v149, v146
	v_and_b32_e32 v148, v150, v148
	s_delay_alu instid0(VALU_DEP_3) | instskip(NEXT) | instid1(VALU_DEP_2)
	v_bfe_u32 v160, v151, 20, 1
	v_cmp_eq_u32_e64 s14, v148, v161
	s_delay_alu instid0(VALU_DEP_2) | instskip(NEXT) | instid1(VALU_DEP_1)
	v_add_nc_u32_e32 v150, -1, v160
	v_cndmask_b32_e64 v148, 0, v150, s14
	v_lshrrev_b32_e32 v150, 23, v151
	s_mov_b32 s14, exec_lo
	s_delay_alu instid0(VALU_DEP_2) | instskip(NEXT) | instid1(VALU_DEP_2)
	v_add_nc_u32_e32 v148, v148, v151
	v_xor_b32_e32 v150, 1, v150
	s_delay_alu instid0(VALU_DEP_2) | instskip(NEXT) | instid1(VALU_DEP_1)
	v_and_b32_e32 v146, 0xfffff, v148
	v_add_nc_u32_e32 v148, v146, v151
                                        ; implicit-def: $vgpr146
	s_delay_alu instid0(VALU_DEP_3)
	v_cmpx_ne_u32_e64 v149, v150
	s_xor_b32 s14, exec_lo, s14
; %bb.1656:                             ;   in Loop: Header=BB2_1629 Depth=3
	s_delay_alu instid0(VALU_DEP_2) | instskip(SKIP_2) | instid1(VALU_DEP_2)
	v_cmp_lt_u32_e32 vcc_lo, 0xffffff, v148
	v_sub_nc_u32_e32 v146, v149, v150
	v_cndmask_b32_e64 v149, 0, 1, vcc_lo
	v_add_co_ci_u32_e32 v146, vcc_lo, 0, v146, vcc_lo
	s_delay_alu instid0(VALU_DEP_2)
	v_lshrrev_b32_e32 v148, v149, v148
; %bb.1657:                             ;   in Loop: Header=BB2_1629 Depth=3
	s_and_not1_saveexec_b32 s14, s14
; %bb.1658:                             ;   in Loop: Header=BB2_1629 Depth=3
	s_delay_alu instid0(VALU_DEP_1)
	v_bfe_u32 v146, v148, 23, 1
; %bb.1659:                             ;   in Loop: Header=BB2_1629 Depth=3
	s_or_b32 exec_lo, exec_lo, s14
	v_lshrrev_b32_e32 v148, 20, v148
	s_delay_alu instid0(VALU_DEP_2) | instskip(SKIP_2) | instid1(VALU_DEP_2)
	v_cmp_gt_i32_e32 vcc_lo, 16, v146
	v_lshrrev_b32_e32 v147, 24, v147
	v_min_i32_e32 v149, 15, v146
	v_dual_cndmask_b32 v148, 7, v148 :: v_dual_and_b32 v147, 0x80, v147
	s_delay_alu instid0(VALU_DEP_1) | instskip(SKIP_1) | instid1(VALU_DEP_2)
	v_or_b32_e32 v146, v146, v148
	v_and_b32_e32 v150, 7, v148
	v_cmp_ne_u32_e32 vcc_lo, 0, v146
	v_lshlrev_b32_e32 v149, 3, v149
	s_delay_alu instid0(VALU_DEP_1) | instskip(NEXT) | instid1(VALU_DEP_1)
	v_or3_b32 v147, v149, v147, v150
	v_cndmask_b32_e32 v146, 0, v147, vcc_lo
.LBB2_1660:                             ;   in Loop: Header=BB2_1629 Depth=3
	s_or_b32 exec_lo, exec_lo, s15
.LBB2_1661:                             ;   in Loop: Header=BB2_1629 Depth=3
	s_delay_alu instid0(SALU_CYCLE_1) | instskip(SKIP_3) | instid1(VALU_DEP_1)
	s_or_b32 exec_lo, exec_lo, s3
	v_lshrrev_b32_e32 v148, 16, v12
	s_mov_b32 s3, 0
	s_mov_b32 s15, exec_lo
                                        ; implicit-def: $sgpr14
	v_and_b32_e32 v149, 0xff, v148
	s_delay_alu instid0(VALU_DEP_1)
	v_cmpx_lt_i16_e64 0x7f, v149
	s_xor_b32 s15, exec_lo, s15
	s_cbranch_execnz .LBB2_1904
; %bb.1662:                             ;   in Loop: Header=BB2_1629 Depth=3
	s_or_saveexec_b32 s15, s15
	v_mov_b32_e32 v147, s14
	s_xor_b32 exec_lo, exec_lo, s15
	s_cbranch_execnz .LBB2_1907
.LBB2_1663:                             ;   in Loop: Header=BB2_1629 Depth=3
	s_or_b32 exec_lo, exec_lo, s15
	s_and_saveexec_b32 s14, s3
	s_cbranch_execz .LBB2_1665
.LBB2_1664:                             ;   in Loop: Header=BB2_1629 Depth=3
	v_bfe_u32 v147, v12, 16, 3
	v_lshlrev_b32_e32 v151, 8, v12
	s_delay_alu instid0(VALU_DEP_2) | instskip(NEXT) | instid1(VALU_DEP_1)
	v_clz_i32_u32_e32 v149, v147
	v_min_u32_e32 v149, 32, v149
	s_delay_alu instid0(VALU_DEP_1) | instskip(SKIP_1) | instid1(VALU_DEP_2)
	v_subrev_nc_u32_e32 v150, 28, v149
	v_sub_nc_u32_e32 v149, 29, v149
	v_lshlrev_b32_e32 v148, v150, v148
	v_bfe_u32 v150, v12, 19, 4
	s_delay_alu instid0(VALU_DEP_1) | instskip(NEXT) | instid1(VALU_DEP_3)
	v_cmp_eq_u32_e32 vcc_lo, 0, v150
	v_dual_cndmask_b32 v149, v150, v149 :: v_dual_and_b32 v148, 7, v148
	s_delay_alu instid0(VALU_DEP_1) | instskip(NEXT) | instid1(VALU_DEP_2)
	v_dual_cndmask_b32 v147, v147, v148 :: v_dual_and_b32 v148, 0x80000000, v151
	v_lshl_add_u32 v149, v149, 23, 0x3b800000
	s_delay_alu instid0(VALU_DEP_2) | instskip(NEXT) | instid1(VALU_DEP_1)
	v_lshlrev_b32_e32 v147, 20, v147
	v_or3_b32 v147, v148, v149, v147
.LBB2_1665:                             ;   in Loop: Header=BB2_1629 Depth=3
	s_or_b32 exec_lo, exec_lo, s14
	v_lshrrev_b32_e32 v148, 16, v8
	s_mov_b32 s3, 0
	s_mov_b32 s15, exec_lo
                                        ; implicit-def: $sgpr14
	s_delay_alu instid0(VALU_DEP_1) | instskip(NEXT) | instid1(VALU_DEP_1)
	v_and_b32_e32 v150, 0xff, v148
	v_cmpx_lt_i16_e64 0x7f, v150
	s_xor_b32 s15, exec_lo, s15
	s_cbranch_execnz .LBB2_1908
; %bb.1666:                             ;   in Loop: Header=BB2_1629 Depth=3
	s_or_saveexec_b32 s15, s15
	v_mov_b32_e32 v149, s14
	s_xor_b32 exec_lo, exec_lo, s15
	s_cbranch_execnz .LBB2_1911
.LBB2_1667:                             ;   in Loop: Header=BB2_1629 Depth=3
	s_or_b32 exec_lo, exec_lo, s15
	s_and_saveexec_b32 s14, s3
	s_cbranch_execz .LBB2_1669
.LBB2_1668:                             ;   in Loop: Header=BB2_1629 Depth=3
	v_bfe_u32 v149, v8, 16, 3
	v_lshlrev_b32_e32 v160, 8, v8
	s_delay_alu instid0(VALU_DEP_2) | instskip(NEXT) | instid1(VALU_DEP_1)
	v_clz_i32_u32_e32 v150, v149
	v_min_u32_e32 v150, 32, v150
	s_delay_alu instid0(VALU_DEP_1) | instskip(SKIP_1) | instid1(VALU_DEP_2)
	v_subrev_nc_u32_e32 v151, 28, v150
	v_sub_nc_u32_e32 v150, 29, v150
	v_lshlrev_b32_e32 v148, v151, v148
	v_bfe_u32 v151, v8, 19, 4
	s_delay_alu instid0(VALU_DEP_2) | instskip(NEXT) | instid1(VALU_DEP_2)
	v_and_b32_e32 v148, 7, v148
	v_cmp_eq_u32_e32 vcc_lo, 0, v151
	v_cndmask_b32_e32 v150, v151, v150, vcc_lo
	s_delay_alu instid0(VALU_DEP_3) | instskip(SKIP_1) | instid1(VALU_DEP_3)
	v_cndmask_b32_e32 v148, v149, v148, vcc_lo
	v_and_b32_e32 v149, 0x80000000, v160
	v_lshl_add_u32 v150, v150, 23, 0x3b800000
	s_delay_alu instid0(VALU_DEP_3) | instskip(NEXT) | instid1(VALU_DEP_1)
	v_lshlrev_b32_e32 v148, 20, v148
	v_or3_b32 v149, v149, v150, v148
.LBB2_1669:                             ;   in Loop: Header=BB2_1629 Depth=3
	s_or_b32 exec_lo, exec_lo, s14
	s_delay_alu instid0(VALU_DEP_1) | instskip(NEXT) | instid1(VALU_DEP_1)
	v_add_f32_e32 v148, v147, v149
	v_and_b32_e32 v147, 0x7f800000, v148
	s_delay_alu instid0(VALU_DEP_1)
	v_cmp_ne_u32_e32 vcc_lo, 0x7f800000, v147
	v_mov_b32_e32 v147, 0x80
	s_and_saveexec_b32 s3, vcc_lo
	s_cbranch_execz .LBB2_1677
; %bb.1670:                             ;   in Loop: Header=BB2_1629 Depth=3
	v_mov_b32_e32 v147, 0
	s_mov_b32 s15, exec_lo
	v_cmpx_ne_u32_e32 0, v148
	s_cbranch_execz .LBB2_1676
; %bb.1671:                             ;   in Loop: Header=BB2_1629 Depth=3
	v_bfe_u32 v147, v148, 23, 8
	s_delay_alu instid0(VALU_DEP_1) | instskip(SKIP_1) | instid1(VALU_DEP_2)
	v_sub_nc_u32_e32 v150, 0x78, v147
	v_cmp_gt_u32_e32 vcc_lo, 0x79, v147
	v_dual_cndmask_b32 v150, 0, v150 :: v_dual_and_b32 v149, 0x7fffff, v148
	s_delay_alu instid0(VALU_DEP_1) | instskip(SKIP_2) | instid1(VALU_DEP_4)
	v_or_b32_e32 v151, 0x800000, v149
	v_cmp_eq_u32_e32 vcc_lo, 0, v147
	v_add_nc_u32_e32 v147, 0xffffff89, v147
	v_cndmask_b32_e64 v150, v150, 0x77, vcc_lo
	s_delay_alu instid0(VALU_DEP_2) | instskip(SKIP_1) | instid1(VALU_DEP_3)
	v_cndmask_b32_e64 v147, v147, 0xffffff8a, vcc_lo
	v_cndmask_b32_e32 v149, v151, v149, vcc_lo
	v_lshl_add_u32 v151, 0x100000, v150, -1
	v_lshlrev_b32_e64 v162, v150, 0x80000
	s_delay_alu instid0(VALU_DEP_3) | instskip(SKIP_1) | instid1(VALU_DEP_4)
	v_lshrrev_b32_e32 v160, v150, v149
	v_add_nc_u32_e32 v150, v150, v147
	v_and_b32_e32 v149, v151, v149
	s_delay_alu instid0(VALU_DEP_3) | instskip(NEXT) | instid1(VALU_DEP_2)
	v_bfe_u32 v161, v160, 20, 1
	v_cmp_eq_u32_e64 s14, v149, v162
	s_delay_alu instid0(VALU_DEP_2) | instskip(NEXT) | instid1(VALU_DEP_1)
	v_add_nc_u32_e32 v151, -1, v161
	v_cndmask_b32_e64 v149, 0, v151, s14
	v_lshrrev_b32_e32 v151, 23, v160
	s_mov_b32 s14, exec_lo
	s_delay_alu instid0(VALU_DEP_2) | instskip(NEXT) | instid1(VALU_DEP_2)
	v_add_nc_u32_e32 v149, v149, v160
	v_xor_b32_e32 v151, 1, v151
	s_delay_alu instid0(VALU_DEP_2) | instskip(NEXT) | instid1(VALU_DEP_1)
	v_and_b32_e32 v147, 0xfffff, v149
	v_add_nc_u32_e32 v149, v147, v160
                                        ; implicit-def: $vgpr147
	s_delay_alu instid0(VALU_DEP_3)
	v_cmpx_ne_u32_e64 v150, v151
	s_xor_b32 s14, exec_lo, s14
; %bb.1672:                             ;   in Loop: Header=BB2_1629 Depth=3
	s_delay_alu instid0(VALU_DEP_2) | instskip(SKIP_2) | instid1(VALU_DEP_2)
	v_cmp_lt_u32_e32 vcc_lo, 0xffffff, v149
	v_sub_nc_u32_e32 v147, v150, v151
	v_cndmask_b32_e64 v150, 0, 1, vcc_lo
	v_add_co_ci_u32_e32 v147, vcc_lo, 0, v147, vcc_lo
	s_delay_alu instid0(VALU_DEP_2)
	v_lshrrev_b32_e32 v149, v150, v149
; %bb.1673:                             ;   in Loop: Header=BB2_1629 Depth=3
	s_and_not1_saveexec_b32 s14, s14
; %bb.1674:                             ;   in Loop: Header=BB2_1629 Depth=3
	s_delay_alu instid0(VALU_DEP_1)
	v_bfe_u32 v147, v149, 23, 1
; %bb.1675:                             ;   in Loop: Header=BB2_1629 Depth=3
	s_or_b32 exec_lo, exec_lo, s14
	v_lshrrev_b32_e32 v149, 20, v149
	s_delay_alu instid0(VALU_DEP_2) | instskip(SKIP_2) | instid1(VALU_DEP_2)
	v_cmp_gt_i32_e32 vcc_lo, 16, v147
	v_lshrrev_b32_e32 v148, 24, v148
	v_min_i32_e32 v150, 15, v147
	v_dual_cndmask_b32 v149, 7, v149 :: v_dual_and_b32 v148, 0x80, v148
	s_delay_alu instid0(VALU_DEP_1) | instskip(SKIP_1) | instid1(VALU_DEP_2)
	v_or_b32_e32 v147, v147, v149
	v_and_b32_e32 v151, 7, v149
	v_cmp_ne_u32_e32 vcc_lo, 0, v147
	v_lshlrev_b32_e32 v150, 3, v150
	s_delay_alu instid0(VALU_DEP_1) | instskip(NEXT) | instid1(VALU_DEP_1)
	v_or3_b32 v148, v150, v148, v151
	v_cndmask_b32_e32 v147, 0, v148, vcc_lo
.LBB2_1676:                             ;   in Loop: Header=BB2_1629 Depth=3
	s_or_b32 exec_lo, exec_lo, s15
.LBB2_1677:                             ;   in Loop: Header=BB2_1629 Depth=3
	s_delay_alu instid0(SALU_CYCLE_1) | instskip(SKIP_3) | instid1(VALU_DEP_1)
	s_or_b32 exec_lo, exec_lo, s3
	v_lshrrev_b32_e32 v149, 24, v12
	s_mov_b32 s3, 0
	s_mov_b32 s15, exec_lo
                                        ; implicit-def: $sgpr14
	v_cmpx_lt_i16_e64 0x7f, v149
	s_xor_b32 s15, exec_lo, s15
	s_cbranch_execnz .LBB2_1912
; %bb.1678:                             ;   in Loop: Header=BB2_1629 Depth=3
	s_or_saveexec_b32 s15, s15
	v_mov_b32_e32 v148, s14
	s_xor_b32 exec_lo, exec_lo, s15
	s_cbranch_execnz .LBB2_1915
.LBB2_1679:                             ;   in Loop: Header=BB2_1629 Depth=3
	s_or_b32 exec_lo, exec_lo, s15
	s_and_saveexec_b32 s14, s3
	s_cbranch_execz .LBB2_1681
.LBB2_1680:                             ;   in Loop: Header=BB2_1629 Depth=3
	v_bfe_u32 v148, v12, 24, 3
	s_delay_alu instid0(VALU_DEP_1) | instskip(NEXT) | instid1(VALU_DEP_1)
	v_clz_i32_u32_e32 v150, v148
	v_min_u32_e32 v150, 32, v150
	s_delay_alu instid0(VALU_DEP_1) | instskip(SKIP_1) | instid1(VALU_DEP_2)
	v_subrev_nc_u32_e32 v151, 28, v150
	v_sub_nc_u32_e32 v150, 29, v150
	v_lshlrev_b32_e32 v149, v151, v149
	v_bfe_u32 v151, v12, 27, 4
	v_and_b32_e32 v12, 0x80000000, v12
	s_delay_alu instid0(VALU_DEP_2) | instskip(NEXT) | instid1(VALU_DEP_4)
	v_cmp_eq_u32_e32 vcc_lo, 0, v151
	v_dual_cndmask_b32 v150, v151, v150 :: v_dual_and_b32 v149, 7, v149
	s_delay_alu instid0(VALU_DEP_1) | instskip(NEXT) | instid1(VALU_DEP_2)
	v_cndmask_b32_e32 v148, v148, v149, vcc_lo
	v_lshl_add_u32 v149, v150, 23, 0x3b800000
	s_delay_alu instid0(VALU_DEP_2) | instskip(NEXT) | instid1(VALU_DEP_1)
	v_lshlrev_b32_e32 v148, 20, v148
	v_or3_b32 v148, v12, v149, v148
.LBB2_1681:                             ;   in Loop: Header=BB2_1629 Depth=3
	s_or_b32 exec_lo, exec_lo, s14
	v_lshrrev_b32_e32 v12, 24, v8
	s_mov_b32 s3, 0
	s_mov_b32 s15, exec_lo
                                        ; implicit-def: $sgpr14
	s_delay_alu instid0(VALU_DEP_1)
	v_cmpx_lt_i16_e32 0x7f, v12
	s_xor_b32 s15, exec_lo, s15
	s_cbranch_execnz .LBB2_1916
; %bb.1682:                             ;   in Loop: Header=BB2_1629 Depth=3
	s_or_saveexec_b32 s15, s15
	v_mov_b32_e32 v149, s14
	s_xor_b32 exec_lo, exec_lo, s15
	s_cbranch_execnz .LBB2_1919
.LBB2_1683:                             ;   in Loop: Header=BB2_1629 Depth=3
	s_or_b32 exec_lo, exec_lo, s15
	s_and_saveexec_b32 s14, s3
	s_cbranch_execz .LBB2_1685
.LBB2_1684:                             ;   in Loop: Header=BB2_1629 Depth=3
	v_bfe_u32 v149, v8, 24, 3
	s_delay_alu instid0(VALU_DEP_1) | instskip(NEXT) | instid1(VALU_DEP_1)
	v_clz_i32_u32_e32 v150, v149
	v_min_u32_e32 v150, 32, v150
	s_delay_alu instid0(VALU_DEP_1) | instskip(SKIP_1) | instid1(VALU_DEP_2)
	v_subrev_nc_u32_e32 v151, 28, v150
	v_sub_nc_u32_e32 v150, 29, v150
	v_lshlrev_b32_e32 v12, v151, v12
	v_bfe_u32 v151, v8, 27, 4
	v_and_b32_e32 v8, 0x80000000, v8
	s_delay_alu instid0(VALU_DEP_3) | instskip(NEXT) | instid1(VALU_DEP_3)
	v_and_b32_e32 v12, 7, v12
	v_cmp_eq_u32_e32 vcc_lo, 0, v151
	v_cndmask_b32_e32 v150, v151, v150, vcc_lo
	s_delay_alu instid0(VALU_DEP_3) | instskip(NEXT) | instid1(VALU_DEP_2)
	v_cndmask_b32_e32 v12, v149, v12, vcc_lo
	v_lshl_add_u32 v149, v150, 23, 0x3b800000
	s_delay_alu instid0(VALU_DEP_2) | instskip(NEXT) | instid1(VALU_DEP_1)
	v_lshlrev_b32_e32 v12, 20, v12
	v_or3_b32 v149, v8, v149, v12
.LBB2_1685:                             ;   in Loop: Header=BB2_1629 Depth=3
	s_or_b32 exec_lo, exec_lo, s14
	s_delay_alu instid0(VALU_DEP_1) | instskip(NEXT) | instid1(VALU_DEP_1)
	v_add_f32_e32 v12, v148, v149
	v_and_b32_e32 v8, 0x7f800000, v12
	s_delay_alu instid0(VALU_DEP_1)
	v_cmp_ne_u32_e32 vcc_lo, 0x7f800000, v8
	v_mov_b32_e32 v8, 0x80
	s_and_saveexec_b32 s3, vcc_lo
	s_cbranch_execz .LBB2_1693
; %bb.1686:                             ;   in Loop: Header=BB2_1629 Depth=3
	v_mov_b32_e32 v8, 0
	s_mov_b32 s15, exec_lo
	v_cmpx_ne_u32_e32 0, v12
	s_cbranch_execz .LBB2_1692
; %bb.1687:                             ;   in Loop: Header=BB2_1629 Depth=3
	v_bfe_u32 v8, v12, 23, 8
	s_delay_alu instid0(VALU_DEP_1) | instskip(SKIP_1) | instid1(VALU_DEP_2)
	v_sub_nc_u32_e32 v149, 0x78, v8
	v_cmp_gt_u32_e32 vcc_lo, 0x79, v8
	v_dual_cndmask_b32 v149, 0, v149 :: v_dual_and_b32 v148, 0x7fffff, v12
	s_delay_alu instid0(VALU_DEP_1) | instskip(SKIP_2) | instid1(VALU_DEP_4)
	v_or_b32_e32 v150, 0x800000, v148
	v_cmp_eq_u32_e32 vcc_lo, 0, v8
	v_add_nc_u32_e32 v8, 0xffffff89, v8
	v_cndmask_b32_e64 v149, v149, 0x77, vcc_lo
	s_delay_alu instid0(VALU_DEP_4) | instskip(NEXT) | instid1(VALU_DEP_3)
	v_cndmask_b32_e32 v148, v150, v148, vcc_lo
	v_cndmask_b32_e64 v8, v8, 0xffffff8a, vcc_lo
	s_delay_alu instid0(VALU_DEP_3) | instskip(NEXT) | instid1(VALU_DEP_3)
	v_lshl_add_u32 v150, 0x100000, v149, -1
	v_lshrrev_b32_e32 v151, v149, v148
	v_lshlrev_b32_e64 v161, v149, 0x80000
	s_delay_alu instid0(VALU_DEP_4) | instskip(NEXT) | instid1(VALU_DEP_4)
	v_add_nc_u32_e32 v149, v149, v8
	v_and_b32_e32 v148, v150, v148
	s_delay_alu instid0(VALU_DEP_4) | instskip(NEXT) | instid1(VALU_DEP_2)
	v_bfe_u32 v160, v151, 20, 1
	v_cmp_eq_u32_e64 s14, v148, v161
	s_delay_alu instid0(VALU_DEP_2) | instskip(NEXT) | instid1(VALU_DEP_1)
	v_add_nc_u32_e32 v150, -1, v160
	v_cndmask_b32_e64 v148, 0, v150, s14
	v_lshrrev_b32_e32 v150, 23, v151
	s_mov_b32 s14, exec_lo
	s_delay_alu instid0(VALU_DEP_2) | instskip(NEXT) | instid1(VALU_DEP_2)
	v_add_nc_u32_e32 v148, v148, v151
	v_xor_b32_e32 v150, 1, v150
	s_delay_alu instid0(VALU_DEP_2) | instskip(NEXT) | instid1(VALU_DEP_1)
	v_and_b32_e32 v8, 0xfffff, v148
	v_add_nc_u32_e32 v148, v8, v151
                                        ; implicit-def: $vgpr8
	s_delay_alu instid0(VALU_DEP_3)
	v_cmpx_ne_u32_e64 v149, v150
	s_xor_b32 s14, exec_lo, s14
; %bb.1688:                             ;   in Loop: Header=BB2_1629 Depth=3
	s_delay_alu instid0(VALU_DEP_2) | instskip(SKIP_2) | instid1(VALU_DEP_2)
	v_cmp_lt_u32_e32 vcc_lo, 0xffffff, v148
	v_sub_nc_u32_e32 v8, v149, v150
	v_cndmask_b32_e64 v149, 0, 1, vcc_lo
	v_add_co_ci_u32_e32 v8, vcc_lo, 0, v8, vcc_lo
	s_delay_alu instid0(VALU_DEP_2)
	v_lshrrev_b32_e32 v148, v149, v148
; %bb.1689:                             ;   in Loop: Header=BB2_1629 Depth=3
	s_and_not1_saveexec_b32 s14, s14
; %bb.1690:                             ;   in Loop: Header=BB2_1629 Depth=3
	s_delay_alu instid0(VALU_DEP_1)
	v_bfe_u32 v8, v148, 23, 1
; %bb.1691:                             ;   in Loop: Header=BB2_1629 Depth=3
	s_or_b32 exec_lo, exec_lo, s14
	v_lshrrev_b32_e32 v148, 20, v148
	s_delay_alu instid0(VALU_DEP_2) | instskip(SKIP_2) | instid1(VALU_DEP_4)
	v_cmp_gt_i32_e32 vcc_lo, 16, v8
	v_lshrrev_b32_e32 v12, 24, v12
	v_min_i32_e32 v149, 15, v8
	v_cndmask_b32_e32 v148, 7, v148, vcc_lo
	s_delay_alu instid0(VALU_DEP_3) | instskip(NEXT) | instid1(VALU_DEP_3)
	v_and_b32_e32 v12, 0x80, v12
	v_lshlrev_b32_e32 v149, 3, v149
	s_delay_alu instid0(VALU_DEP_3) | instskip(SKIP_1) | instid1(VALU_DEP_2)
	v_and_b32_e32 v150, 7, v148
	v_or_b32_e32 v8, v8, v148
	v_or3_b32 v12, v149, v12, v150
	s_delay_alu instid0(VALU_DEP_2) | instskip(NEXT) | instid1(VALU_DEP_2)
	v_cmp_ne_u32_e32 vcc_lo, 0, v8
	v_cndmask_b32_e32 v8, 0, v12, vcc_lo
.LBB2_1692:                             ;   in Loop: Header=BB2_1629 Depth=3
	s_or_b32 exec_lo, exec_lo, s15
.LBB2_1693:                             ;   in Loop: Header=BB2_1629 Depth=3
	s_delay_alu instid0(SALU_CYCLE_1) | instskip(SKIP_3) | instid1(VALU_DEP_1)
	s_or_b32 exec_lo, exec_lo, s3
	v_and_b32_e32 v148, 0xff, v13
	s_mov_b32 s3, 0
	s_mov_b32 s15, exec_lo
                                        ; implicit-def: $sgpr14
	v_cmpx_lt_i16_e64 0x7f, v148
	s_xor_b32 s15, exec_lo, s15
	s_cbranch_execnz .LBB2_1920
; %bb.1694:                             ;   in Loop: Header=BB2_1629 Depth=3
	s_or_saveexec_b32 s15, s15
	v_mov_b32_e32 v12, s14
	s_xor_b32 exec_lo, exec_lo, s15
	s_cbranch_execnz .LBB2_1923
.LBB2_1695:                             ;   in Loop: Header=BB2_1629 Depth=3
	s_or_b32 exec_lo, exec_lo, s15
	s_and_saveexec_b32 s14, s3
	s_cbranch_execz .LBB2_1697
.LBB2_1696:                             ;   in Loop: Header=BB2_1629 Depth=3
	v_and_b32_e32 v12, 7, v13
	v_bfe_u32 v150, v13, 3, 4
	v_lshlrev_b32_e32 v151, 24, v13
	s_delay_alu instid0(VALU_DEP_3) | instskip(NEXT) | instid1(VALU_DEP_3)
	v_clz_i32_u32_e32 v148, v12
	v_cmp_eq_u32_e32 vcc_lo, 0, v150
	s_delay_alu instid0(VALU_DEP_2) | instskip(NEXT) | instid1(VALU_DEP_1)
	v_min_u32_e32 v148, 32, v148
	v_subrev_nc_u32_e32 v149, 28, v148
	v_sub_nc_u32_e32 v148, 29, v148
	s_delay_alu instid0(VALU_DEP_1) | instskip(NEXT) | instid1(VALU_DEP_1)
	v_dual_cndmask_b32 v148, v150, v148 :: v_dual_lshlrev_b32 v149, v149, v13
	v_and_b32_e32 v149, 7, v149
	s_delay_alu instid0(VALU_DEP_2) | instskip(NEXT) | instid1(VALU_DEP_2)
	v_lshl_add_u32 v148, v148, 23, 0x3b800000
	v_dual_cndmask_b32 v12, v12, v149 :: v_dual_and_b32 v149, 0x80000000, v151
	s_delay_alu instid0(VALU_DEP_1) | instskip(NEXT) | instid1(VALU_DEP_1)
	v_lshlrev_b32_e32 v12, 20, v12
	v_or3_b32 v12, v149, v148, v12
.LBB2_1697:                             ;   in Loop: Header=BB2_1629 Depth=3
	s_or_b32 exec_lo, exec_lo, s14
	v_and_b32_e32 v149, 0xff, v9
	s_mov_b32 s3, 0
	s_mov_b32 s15, exec_lo
                                        ; implicit-def: $sgpr14
	s_delay_alu instid0(VALU_DEP_1)
	v_cmpx_lt_i16_e64 0x7f, v149
	s_xor_b32 s15, exec_lo, s15
	s_cbranch_execnz .LBB2_1924
; %bb.1698:                             ;   in Loop: Header=BB2_1629 Depth=3
	s_or_saveexec_b32 s15, s15
	v_mov_b32_e32 v148, s14
	s_xor_b32 exec_lo, exec_lo, s15
	s_cbranch_execnz .LBB2_1927
.LBB2_1699:                             ;   in Loop: Header=BB2_1629 Depth=3
	s_or_b32 exec_lo, exec_lo, s15
	s_and_saveexec_b32 s14, s3
	s_cbranch_execz .LBB2_1701
.LBB2_1700:                             ;   in Loop: Header=BB2_1629 Depth=3
	v_and_b32_e32 v148, 7, v9
	v_bfe_u32 v151, v9, 3, 4
	v_lshlrev_b32_e32 v160, 24, v9
	s_delay_alu instid0(VALU_DEP_3) | instskip(NEXT) | instid1(VALU_DEP_3)
	v_clz_i32_u32_e32 v149, v148
	v_cmp_eq_u32_e32 vcc_lo, 0, v151
	s_delay_alu instid0(VALU_DEP_2) | instskip(NEXT) | instid1(VALU_DEP_1)
	v_min_u32_e32 v149, 32, v149
	v_subrev_nc_u32_e32 v150, 28, v149
	v_sub_nc_u32_e32 v149, 29, v149
	s_delay_alu instid0(VALU_DEP_2) | instskip(NEXT) | instid1(VALU_DEP_1)
	v_lshlrev_b32_e32 v150, v150, v9
	v_dual_cndmask_b32 v149, v151, v149 :: v_dual_and_b32 v150, 7, v150
	s_delay_alu instid0(VALU_DEP_1) | instskip(NEXT) | instid1(VALU_DEP_2)
	v_lshl_add_u32 v149, v149, 23, 0x3b800000
	v_cndmask_b32_e32 v148, v148, v150, vcc_lo
	v_and_b32_e32 v150, 0x80000000, v160
	s_delay_alu instid0(VALU_DEP_2) | instskip(NEXT) | instid1(VALU_DEP_1)
	v_lshlrev_b32_e32 v148, 20, v148
	v_or3_b32 v148, v150, v149, v148
.LBB2_1701:                             ;   in Loop: Header=BB2_1629 Depth=3
	s_or_b32 exec_lo, exec_lo, s14
	s_delay_alu instid0(VALU_DEP_1) | instskip(NEXT) | instid1(VALU_DEP_1)
	v_add_f32_e32 v148, v12, v148
	v_and_b32_e32 v12, 0x7f800000, v148
	s_delay_alu instid0(VALU_DEP_1)
	v_cmp_ne_u32_e32 vcc_lo, 0x7f800000, v12
	v_mov_b32_e32 v12, 0x80
	s_and_saveexec_b32 s3, vcc_lo
	s_cbranch_execz .LBB2_1709
; %bb.1702:                             ;   in Loop: Header=BB2_1629 Depth=3
	v_mov_b32_e32 v12, 0
	s_mov_b32 s15, exec_lo
	v_cmpx_ne_u32_e32 0, v148
	s_cbranch_execz .LBB2_1708
; %bb.1703:                             ;   in Loop: Header=BB2_1629 Depth=3
	v_bfe_u32 v12, v148, 23, 8
	s_delay_alu instid0(VALU_DEP_1) | instskip(SKIP_1) | instid1(VALU_DEP_2)
	v_sub_nc_u32_e32 v150, 0x78, v12
	v_cmp_gt_u32_e32 vcc_lo, 0x79, v12
	v_dual_cndmask_b32 v150, 0, v150 :: v_dual_and_b32 v149, 0x7fffff, v148
	s_delay_alu instid0(VALU_DEP_1) | instskip(SKIP_2) | instid1(VALU_DEP_4)
	v_or_b32_e32 v151, 0x800000, v149
	v_cmp_eq_u32_e32 vcc_lo, 0, v12
	v_add_nc_u32_e32 v12, 0xffffff89, v12
	v_cndmask_b32_e64 v150, v150, 0x77, vcc_lo
	s_delay_alu instid0(VALU_DEP_4) | instskip(NEXT) | instid1(VALU_DEP_3)
	v_cndmask_b32_e32 v149, v151, v149, vcc_lo
	v_cndmask_b32_e64 v12, v12, 0xffffff8a, vcc_lo
	s_delay_alu instid0(VALU_DEP_3) | instskip(NEXT) | instid1(VALU_DEP_3)
	v_lshl_add_u32 v151, 0x100000, v150, -1
	v_lshrrev_b32_e32 v160, v150, v149
	v_lshlrev_b32_e64 v162, v150, 0x80000
	s_delay_alu instid0(VALU_DEP_4) | instskip(NEXT) | instid1(VALU_DEP_4)
	v_add_nc_u32_e32 v150, v150, v12
	v_and_b32_e32 v149, v151, v149
	s_delay_alu instid0(VALU_DEP_4) | instskip(NEXT) | instid1(VALU_DEP_2)
	v_bfe_u32 v161, v160, 20, 1
	v_cmp_eq_u32_e64 s14, v149, v162
	s_delay_alu instid0(VALU_DEP_2) | instskip(NEXT) | instid1(VALU_DEP_1)
	v_add_nc_u32_e32 v151, -1, v161
	v_cndmask_b32_e64 v149, 0, v151, s14
	v_lshrrev_b32_e32 v151, 23, v160
	s_mov_b32 s14, exec_lo
	s_delay_alu instid0(VALU_DEP_2) | instskip(NEXT) | instid1(VALU_DEP_2)
	v_add_nc_u32_e32 v149, v149, v160
	v_xor_b32_e32 v151, 1, v151
	s_delay_alu instid0(VALU_DEP_2) | instskip(NEXT) | instid1(VALU_DEP_1)
	v_and_b32_e32 v12, 0xfffff, v149
	v_add_nc_u32_e32 v149, v12, v160
                                        ; implicit-def: $vgpr12
	s_delay_alu instid0(VALU_DEP_3)
	v_cmpx_ne_u32_e64 v150, v151
	s_xor_b32 s14, exec_lo, s14
; %bb.1704:                             ;   in Loop: Header=BB2_1629 Depth=3
	s_delay_alu instid0(VALU_DEP_2) | instskip(SKIP_2) | instid1(VALU_DEP_2)
	v_cmp_lt_u32_e32 vcc_lo, 0xffffff, v149
	v_sub_nc_u32_e32 v12, v150, v151
	v_cndmask_b32_e64 v150, 0, 1, vcc_lo
	v_add_co_ci_u32_e32 v12, vcc_lo, 0, v12, vcc_lo
	s_delay_alu instid0(VALU_DEP_2)
	v_lshrrev_b32_e32 v149, v150, v149
; %bb.1705:                             ;   in Loop: Header=BB2_1629 Depth=3
	s_and_not1_saveexec_b32 s14, s14
; %bb.1706:                             ;   in Loop: Header=BB2_1629 Depth=3
	s_delay_alu instid0(VALU_DEP_1)
	v_bfe_u32 v12, v149, 23, 1
; %bb.1707:                             ;   in Loop: Header=BB2_1629 Depth=3
	s_or_b32 exec_lo, exec_lo, s14
	v_lshrrev_b32_e32 v149, 20, v149
	s_delay_alu instid0(VALU_DEP_2) | instskip(SKIP_2) | instid1(VALU_DEP_2)
	v_cmp_gt_i32_e32 vcc_lo, 16, v12
	v_lshrrev_b32_e32 v148, 24, v148
	v_min_i32_e32 v150, 15, v12
	v_dual_cndmask_b32 v149, 7, v149 :: v_dual_and_b32 v148, 0x80, v148
	s_delay_alu instid0(VALU_DEP_2) | instskip(NEXT) | instid1(VALU_DEP_2)
	v_lshlrev_b32_e32 v150, 3, v150
	v_or_b32_e32 v12, v12, v149
	s_delay_alu instid0(VALU_DEP_1) | instskip(SKIP_1) | instid1(VALU_DEP_1)
	v_cmp_ne_u32_e32 vcc_lo, 0, v12
	v_and_b32_e32 v151, 7, v149
	v_or3_b32 v148, v150, v148, v151
	s_delay_alu instid0(VALU_DEP_1)
	v_cndmask_b32_e32 v12, 0, v148, vcc_lo
.LBB2_1708:                             ;   in Loop: Header=BB2_1629 Depth=3
	s_or_b32 exec_lo, exec_lo, s15
.LBB2_1709:                             ;   in Loop: Header=BB2_1629 Depth=3
	s_delay_alu instid0(SALU_CYCLE_1) | instskip(SKIP_3) | instid1(VALU_DEP_1)
	s_or_b32 exec_lo, exec_lo, s3
	v_lshrrev_b16 v149, 8, v13
	s_mov_b32 s3, 0
	s_mov_b32 s15, exec_lo
                                        ; implicit-def: $sgpr14
	v_cmpx_lt_i16_e64 0x7f, v149
	s_xor_b32 s15, exec_lo, s15
	s_cbranch_execnz .LBB2_1928
; %bb.1710:                             ;   in Loop: Header=BB2_1629 Depth=3
	s_or_saveexec_b32 s15, s15
	v_mov_b32_e32 v148, s14
	s_xor_b32 exec_lo, exec_lo, s15
	s_cbranch_execnz .LBB2_1931
.LBB2_1711:                             ;   in Loop: Header=BB2_1629 Depth=3
	s_or_b32 exec_lo, exec_lo, s15
	s_and_saveexec_b32 s14, s3
	s_cbranch_execz .LBB2_1713
.LBB2_1712:                             ;   in Loop: Header=BB2_1629 Depth=3
	v_and_b32_e32 v148, 0xffff, v149
	s_delay_alu instid0(VALU_DEP_1) | instskip(NEXT) | instid1(VALU_DEP_1)
	v_and_b32_e32 v150, 7, v148
	v_clz_i32_u32_e32 v151, v150
	s_delay_alu instid0(VALU_DEP_1) | instskip(NEXT) | instid1(VALU_DEP_1)
	v_min_u32_e32 v151, 32, v151
	v_subrev_nc_u32_e32 v160, 28, v151
	v_sub_nc_u32_e32 v151, 29, v151
	s_delay_alu instid0(VALU_DEP_2) | instskip(SKIP_1) | instid1(VALU_DEP_2)
	v_lshlrev_b32_e32 v160, v160, v148
	v_bfe_u32 v148, v148, 3, 4
	v_and_b32_e32 v160, 7, v160
	s_delay_alu instid0(VALU_DEP_2) | instskip(SKIP_1) | instid1(VALU_DEP_1)
	v_cmp_eq_u32_e32 vcc_lo, 0, v148
	v_dual_cndmask_b32 v148, v148, v151 :: v_dual_lshlrev_b32 v149, 24, v149
	v_dual_cndmask_b32 v150, v150, v160 :: v_dual_and_b32 v149, 0x80000000, v149
	s_delay_alu instid0(VALU_DEP_2) | instskip(NEXT) | instid1(VALU_DEP_2)
	v_lshl_add_u32 v148, v148, 23, 0x3b800000
	v_lshlrev_b32_e32 v150, 20, v150
	s_delay_alu instid0(VALU_DEP_1)
	v_or3_b32 v148, v149, v148, v150
.LBB2_1713:                             ;   in Loop: Header=BB2_1629 Depth=3
	s_or_b32 exec_lo, exec_lo, s14
	v_lshrrev_b16 v149, 8, v9
	s_mov_b32 s3, 0
	s_mov_b32 s15, exec_lo
                                        ; implicit-def: $sgpr14
	s_delay_alu instid0(VALU_DEP_1)
	v_cmpx_lt_i16_e64 0x7f, v149
	s_xor_b32 s15, exec_lo, s15
	s_cbranch_execnz .LBB2_1932
; %bb.1714:                             ;   in Loop: Header=BB2_1629 Depth=3
	s_or_saveexec_b32 s15, s15
	v_mov_b32_e32 v150, s14
	s_xor_b32 exec_lo, exec_lo, s15
	s_cbranch_execnz .LBB2_1935
.LBB2_1715:                             ;   in Loop: Header=BB2_1629 Depth=3
	s_or_b32 exec_lo, exec_lo, s15
	s_and_saveexec_b32 s14, s3
	s_cbranch_execz .LBB2_1717
.LBB2_1716:                             ;   in Loop: Header=BB2_1629 Depth=3
	v_and_b32_e32 v150, 0xffff, v149
	v_lshlrev_b32_e32 v149, 24, v149
	s_delay_alu instid0(VALU_DEP_2) | instskip(NEXT) | instid1(VALU_DEP_2)
	v_and_b32_e32 v151, 7, v150
	v_and_b32_e32 v149, 0x80000000, v149
	s_delay_alu instid0(VALU_DEP_2) | instskip(NEXT) | instid1(VALU_DEP_1)
	v_clz_i32_u32_e32 v160, v151
	v_min_u32_e32 v160, 32, v160
	s_delay_alu instid0(VALU_DEP_1) | instskip(SKIP_1) | instid1(VALU_DEP_2)
	v_subrev_nc_u32_e32 v161, 28, v160
	v_sub_nc_u32_e32 v160, 29, v160
	v_lshlrev_b32_e32 v161, v161, v150
	v_bfe_u32 v150, v150, 3, 4
	s_delay_alu instid0(VALU_DEP_2) | instskip(NEXT) | instid1(VALU_DEP_2)
	v_and_b32_e32 v161, 7, v161
	v_cmp_eq_u32_e32 vcc_lo, 0, v150
	s_delay_alu instid0(VALU_DEP_2) | instskip(NEXT) | instid1(VALU_DEP_1)
	v_dual_cndmask_b32 v150, v150, v160 :: v_dual_cndmask_b32 v151, v151, v161
	v_lshl_add_u32 v150, v150, 23, 0x3b800000
	s_delay_alu instid0(VALU_DEP_2) | instskip(NEXT) | instid1(VALU_DEP_1)
	v_lshlrev_b32_e32 v151, 20, v151
	v_or3_b32 v150, v149, v150, v151
.LBB2_1717:                             ;   in Loop: Header=BB2_1629 Depth=3
	s_or_b32 exec_lo, exec_lo, s14
	s_delay_alu instid0(VALU_DEP_1) | instskip(NEXT) | instid1(VALU_DEP_1)
	v_add_f32_e32 v149, v148, v150
	v_and_b32_e32 v148, 0x7f800000, v149
	s_delay_alu instid0(VALU_DEP_1)
	v_cmp_ne_u32_e32 vcc_lo, 0x7f800000, v148
	v_mov_b32_e32 v148, 0x8000
	s_and_saveexec_b32 s3, vcc_lo
	s_cbranch_execz .LBB2_1725
; %bb.1718:                             ;   in Loop: Header=BB2_1629 Depth=3
	v_mov_b32_e32 v148, 0
	s_mov_b32 s15, exec_lo
	v_cmpx_ne_u32_e32 0, v149
	s_cbranch_execz .LBB2_1724
; %bb.1719:                             ;   in Loop: Header=BB2_1629 Depth=3
	v_bfe_u32 v148, v149, 23, 8
	s_delay_alu instid0(VALU_DEP_1) | instskip(SKIP_1) | instid1(VALU_DEP_2)
	v_sub_nc_u32_e32 v151, 0x78, v148
	v_cmp_gt_u32_e32 vcc_lo, 0x79, v148
	v_dual_cndmask_b32 v151, 0, v151 :: v_dual_and_b32 v150, 0x7fffff, v149
	s_delay_alu instid0(VALU_DEP_1) | instskip(SKIP_2) | instid1(VALU_DEP_4)
	v_or_b32_e32 v160, 0x800000, v150
	v_cmp_eq_u32_e32 vcc_lo, 0, v148
	v_add_nc_u32_e32 v148, 0xffffff89, v148
	v_cndmask_b32_e64 v151, v151, 0x77, vcc_lo
	s_delay_alu instid0(VALU_DEP_2) | instskip(SKIP_1) | instid1(VALU_DEP_3)
	v_cndmask_b32_e64 v148, v148, 0xffffff8a, vcc_lo
	v_cndmask_b32_e32 v150, v160, v150, vcc_lo
	v_lshl_add_u32 v160, 0x100000, v151, -1
	v_lshlrev_b32_e64 v163, v151, 0x80000
	s_delay_alu instid0(VALU_DEP_3) | instskip(SKIP_1) | instid1(VALU_DEP_4)
	v_lshrrev_b32_e32 v161, v151, v150
	v_add_nc_u32_e32 v151, v151, v148
	v_and_b32_e32 v150, v160, v150
	s_delay_alu instid0(VALU_DEP_3) | instskip(NEXT) | instid1(VALU_DEP_2)
	v_bfe_u32 v162, v161, 20, 1
	v_cmp_eq_u32_e64 s14, v150, v163
	s_delay_alu instid0(VALU_DEP_2) | instskip(NEXT) | instid1(VALU_DEP_1)
	v_add_nc_u32_e32 v160, -1, v162
	v_cndmask_b32_e64 v150, 0, v160, s14
	v_lshrrev_b32_e32 v160, 23, v161
	s_mov_b32 s14, exec_lo
	s_delay_alu instid0(VALU_DEP_2) | instskip(NEXT) | instid1(VALU_DEP_2)
	v_add_nc_u32_e32 v150, v150, v161
	v_xor_b32_e32 v160, 1, v160
	s_delay_alu instid0(VALU_DEP_2) | instskip(NEXT) | instid1(VALU_DEP_1)
	v_and_b32_e32 v148, 0xfffff, v150
	v_add_nc_u32_e32 v150, v148, v161
                                        ; implicit-def: $vgpr148
	s_delay_alu instid0(VALU_DEP_3)
	v_cmpx_ne_u32_e64 v151, v160
	s_xor_b32 s14, exec_lo, s14
; %bb.1720:                             ;   in Loop: Header=BB2_1629 Depth=3
	s_delay_alu instid0(VALU_DEP_2) | instskip(SKIP_2) | instid1(VALU_DEP_2)
	v_cmp_lt_u32_e32 vcc_lo, 0xffffff, v150
	v_sub_nc_u32_e32 v148, v151, v160
	v_cndmask_b32_e64 v151, 0, 1, vcc_lo
	v_add_co_ci_u32_e32 v148, vcc_lo, 0, v148, vcc_lo
	s_delay_alu instid0(VALU_DEP_2)
	v_lshrrev_b32_e32 v150, v151, v150
; %bb.1721:                             ;   in Loop: Header=BB2_1629 Depth=3
	s_and_not1_saveexec_b32 s14, s14
; %bb.1722:                             ;   in Loop: Header=BB2_1629 Depth=3
	s_delay_alu instid0(VALU_DEP_1)
	v_bfe_u32 v148, v150, 23, 1
; %bb.1723:                             ;   in Loop: Header=BB2_1629 Depth=3
	s_or_b32 exec_lo, exec_lo, s14
	v_lshrrev_b32_e32 v150, 20, v150
	s_delay_alu instid0(VALU_DEP_2) | instskip(SKIP_2) | instid1(VALU_DEP_2)
	v_cmp_gt_i32_e32 vcc_lo, 16, v148
	v_min_i32_e32 v151, 15, v148
	v_lshrrev_b32_e32 v149, 24, v149
	v_dual_cndmask_b32 v150, 7, v150 :: v_dual_lshlrev_b32 v151, 3, v151
	s_delay_alu instid0(VALU_DEP_2) | instskip(NEXT) | instid1(VALU_DEP_2)
	v_and_b32_e32 v149, 0x80, v149
	v_or_b32_e32 v148, v148, v150
	v_and_b32_e32 v160, 7, v150
	s_delay_alu instid0(VALU_DEP_2) | instskip(SKIP_1) | instid1(VALU_DEP_1)
	v_cmp_ne_u32_e32 vcc_lo, 0, v148
	v_and_b32_e32 v151, 0xf8, v151
	v_or3_b32 v149, v149, v151, v160
	s_delay_alu instid0(VALU_DEP_1) | instskip(NEXT) | instid1(VALU_DEP_1)
	v_lshlrev_b32_e32 v149, 8, v149
	v_cndmask_b32_e32 v148, 0, v149, vcc_lo
.LBB2_1724:                             ;   in Loop: Header=BB2_1629 Depth=3
	s_or_b32 exec_lo, exec_lo, s15
.LBB2_1725:                             ;   in Loop: Header=BB2_1629 Depth=3
	s_delay_alu instid0(SALU_CYCLE_1) | instskip(SKIP_3) | instid1(VALU_DEP_1)
	s_or_b32 exec_lo, exec_lo, s3
	v_lshrrev_b32_e32 v150, 16, v13
	s_mov_b32 s3, 0
	s_mov_b32 s15, exec_lo
                                        ; implicit-def: $sgpr14
	v_and_b32_e32 v151, 0xff, v150
	s_delay_alu instid0(VALU_DEP_1)
	v_cmpx_lt_i16_e64 0x7f, v151
	s_xor_b32 s15, exec_lo, s15
	s_cbranch_execnz .LBB2_1936
; %bb.1726:                             ;   in Loop: Header=BB2_1629 Depth=3
	s_or_saveexec_b32 s15, s15
	v_mov_b32_e32 v149, s14
	s_xor_b32 exec_lo, exec_lo, s15
	s_cbranch_execnz .LBB2_1939
.LBB2_1727:                             ;   in Loop: Header=BB2_1629 Depth=3
	s_or_b32 exec_lo, exec_lo, s15
	s_and_saveexec_b32 s14, s3
	s_cbranch_execz .LBB2_1729
.LBB2_1728:                             ;   in Loop: Header=BB2_1629 Depth=3
	v_bfe_u32 v149, v13, 16, 3
	v_lshlrev_b32_e32 v161, 8, v13
	s_delay_alu instid0(VALU_DEP_2) | instskip(NEXT) | instid1(VALU_DEP_1)
	v_clz_i32_u32_e32 v151, v149
	v_min_u32_e32 v151, 32, v151
	s_delay_alu instid0(VALU_DEP_1) | instskip(SKIP_1) | instid1(VALU_DEP_2)
	v_subrev_nc_u32_e32 v160, 28, v151
	v_sub_nc_u32_e32 v151, 29, v151
	v_lshlrev_b32_e32 v150, v160, v150
	v_bfe_u32 v160, v13, 19, 4
	s_delay_alu instid0(VALU_DEP_1) | instskip(NEXT) | instid1(VALU_DEP_3)
	v_cmp_eq_u32_e32 vcc_lo, 0, v160
	v_dual_cndmask_b32 v151, v160, v151 :: v_dual_and_b32 v150, 7, v150
	s_delay_alu instid0(VALU_DEP_1) | instskip(NEXT) | instid1(VALU_DEP_2)
	v_dual_cndmask_b32 v149, v149, v150 :: v_dual_and_b32 v150, 0x80000000, v161
	v_lshl_add_u32 v151, v151, 23, 0x3b800000
	s_delay_alu instid0(VALU_DEP_2) | instskip(NEXT) | instid1(VALU_DEP_1)
	v_lshlrev_b32_e32 v149, 20, v149
	v_or3_b32 v149, v150, v151, v149
.LBB2_1729:                             ;   in Loop: Header=BB2_1629 Depth=3
	s_or_b32 exec_lo, exec_lo, s14
	v_lshrrev_b32_e32 v150, 16, v9
	s_mov_b32 s3, 0
	s_mov_b32 s15, exec_lo
                                        ; implicit-def: $sgpr14
	s_delay_alu instid0(VALU_DEP_1) | instskip(NEXT) | instid1(VALU_DEP_1)
	v_and_b32_e32 v160, 0xff, v150
	v_cmpx_lt_i16_e64 0x7f, v160
	s_xor_b32 s15, exec_lo, s15
	s_cbranch_execnz .LBB2_1940
; %bb.1730:                             ;   in Loop: Header=BB2_1629 Depth=3
	s_or_saveexec_b32 s15, s15
	v_mov_b32_e32 v151, s14
	s_xor_b32 exec_lo, exec_lo, s15
	s_cbranch_execnz .LBB2_1943
.LBB2_1731:                             ;   in Loop: Header=BB2_1629 Depth=3
	s_or_b32 exec_lo, exec_lo, s15
	s_and_saveexec_b32 s14, s3
	s_cbranch_execz .LBB2_1733
.LBB2_1732:                             ;   in Loop: Header=BB2_1629 Depth=3
	v_bfe_u32 v151, v9, 16, 3
	v_lshlrev_b32_e32 v162, 8, v9
	s_delay_alu instid0(VALU_DEP_2) | instskip(NEXT) | instid1(VALU_DEP_1)
	v_clz_i32_u32_e32 v160, v151
	v_min_u32_e32 v160, 32, v160
	s_delay_alu instid0(VALU_DEP_1) | instskip(SKIP_1) | instid1(VALU_DEP_2)
	v_subrev_nc_u32_e32 v161, 28, v160
	v_sub_nc_u32_e32 v160, 29, v160
	v_lshlrev_b32_e32 v150, v161, v150
	v_bfe_u32 v161, v9, 19, 4
	s_delay_alu instid0(VALU_DEP_2) | instskip(NEXT) | instid1(VALU_DEP_2)
	v_and_b32_e32 v150, 7, v150
	v_cmp_eq_u32_e32 vcc_lo, 0, v161
	v_cndmask_b32_e32 v160, v161, v160, vcc_lo
	s_delay_alu instid0(VALU_DEP_3) | instskip(SKIP_1) | instid1(VALU_DEP_3)
	v_cndmask_b32_e32 v150, v151, v150, vcc_lo
	v_and_b32_e32 v151, 0x80000000, v162
	v_lshl_add_u32 v160, v160, 23, 0x3b800000
	s_delay_alu instid0(VALU_DEP_3) | instskip(NEXT) | instid1(VALU_DEP_1)
	v_lshlrev_b32_e32 v150, 20, v150
	v_or3_b32 v151, v151, v160, v150
.LBB2_1733:                             ;   in Loop: Header=BB2_1629 Depth=3
	s_or_b32 exec_lo, exec_lo, s14
	s_delay_alu instid0(VALU_DEP_1) | instskip(NEXT) | instid1(VALU_DEP_1)
	v_add_f32_e32 v150, v149, v151
	v_and_b32_e32 v149, 0x7f800000, v150
	s_delay_alu instid0(VALU_DEP_1)
	v_cmp_ne_u32_e32 vcc_lo, 0x7f800000, v149
	v_mov_b32_e32 v149, 0x80
	s_and_saveexec_b32 s3, vcc_lo
	s_cbranch_execz .LBB2_1741
; %bb.1734:                             ;   in Loop: Header=BB2_1629 Depth=3
	v_mov_b32_e32 v149, 0
	s_mov_b32 s15, exec_lo
	v_cmpx_ne_u32_e32 0, v150
	s_cbranch_execz .LBB2_1740
; %bb.1735:                             ;   in Loop: Header=BB2_1629 Depth=3
	v_bfe_u32 v149, v150, 23, 8
	s_delay_alu instid0(VALU_DEP_1) | instskip(SKIP_1) | instid1(VALU_DEP_2)
	v_sub_nc_u32_e32 v160, 0x78, v149
	v_cmp_gt_u32_e32 vcc_lo, 0x79, v149
	v_dual_cndmask_b32 v160, 0, v160 :: v_dual_and_b32 v151, 0x7fffff, v150
	s_delay_alu instid0(VALU_DEP_1) | instskip(SKIP_2) | instid1(VALU_DEP_4)
	v_or_b32_e32 v161, 0x800000, v151
	v_cmp_eq_u32_e32 vcc_lo, 0, v149
	v_add_nc_u32_e32 v149, 0xffffff89, v149
	v_cndmask_b32_e64 v160, v160, 0x77, vcc_lo
	s_delay_alu instid0(VALU_DEP_2) | instskip(SKIP_1) | instid1(VALU_DEP_3)
	v_cndmask_b32_e64 v149, v149, 0xffffff8a, vcc_lo
	v_cndmask_b32_e32 v151, v161, v151, vcc_lo
	v_lshl_add_u32 v161, 0x100000, v160, -1
	v_lshlrev_b32_e64 v164, v160, 0x80000
	s_delay_alu instid0(VALU_DEP_3) | instskip(SKIP_1) | instid1(VALU_DEP_4)
	v_lshrrev_b32_e32 v162, v160, v151
	v_add_nc_u32_e32 v160, v160, v149
	v_and_b32_e32 v151, v161, v151
	s_delay_alu instid0(VALU_DEP_3) | instskip(NEXT) | instid1(VALU_DEP_2)
	v_bfe_u32 v163, v162, 20, 1
	v_cmp_eq_u32_e64 s14, v151, v164
	s_delay_alu instid0(VALU_DEP_2) | instskip(NEXT) | instid1(VALU_DEP_1)
	v_add_nc_u32_e32 v161, -1, v163
	v_cndmask_b32_e64 v151, 0, v161, s14
	v_lshrrev_b32_e32 v161, 23, v162
	s_mov_b32 s14, exec_lo
	s_delay_alu instid0(VALU_DEP_2) | instskip(NEXT) | instid1(VALU_DEP_2)
	v_add_nc_u32_e32 v151, v151, v162
	v_xor_b32_e32 v161, 1, v161
	s_delay_alu instid0(VALU_DEP_2) | instskip(NEXT) | instid1(VALU_DEP_1)
	v_and_b32_e32 v149, 0xfffff, v151
	v_add_nc_u32_e32 v151, v149, v162
                                        ; implicit-def: $vgpr149
	s_delay_alu instid0(VALU_DEP_3)
	v_cmpx_ne_u32_e64 v160, v161
	s_xor_b32 s14, exec_lo, s14
; %bb.1736:                             ;   in Loop: Header=BB2_1629 Depth=3
	s_delay_alu instid0(VALU_DEP_2) | instskip(SKIP_2) | instid1(VALU_DEP_2)
	v_cmp_lt_u32_e32 vcc_lo, 0xffffff, v151
	v_sub_nc_u32_e32 v149, v160, v161
	v_cndmask_b32_e64 v160, 0, 1, vcc_lo
	v_add_co_ci_u32_e32 v149, vcc_lo, 0, v149, vcc_lo
	s_delay_alu instid0(VALU_DEP_2)
	v_lshrrev_b32_e32 v151, v160, v151
; %bb.1737:                             ;   in Loop: Header=BB2_1629 Depth=3
	s_and_not1_saveexec_b32 s14, s14
; %bb.1738:                             ;   in Loop: Header=BB2_1629 Depth=3
	s_delay_alu instid0(VALU_DEP_1)
	v_bfe_u32 v149, v151, 23, 1
; %bb.1739:                             ;   in Loop: Header=BB2_1629 Depth=3
	s_or_b32 exec_lo, exec_lo, s14
	v_lshrrev_b32_e32 v151, 20, v151
	s_delay_alu instid0(VALU_DEP_2) | instskip(SKIP_2) | instid1(VALU_DEP_2)
	v_cmp_gt_i32_e32 vcc_lo, 16, v149
	v_min_i32_e32 v160, 15, v149
	v_lshrrev_b32_e32 v150, 24, v150
	v_dual_cndmask_b32 v151, 7, v151 :: v_dual_lshlrev_b32 v160, 3, v160
	s_delay_alu instid0(VALU_DEP_2) | instskip(NEXT) | instid1(VALU_DEP_2)
	v_and_b32_e32 v150, 0x80, v150
	v_or_b32_e32 v149, v149, v151
	v_and_b32_e32 v161, 7, v151
	s_delay_alu instid0(VALU_DEP_2) | instskip(SKIP_1) | instid1(VALU_DEP_1)
	v_cmp_ne_u32_e32 vcc_lo, 0, v149
	v_and_b32_e32 v160, 0xf8, v160
	v_or3_b32 v150, v160, v150, v161
	s_delay_alu instid0(VALU_DEP_1)
	v_cndmask_b32_e32 v149, 0, v150, vcc_lo
.LBB2_1740:                             ;   in Loop: Header=BB2_1629 Depth=3
	s_or_b32 exec_lo, exec_lo, s15
.LBB2_1741:                             ;   in Loop: Header=BB2_1629 Depth=3
	s_delay_alu instid0(SALU_CYCLE_1) | instskip(SKIP_3) | instid1(VALU_DEP_1)
	s_or_b32 exec_lo, exec_lo, s3
	v_lshrrev_b32_e32 v151, 24, v13
	s_mov_b32 s3, 0
	s_mov_b32 s15, exec_lo
                                        ; implicit-def: $sgpr14
	v_cmpx_lt_i16_e64 0x7f, v151
	s_xor_b32 s15, exec_lo, s15
	s_cbranch_execnz .LBB2_1944
; %bb.1742:                             ;   in Loop: Header=BB2_1629 Depth=3
	s_or_saveexec_b32 s15, s15
	v_mov_b32_e32 v150, s14
	s_xor_b32 exec_lo, exec_lo, s15
	s_cbranch_execnz .LBB2_1947
.LBB2_1743:                             ;   in Loop: Header=BB2_1629 Depth=3
	s_or_b32 exec_lo, exec_lo, s15
	s_and_saveexec_b32 s14, s3
	s_cbranch_execz .LBB2_1745
.LBB2_1744:                             ;   in Loop: Header=BB2_1629 Depth=3
	v_bfe_u32 v150, v13, 24, 3
	s_delay_alu instid0(VALU_DEP_1) | instskip(NEXT) | instid1(VALU_DEP_1)
	v_clz_i32_u32_e32 v160, v150
	v_min_u32_e32 v160, 32, v160
	s_delay_alu instid0(VALU_DEP_1) | instskip(SKIP_1) | instid1(VALU_DEP_2)
	v_subrev_nc_u32_e32 v161, 28, v160
	v_sub_nc_u32_e32 v160, 29, v160
	v_lshlrev_b32_e32 v151, v161, v151
	v_bfe_u32 v161, v13, 27, 4
	v_and_b32_e32 v13, 0x80000000, v13
	s_delay_alu instid0(VALU_DEP_2) | instskip(NEXT) | instid1(VALU_DEP_4)
	v_cmp_eq_u32_e32 vcc_lo, 0, v161
	v_dual_cndmask_b32 v160, v161, v160 :: v_dual_and_b32 v151, 7, v151
	s_delay_alu instid0(VALU_DEP_1) | instskip(NEXT) | instid1(VALU_DEP_2)
	v_cndmask_b32_e32 v150, v150, v151, vcc_lo
	v_lshl_add_u32 v151, v160, 23, 0x3b800000
	s_delay_alu instid0(VALU_DEP_2) | instskip(NEXT) | instid1(VALU_DEP_1)
	v_lshlrev_b32_e32 v150, 20, v150
	v_or3_b32 v150, v13, v151, v150
.LBB2_1745:                             ;   in Loop: Header=BB2_1629 Depth=3
	s_or_b32 exec_lo, exec_lo, s14
	v_lshrrev_b32_e32 v13, 24, v9
	s_mov_b32 s3, 0
	s_mov_b32 s15, exec_lo
                                        ; implicit-def: $sgpr14
	s_delay_alu instid0(VALU_DEP_1)
	v_cmpx_lt_i16_e32 0x7f, v13
	s_xor_b32 s15, exec_lo, s15
	s_cbranch_execnz .LBB2_1948
; %bb.1746:                             ;   in Loop: Header=BB2_1629 Depth=3
	s_or_saveexec_b32 s15, s15
	v_mov_b32_e32 v151, s14
	s_xor_b32 exec_lo, exec_lo, s15
	s_cbranch_execnz .LBB2_1951
.LBB2_1747:                             ;   in Loop: Header=BB2_1629 Depth=3
	s_or_b32 exec_lo, exec_lo, s15
	s_and_saveexec_b32 s14, s3
	s_cbranch_execz .LBB2_1749
.LBB2_1748:                             ;   in Loop: Header=BB2_1629 Depth=3
	v_bfe_u32 v151, v9, 24, 3
	s_delay_alu instid0(VALU_DEP_1) | instskip(NEXT) | instid1(VALU_DEP_1)
	v_clz_i32_u32_e32 v160, v151
	v_min_u32_e32 v160, 32, v160
	s_delay_alu instid0(VALU_DEP_1) | instskip(SKIP_1) | instid1(VALU_DEP_2)
	v_subrev_nc_u32_e32 v161, 28, v160
	v_sub_nc_u32_e32 v160, 29, v160
	v_lshlrev_b32_e32 v13, v161, v13
	v_bfe_u32 v161, v9, 27, 4
	v_and_b32_e32 v9, 0x80000000, v9
	s_delay_alu instid0(VALU_DEP_2) | instskip(NEXT) | instid1(VALU_DEP_4)
	v_cmp_eq_u32_e32 vcc_lo, 0, v161
	v_dual_cndmask_b32 v160, v161, v160 :: v_dual_and_b32 v13, 7, v13
	s_delay_alu instid0(VALU_DEP_1) | instskip(NEXT) | instid1(VALU_DEP_2)
	v_cndmask_b32_e32 v13, v151, v13, vcc_lo
	v_lshl_add_u32 v151, v160, 23, 0x3b800000
	s_delay_alu instid0(VALU_DEP_2) | instskip(NEXT) | instid1(VALU_DEP_1)
	v_lshlrev_b32_e32 v13, 20, v13
	v_or3_b32 v151, v9, v151, v13
.LBB2_1749:                             ;   in Loop: Header=BB2_1629 Depth=3
	s_or_b32 exec_lo, exec_lo, s14
	s_delay_alu instid0(VALU_DEP_1) | instskip(NEXT) | instid1(VALU_DEP_1)
	v_add_f32_e32 v13, v150, v151
	v_and_b32_e32 v9, 0x7f800000, v13
	s_delay_alu instid0(VALU_DEP_1)
	v_cmp_ne_u32_e32 vcc_lo, 0x7f800000, v9
	v_mov_b32_e32 v9, 0x8000
	s_and_saveexec_b32 s3, vcc_lo
	s_cbranch_execz .LBB2_1757
; %bb.1750:                             ;   in Loop: Header=BB2_1629 Depth=3
	v_mov_b32_e32 v9, 0
	s_mov_b32 s15, exec_lo
	v_cmpx_ne_u32_e32 0, v13
	s_cbranch_execz .LBB2_1756
; %bb.1751:                             ;   in Loop: Header=BB2_1629 Depth=3
	v_bfe_u32 v9, v13, 23, 8
	s_delay_alu instid0(VALU_DEP_1) | instskip(SKIP_1) | instid1(VALU_DEP_2)
	v_sub_nc_u32_e32 v151, 0x78, v9
	v_cmp_gt_u32_e32 vcc_lo, 0x79, v9
	v_dual_cndmask_b32 v151, 0, v151 :: v_dual_and_b32 v150, 0x7fffff, v13
	s_delay_alu instid0(VALU_DEP_1) | instskip(SKIP_2) | instid1(VALU_DEP_4)
	v_or_b32_e32 v160, 0x800000, v150
	v_cmp_eq_u32_e32 vcc_lo, 0, v9
	v_add_nc_u32_e32 v9, 0xffffff89, v9
	v_cndmask_b32_e64 v151, v151, 0x77, vcc_lo
	s_delay_alu instid0(VALU_DEP_4) | instskip(NEXT) | instid1(VALU_DEP_3)
	v_cndmask_b32_e32 v150, v160, v150, vcc_lo
	v_cndmask_b32_e64 v9, v9, 0xffffff8a, vcc_lo
	s_delay_alu instid0(VALU_DEP_3) | instskip(NEXT) | instid1(VALU_DEP_3)
	v_lshl_add_u32 v160, 0x100000, v151, -1
	v_lshrrev_b32_e32 v161, v151, v150
	v_lshlrev_b32_e64 v163, v151, 0x80000
	s_delay_alu instid0(VALU_DEP_4) | instskip(NEXT) | instid1(VALU_DEP_4)
	v_add_nc_u32_e32 v151, v151, v9
	v_and_b32_e32 v150, v160, v150
	s_delay_alu instid0(VALU_DEP_4) | instskip(NEXT) | instid1(VALU_DEP_2)
	v_bfe_u32 v162, v161, 20, 1
	v_cmp_eq_u32_e64 s14, v150, v163
	s_delay_alu instid0(VALU_DEP_2) | instskip(NEXT) | instid1(VALU_DEP_1)
	v_add_nc_u32_e32 v160, -1, v162
	v_cndmask_b32_e64 v150, 0, v160, s14
	v_lshrrev_b32_e32 v160, 23, v161
	s_mov_b32 s14, exec_lo
	s_delay_alu instid0(VALU_DEP_2) | instskip(NEXT) | instid1(VALU_DEP_2)
	v_add_nc_u32_e32 v150, v150, v161
	v_xor_b32_e32 v160, 1, v160
	s_delay_alu instid0(VALU_DEP_2) | instskip(NEXT) | instid1(VALU_DEP_1)
	v_and_b32_e32 v9, 0xfffff, v150
	v_add_nc_u32_e32 v150, v9, v161
                                        ; implicit-def: $vgpr9
	s_delay_alu instid0(VALU_DEP_3)
	v_cmpx_ne_u32_e64 v151, v160
	s_xor_b32 s14, exec_lo, s14
; %bb.1752:                             ;   in Loop: Header=BB2_1629 Depth=3
	s_delay_alu instid0(VALU_DEP_2) | instskip(SKIP_2) | instid1(VALU_DEP_2)
	v_cmp_lt_u32_e32 vcc_lo, 0xffffff, v150
	v_sub_nc_u32_e32 v9, v151, v160
	v_cndmask_b32_e64 v151, 0, 1, vcc_lo
	v_add_co_ci_u32_e32 v9, vcc_lo, 0, v9, vcc_lo
	s_delay_alu instid0(VALU_DEP_2)
	v_lshrrev_b32_e32 v150, v151, v150
; %bb.1753:                             ;   in Loop: Header=BB2_1629 Depth=3
	s_and_not1_saveexec_b32 s14, s14
; %bb.1754:                             ;   in Loop: Header=BB2_1629 Depth=3
	s_delay_alu instid0(VALU_DEP_1)
	v_bfe_u32 v9, v150, 23, 1
; %bb.1755:                             ;   in Loop: Header=BB2_1629 Depth=3
	s_or_b32 exec_lo, exec_lo, s14
	v_lshrrev_b32_e32 v150, 20, v150
	s_delay_alu instid0(VALU_DEP_2) | instskip(SKIP_2) | instid1(VALU_DEP_2)
	v_cmp_gt_i32_e32 vcc_lo, 16, v9
	v_min_i32_e32 v151, 15, v9
	v_lshrrev_b32_e32 v13, 24, v13
	v_dual_cndmask_b32 v150, 7, v150 :: v_dual_lshlrev_b32 v151, 3, v151
	s_delay_alu instid0(VALU_DEP_2) | instskip(NEXT) | instid1(VALU_DEP_2)
	v_and_b32_e32 v13, 0x80, v13
	v_or_b32_e32 v9, v9, v150
	s_delay_alu instid0(VALU_DEP_3) | instskip(NEXT) | instid1(VALU_DEP_2)
	v_and_b32_e32 v151, 0xf8, v151
	v_cmp_ne_u32_e32 vcc_lo, 0, v9
	v_and_b32_e32 v160, 7, v150
	s_delay_alu instid0(VALU_DEP_1) | instskip(NEXT) | instid1(VALU_DEP_1)
	v_or3_b32 v13, v13, v151, v160
	v_lshlrev_b32_e32 v13, 8, v13
	s_delay_alu instid0(VALU_DEP_1)
	v_cndmask_b32_e32 v9, 0, v13, vcc_lo
.LBB2_1756:                             ;   in Loop: Header=BB2_1629 Depth=3
	s_or_b32 exec_lo, exec_lo, s15
.LBB2_1757:                             ;   in Loop: Header=BB2_1629 Depth=3
	s_delay_alu instid0(SALU_CYCLE_1) | instskip(SKIP_3) | instid1(VALU_DEP_1)
	s_or_b32 exec_lo, exec_lo, s3
	v_and_b32_e32 v150, 0xff, v14
	s_mov_b32 s3, 0
	s_mov_b32 s15, exec_lo
                                        ; implicit-def: $sgpr14
	v_cmpx_lt_i16_e64 0x7f, v150
	s_xor_b32 s15, exec_lo, s15
	s_cbranch_execnz .LBB2_1952
; %bb.1758:                             ;   in Loop: Header=BB2_1629 Depth=3
	s_or_saveexec_b32 s15, s15
	v_mov_b32_e32 v13, s14
	s_xor_b32 exec_lo, exec_lo, s15
	s_cbranch_execnz .LBB2_1955
.LBB2_1759:                             ;   in Loop: Header=BB2_1629 Depth=3
	s_or_b32 exec_lo, exec_lo, s15
	s_and_saveexec_b32 s14, s3
	s_cbranch_execz .LBB2_1761
.LBB2_1760:                             ;   in Loop: Header=BB2_1629 Depth=3
	v_and_b32_e32 v13, 7, v14
	v_bfe_u32 v160, v14, 3, 4
	v_lshlrev_b32_e32 v161, 24, v14
	s_delay_alu instid0(VALU_DEP_3) | instskip(NEXT) | instid1(VALU_DEP_3)
	v_clz_i32_u32_e32 v150, v13
	v_cmp_eq_u32_e32 vcc_lo, 0, v160
	s_delay_alu instid0(VALU_DEP_2) | instskip(NEXT) | instid1(VALU_DEP_1)
	v_min_u32_e32 v150, 32, v150
	v_subrev_nc_u32_e32 v151, 28, v150
	v_sub_nc_u32_e32 v150, 29, v150
	s_delay_alu instid0(VALU_DEP_2) | instskip(NEXT) | instid1(VALU_DEP_1)
	v_lshlrev_b32_e32 v151, v151, v14
	v_dual_cndmask_b32 v150, v160, v150 :: v_dual_and_b32 v151, 7, v151
	s_delay_alu instid0(VALU_DEP_1) | instskip(NEXT) | instid1(VALU_DEP_2)
	v_lshl_add_u32 v150, v150, 23, 0x3b800000
	v_cndmask_b32_e32 v13, v13, v151, vcc_lo
	v_and_b32_e32 v151, 0x80000000, v161
	s_delay_alu instid0(VALU_DEP_2) | instskip(NEXT) | instid1(VALU_DEP_1)
	v_lshlrev_b32_e32 v13, 20, v13
	v_or3_b32 v13, v151, v150, v13
.LBB2_1761:                             ;   in Loop: Header=BB2_1629 Depth=3
	s_or_b32 exec_lo, exec_lo, s14
	v_and_b32_e32 v151, 0xff, v10
	s_mov_b32 s3, 0
	s_mov_b32 s15, exec_lo
                                        ; implicit-def: $sgpr14
	s_delay_alu instid0(VALU_DEP_1)
	v_cmpx_lt_i16_e64 0x7f, v151
	s_xor_b32 s15, exec_lo, s15
	s_cbranch_execnz .LBB2_1956
; %bb.1762:                             ;   in Loop: Header=BB2_1629 Depth=3
	s_or_saveexec_b32 s15, s15
	v_mov_b32_e32 v150, s14
	s_xor_b32 exec_lo, exec_lo, s15
	s_cbranch_execnz .LBB2_1959
.LBB2_1763:                             ;   in Loop: Header=BB2_1629 Depth=3
	s_or_b32 exec_lo, exec_lo, s15
	s_and_saveexec_b32 s14, s3
	s_cbranch_execz .LBB2_1765
.LBB2_1764:                             ;   in Loop: Header=BB2_1629 Depth=3
	v_bfe_u32 v161, v10, 3, 4
	v_lshlrev_b32_e32 v162, 24, v10
	s_delay_alu instid0(VALU_DEP_2) | instskip(SKIP_1) | instid1(VALU_DEP_1)
	v_cmp_eq_u32_e32 vcc_lo, 0, v161
	v_and_b32_e32 v150, 7, v10
	v_clz_i32_u32_e32 v151, v150
	s_delay_alu instid0(VALU_DEP_1) | instskip(NEXT) | instid1(VALU_DEP_1)
	v_min_u32_e32 v151, 32, v151
	v_subrev_nc_u32_e32 v160, 28, v151
	v_sub_nc_u32_e32 v151, 29, v151
	s_delay_alu instid0(VALU_DEP_1) | instskip(NEXT) | instid1(VALU_DEP_1)
	v_dual_cndmask_b32 v151, v161, v151 :: v_dual_lshlrev_b32 v160, v160, v10
	v_and_b32_e32 v160, 7, v160
	s_delay_alu instid0(VALU_DEP_2) | instskip(NEXT) | instid1(VALU_DEP_2)
	v_lshl_add_u32 v151, v151, 23, 0x3b800000
	v_cndmask_b32_e32 v150, v150, v160, vcc_lo
	v_and_b32_e32 v160, 0x80000000, v162
	s_delay_alu instid0(VALU_DEP_2) | instskip(NEXT) | instid1(VALU_DEP_1)
	v_lshlrev_b32_e32 v150, 20, v150
	v_or3_b32 v150, v160, v151, v150
.LBB2_1765:                             ;   in Loop: Header=BB2_1629 Depth=3
	s_or_b32 exec_lo, exec_lo, s14
	s_delay_alu instid0(VALU_DEP_1) | instskip(NEXT) | instid1(VALU_DEP_1)
	v_add_f32_e32 v150, v13, v150
	v_and_b32_e32 v13, 0x7f800000, v150
	s_delay_alu instid0(VALU_DEP_1)
	v_cmp_ne_u32_e32 vcc_lo, 0x7f800000, v13
	v_mov_b32_e32 v13, 0x80
	s_and_saveexec_b32 s3, vcc_lo
	s_cbranch_execz .LBB2_1773
; %bb.1766:                             ;   in Loop: Header=BB2_1629 Depth=3
	v_mov_b32_e32 v13, 0
	s_mov_b32 s15, exec_lo
	v_cmpx_ne_u32_e32 0, v150
	s_cbranch_execz .LBB2_1772
; %bb.1767:                             ;   in Loop: Header=BB2_1629 Depth=3
	v_bfe_u32 v13, v150, 23, 8
	s_delay_alu instid0(VALU_DEP_1) | instskip(SKIP_1) | instid1(VALU_DEP_2)
	v_sub_nc_u32_e32 v160, 0x78, v13
	v_cmp_gt_u32_e32 vcc_lo, 0x79, v13
	v_dual_cndmask_b32 v160, 0, v160 :: v_dual_and_b32 v151, 0x7fffff, v150
	s_delay_alu instid0(VALU_DEP_1) | instskip(SKIP_2) | instid1(VALU_DEP_4)
	v_or_b32_e32 v161, 0x800000, v151
	v_cmp_eq_u32_e32 vcc_lo, 0, v13
	v_add_nc_u32_e32 v13, 0xffffff89, v13
	v_cndmask_b32_e64 v160, v160, 0x77, vcc_lo
	s_delay_alu instid0(VALU_DEP_2) | instskip(SKIP_1) | instid1(VALU_DEP_3)
	v_cndmask_b32_e64 v13, v13, 0xffffff8a, vcc_lo
	v_cndmask_b32_e32 v151, v161, v151, vcc_lo
	v_lshl_add_u32 v161, 0x100000, v160, -1
	v_lshlrev_b32_e64 v164, v160, 0x80000
	s_delay_alu instid0(VALU_DEP_3) | instskip(SKIP_1) | instid1(VALU_DEP_4)
	v_lshrrev_b32_e32 v162, v160, v151
	v_add_nc_u32_e32 v160, v160, v13
	v_and_b32_e32 v151, v161, v151
	s_delay_alu instid0(VALU_DEP_3) | instskip(NEXT) | instid1(VALU_DEP_2)
	v_bfe_u32 v163, v162, 20, 1
	v_cmp_eq_u32_e64 s14, v151, v164
	s_delay_alu instid0(VALU_DEP_2) | instskip(NEXT) | instid1(VALU_DEP_1)
	v_add_nc_u32_e32 v161, -1, v163
	v_cndmask_b32_e64 v151, 0, v161, s14
	v_lshrrev_b32_e32 v161, 23, v162
	s_mov_b32 s14, exec_lo
	s_delay_alu instid0(VALU_DEP_2) | instskip(NEXT) | instid1(VALU_DEP_2)
	v_add_nc_u32_e32 v151, v151, v162
	v_xor_b32_e32 v161, 1, v161
	s_delay_alu instid0(VALU_DEP_2) | instskip(NEXT) | instid1(VALU_DEP_1)
	v_and_b32_e32 v13, 0xfffff, v151
	v_add_nc_u32_e32 v151, v13, v162
                                        ; implicit-def: $vgpr13
	s_delay_alu instid0(VALU_DEP_3)
	v_cmpx_ne_u32_e64 v160, v161
	s_xor_b32 s14, exec_lo, s14
; %bb.1768:                             ;   in Loop: Header=BB2_1629 Depth=3
	s_delay_alu instid0(VALU_DEP_2) | instskip(SKIP_2) | instid1(VALU_DEP_2)
	v_cmp_lt_u32_e32 vcc_lo, 0xffffff, v151
	v_sub_nc_u32_e32 v13, v160, v161
	v_cndmask_b32_e64 v160, 0, 1, vcc_lo
	v_add_co_ci_u32_e32 v13, vcc_lo, 0, v13, vcc_lo
	s_delay_alu instid0(VALU_DEP_2)
	v_lshrrev_b32_e32 v151, v160, v151
; %bb.1769:                             ;   in Loop: Header=BB2_1629 Depth=3
	s_and_not1_saveexec_b32 s14, s14
; %bb.1770:                             ;   in Loop: Header=BB2_1629 Depth=3
	s_delay_alu instid0(VALU_DEP_1)
	v_bfe_u32 v13, v151, 23, 1
; %bb.1771:                             ;   in Loop: Header=BB2_1629 Depth=3
	s_or_b32 exec_lo, exec_lo, s14
	v_lshrrev_b32_e32 v151, 20, v151
	s_delay_alu instid0(VALU_DEP_2) | instskip(SKIP_2) | instid1(VALU_DEP_2)
	v_cmp_gt_i32_e32 vcc_lo, 16, v13
	v_lshrrev_b32_e32 v150, 24, v150
	v_min_i32_e32 v160, 15, v13
	v_dual_cndmask_b32 v151, 7, v151 :: v_dual_and_b32 v150, 0x80, v150
	s_delay_alu instid0(VALU_DEP_1) | instskip(SKIP_1) | instid1(VALU_DEP_2)
	v_or_b32_e32 v13, v13, v151
	v_and_b32_e32 v161, 7, v151
	v_cmp_ne_u32_e32 vcc_lo, 0, v13
	v_lshlrev_b32_e32 v160, 3, v160
	s_delay_alu instid0(VALU_DEP_1) | instskip(NEXT) | instid1(VALU_DEP_1)
	v_or3_b32 v150, v160, v150, v161
	v_cndmask_b32_e32 v13, 0, v150, vcc_lo
.LBB2_1772:                             ;   in Loop: Header=BB2_1629 Depth=3
	s_or_b32 exec_lo, exec_lo, s15
.LBB2_1773:                             ;   in Loop: Header=BB2_1629 Depth=3
	s_delay_alu instid0(SALU_CYCLE_1) | instskip(SKIP_3) | instid1(VALU_DEP_1)
	s_or_b32 exec_lo, exec_lo, s3
	v_lshrrev_b16 v151, 8, v14
	s_mov_b32 s3, 0
	s_mov_b32 s15, exec_lo
                                        ; implicit-def: $sgpr14
	v_cmpx_lt_i16_e64 0x7f, v151
	s_xor_b32 s15, exec_lo, s15
	s_cbranch_execnz .LBB2_1960
; %bb.1774:                             ;   in Loop: Header=BB2_1629 Depth=3
	s_or_saveexec_b32 s15, s15
	v_mov_b32_e32 v150, s14
	s_xor_b32 exec_lo, exec_lo, s15
	s_cbranch_execnz .LBB2_1963
.LBB2_1775:                             ;   in Loop: Header=BB2_1629 Depth=3
	s_or_b32 exec_lo, exec_lo, s15
	s_and_saveexec_b32 s14, s3
	s_cbranch_execz .LBB2_1777
.LBB2_1776:                             ;   in Loop: Header=BB2_1629 Depth=3
	v_and_b32_e32 v150, 0xffff, v151
	s_delay_alu instid0(VALU_DEP_1) | instskip(NEXT) | instid1(VALU_DEP_1)
	v_and_b32_e32 v160, 7, v150
	v_clz_i32_u32_e32 v161, v160
	s_delay_alu instid0(VALU_DEP_1) | instskip(NEXT) | instid1(VALU_DEP_1)
	v_min_u32_e32 v161, 32, v161
	v_subrev_nc_u32_e32 v162, 28, v161
	v_sub_nc_u32_e32 v161, 29, v161
	s_delay_alu instid0(VALU_DEP_2) | instskip(SKIP_1) | instid1(VALU_DEP_2)
	v_lshlrev_b32_e32 v162, v162, v150
	v_bfe_u32 v150, v150, 3, 4
	v_and_b32_e32 v162, 7, v162
	s_delay_alu instid0(VALU_DEP_2) | instskip(SKIP_1) | instid1(VALU_DEP_1)
	v_cmp_eq_u32_e32 vcc_lo, 0, v150
	v_dual_cndmask_b32 v150, v150, v161 :: v_dual_lshlrev_b32 v151, 24, v151
	v_dual_cndmask_b32 v160, v160, v162 :: v_dual_and_b32 v151, 0x80000000, v151
	s_delay_alu instid0(VALU_DEP_2) | instskip(NEXT) | instid1(VALU_DEP_2)
	v_lshl_add_u32 v150, v150, 23, 0x3b800000
	v_lshlrev_b32_e32 v160, 20, v160
	s_delay_alu instid0(VALU_DEP_1)
	v_or3_b32 v150, v151, v150, v160
.LBB2_1777:                             ;   in Loop: Header=BB2_1629 Depth=3
	s_or_b32 exec_lo, exec_lo, s14
	v_lshrrev_b16 v151, 8, v10
	s_mov_b32 s3, 0
	s_mov_b32 s15, exec_lo
                                        ; implicit-def: $sgpr14
	s_delay_alu instid0(VALU_DEP_1)
	v_cmpx_lt_i16_e64 0x7f, v151
	s_xor_b32 s15, exec_lo, s15
	s_cbranch_execnz .LBB2_1964
; %bb.1778:                             ;   in Loop: Header=BB2_1629 Depth=3
	s_or_saveexec_b32 s15, s15
	v_mov_b32_e32 v160, s14
	s_xor_b32 exec_lo, exec_lo, s15
	s_cbranch_execnz .LBB2_1967
.LBB2_1779:                             ;   in Loop: Header=BB2_1629 Depth=3
	s_or_b32 exec_lo, exec_lo, s15
	s_and_saveexec_b32 s14, s3
	s_cbranch_execz .LBB2_1781
.LBB2_1780:                             ;   in Loop: Header=BB2_1629 Depth=3
	v_and_b32_e32 v160, 0xffff, v151
	v_lshlrev_b32_e32 v151, 24, v151
	s_delay_alu instid0(VALU_DEP_2) | instskip(NEXT) | instid1(VALU_DEP_2)
	v_and_b32_e32 v161, 7, v160
	v_and_b32_e32 v151, 0x80000000, v151
	s_delay_alu instid0(VALU_DEP_2) | instskip(NEXT) | instid1(VALU_DEP_1)
	v_clz_i32_u32_e32 v162, v161
	v_min_u32_e32 v162, 32, v162
	s_delay_alu instid0(VALU_DEP_1) | instskip(SKIP_1) | instid1(VALU_DEP_2)
	v_subrev_nc_u32_e32 v163, 28, v162
	v_sub_nc_u32_e32 v162, 29, v162
	v_lshlrev_b32_e32 v163, v163, v160
	v_bfe_u32 v160, v160, 3, 4
	s_delay_alu instid0(VALU_DEP_2) | instskip(NEXT) | instid1(VALU_DEP_2)
	v_and_b32_e32 v163, 7, v163
	v_cmp_eq_u32_e32 vcc_lo, 0, v160
	s_delay_alu instid0(VALU_DEP_2) | instskip(NEXT) | instid1(VALU_DEP_1)
	v_dual_cndmask_b32 v160, v160, v162 :: v_dual_cndmask_b32 v161, v161, v163
	v_lshl_add_u32 v160, v160, 23, 0x3b800000
	s_delay_alu instid0(VALU_DEP_2) | instskip(NEXT) | instid1(VALU_DEP_1)
	v_lshlrev_b32_e32 v161, 20, v161
	v_or3_b32 v160, v151, v160, v161
.LBB2_1781:                             ;   in Loop: Header=BB2_1629 Depth=3
	s_or_b32 exec_lo, exec_lo, s14
	s_delay_alu instid0(VALU_DEP_1) | instskip(NEXT) | instid1(VALU_DEP_1)
	v_add_f32_e32 v151, v150, v160
	v_and_b32_e32 v150, 0x7f800000, v151
	s_delay_alu instid0(VALU_DEP_1)
	v_cmp_ne_u32_e32 vcc_lo, 0x7f800000, v150
	v_mov_b32_e32 v150, 0x80
	s_and_saveexec_b32 s3, vcc_lo
	s_cbranch_execz .LBB2_1789
; %bb.1782:                             ;   in Loop: Header=BB2_1629 Depth=3
	v_mov_b32_e32 v150, 0
	s_mov_b32 s15, exec_lo
	v_cmpx_ne_u32_e32 0, v151
	s_cbranch_execz .LBB2_1788
; %bb.1783:                             ;   in Loop: Header=BB2_1629 Depth=3
	v_bfe_u32 v150, v151, 23, 8
	s_delay_alu instid0(VALU_DEP_1) | instskip(SKIP_1) | instid1(VALU_DEP_2)
	v_sub_nc_u32_e32 v161, 0x78, v150
	v_cmp_gt_u32_e32 vcc_lo, 0x79, v150
	v_dual_cndmask_b32 v161, 0, v161 :: v_dual_and_b32 v160, 0x7fffff, v151
	s_delay_alu instid0(VALU_DEP_1) | instskip(SKIP_2) | instid1(VALU_DEP_4)
	v_or_b32_e32 v162, 0x800000, v160
	v_cmp_eq_u32_e32 vcc_lo, 0, v150
	v_add_nc_u32_e32 v150, 0xffffff89, v150
	v_cndmask_b32_e64 v161, v161, 0x77, vcc_lo
	s_delay_alu instid0(VALU_DEP_2) | instskip(SKIP_1) | instid1(VALU_DEP_3)
	v_cndmask_b32_e64 v150, v150, 0xffffff8a, vcc_lo
	v_cndmask_b32_e32 v160, v162, v160, vcc_lo
	v_lshl_add_u32 v162, 0x100000, v161, -1
	v_lshlrev_b32_e64 v165, v161, 0x80000
	s_delay_alu instid0(VALU_DEP_3) | instskip(SKIP_1) | instid1(VALU_DEP_4)
	v_lshrrev_b32_e32 v163, v161, v160
	v_add_nc_u32_e32 v161, v161, v150
	v_and_b32_e32 v160, v162, v160
	s_delay_alu instid0(VALU_DEP_3) | instskip(NEXT) | instid1(VALU_DEP_2)
	v_bfe_u32 v164, v163, 20, 1
	v_cmp_eq_u32_e64 s14, v160, v165
	s_delay_alu instid0(VALU_DEP_2) | instskip(NEXT) | instid1(VALU_DEP_1)
	v_add_nc_u32_e32 v162, -1, v164
	v_cndmask_b32_e64 v160, 0, v162, s14
	v_lshrrev_b32_e32 v162, 23, v163
	s_mov_b32 s14, exec_lo
	s_delay_alu instid0(VALU_DEP_2) | instskip(NEXT) | instid1(VALU_DEP_2)
	v_add_nc_u32_e32 v160, v160, v163
	v_xor_b32_e32 v162, 1, v162
	s_delay_alu instid0(VALU_DEP_2) | instskip(NEXT) | instid1(VALU_DEP_1)
	v_and_b32_e32 v150, 0xfffff, v160
	v_add_nc_u32_e32 v160, v150, v163
                                        ; implicit-def: $vgpr150
	s_delay_alu instid0(VALU_DEP_3)
	v_cmpx_ne_u32_e64 v161, v162
	s_xor_b32 s14, exec_lo, s14
; %bb.1784:                             ;   in Loop: Header=BB2_1629 Depth=3
	s_delay_alu instid0(VALU_DEP_2) | instskip(SKIP_2) | instid1(VALU_DEP_2)
	v_cmp_lt_u32_e32 vcc_lo, 0xffffff, v160
	v_sub_nc_u32_e32 v150, v161, v162
	v_cndmask_b32_e64 v161, 0, 1, vcc_lo
	v_add_co_ci_u32_e32 v150, vcc_lo, 0, v150, vcc_lo
	s_delay_alu instid0(VALU_DEP_2)
	v_lshrrev_b32_e32 v160, v161, v160
; %bb.1785:                             ;   in Loop: Header=BB2_1629 Depth=3
	s_and_not1_saveexec_b32 s14, s14
; %bb.1786:                             ;   in Loop: Header=BB2_1629 Depth=3
	s_delay_alu instid0(VALU_DEP_1)
	v_bfe_u32 v150, v160, 23, 1
; %bb.1787:                             ;   in Loop: Header=BB2_1629 Depth=3
	s_or_b32 exec_lo, exec_lo, s14
	v_lshrrev_b32_e32 v160, 20, v160
	s_delay_alu instid0(VALU_DEP_2) | instskip(SKIP_2) | instid1(VALU_DEP_2)
	v_cmp_gt_i32_e32 vcc_lo, 16, v150
	v_lshrrev_b32_e32 v151, 24, v151
	v_min_i32_e32 v161, 15, v150
	v_dual_cndmask_b32 v160, 7, v160 :: v_dual_and_b32 v151, 0x80, v151
	s_delay_alu instid0(VALU_DEP_1) | instskip(SKIP_1) | instid1(VALU_DEP_2)
	v_or_b32_e32 v150, v150, v160
	v_and_b32_e32 v162, 7, v160
	v_cmp_ne_u32_e32 vcc_lo, 0, v150
	v_lshlrev_b32_e32 v161, 3, v161
	s_delay_alu instid0(VALU_DEP_1) | instskip(NEXT) | instid1(VALU_DEP_1)
	v_or3_b32 v151, v161, v151, v162
	v_cndmask_b32_e32 v150, 0, v151, vcc_lo
.LBB2_1788:                             ;   in Loop: Header=BB2_1629 Depth=3
	s_or_b32 exec_lo, exec_lo, s15
.LBB2_1789:                             ;   in Loop: Header=BB2_1629 Depth=3
	s_delay_alu instid0(SALU_CYCLE_1) | instskip(SKIP_3) | instid1(VALU_DEP_1)
	s_or_b32 exec_lo, exec_lo, s3
	v_lshrrev_b32_e32 v160, 16, v14
	s_mov_b32 s3, 0
	s_mov_b32 s15, exec_lo
                                        ; implicit-def: $sgpr14
	v_and_b32_e32 v161, 0xff, v160
	s_delay_alu instid0(VALU_DEP_1)
	v_cmpx_lt_i16_e64 0x7f, v161
	s_xor_b32 s15, exec_lo, s15
	s_cbranch_execnz .LBB2_1968
; %bb.1790:                             ;   in Loop: Header=BB2_1629 Depth=3
	s_or_saveexec_b32 s15, s15
	v_mov_b32_e32 v151, s14
	s_xor_b32 exec_lo, exec_lo, s15
	s_cbranch_execnz .LBB2_1971
.LBB2_1791:                             ;   in Loop: Header=BB2_1629 Depth=3
	s_or_b32 exec_lo, exec_lo, s15
	s_and_saveexec_b32 s14, s3
	s_cbranch_execz .LBB2_1793
.LBB2_1792:                             ;   in Loop: Header=BB2_1629 Depth=3
	v_bfe_u32 v151, v14, 16, 3
	v_lshlrev_b32_e32 v163, 8, v14
	s_delay_alu instid0(VALU_DEP_2) | instskip(NEXT) | instid1(VALU_DEP_1)
	v_clz_i32_u32_e32 v161, v151
	v_min_u32_e32 v161, 32, v161
	s_delay_alu instid0(VALU_DEP_1) | instskip(SKIP_1) | instid1(VALU_DEP_2)
	v_subrev_nc_u32_e32 v162, 28, v161
	v_sub_nc_u32_e32 v161, 29, v161
	v_lshlrev_b32_e32 v160, v162, v160
	v_bfe_u32 v162, v14, 19, 4
	s_delay_alu instid0(VALU_DEP_1) | instskip(NEXT) | instid1(VALU_DEP_3)
	v_cmp_eq_u32_e32 vcc_lo, 0, v162
	v_dual_cndmask_b32 v161, v162, v161 :: v_dual_and_b32 v160, 7, v160
	s_delay_alu instid0(VALU_DEP_1) | instskip(NEXT) | instid1(VALU_DEP_2)
	v_dual_cndmask_b32 v151, v151, v160 :: v_dual_and_b32 v160, 0x80000000, v163
	v_lshl_add_u32 v161, v161, 23, 0x3b800000
	s_delay_alu instid0(VALU_DEP_2) | instskip(NEXT) | instid1(VALU_DEP_1)
	v_lshlrev_b32_e32 v151, 20, v151
	v_or3_b32 v151, v160, v161, v151
.LBB2_1793:                             ;   in Loop: Header=BB2_1629 Depth=3
	s_or_b32 exec_lo, exec_lo, s14
	v_lshrrev_b32_e32 v160, 16, v10
	s_mov_b32 s3, 0
	s_mov_b32 s15, exec_lo
                                        ; implicit-def: $sgpr14
	s_delay_alu instid0(VALU_DEP_1) | instskip(NEXT) | instid1(VALU_DEP_1)
	v_and_b32_e32 v162, 0xff, v160
	v_cmpx_lt_i16_e64 0x7f, v162
	s_xor_b32 s15, exec_lo, s15
	s_cbranch_execnz .LBB2_1972
; %bb.1794:                             ;   in Loop: Header=BB2_1629 Depth=3
	s_or_saveexec_b32 s15, s15
	v_mov_b32_e32 v161, s14
	s_xor_b32 exec_lo, exec_lo, s15
	s_cbranch_execnz .LBB2_1975
.LBB2_1795:                             ;   in Loop: Header=BB2_1629 Depth=3
	s_or_b32 exec_lo, exec_lo, s15
	s_and_saveexec_b32 s14, s3
	s_cbranch_execz .LBB2_1797
.LBB2_1796:                             ;   in Loop: Header=BB2_1629 Depth=3
	v_bfe_u32 v161, v10, 16, 3
	v_lshlrev_b32_e32 v164, 8, v10
	s_delay_alu instid0(VALU_DEP_2) | instskip(NEXT) | instid1(VALU_DEP_1)
	v_clz_i32_u32_e32 v162, v161
	v_min_u32_e32 v162, 32, v162
	s_delay_alu instid0(VALU_DEP_1) | instskip(SKIP_1) | instid1(VALU_DEP_2)
	v_subrev_nc_u32_e32 v163, 28, v162
	v_sub_nc_u32_e32 v162, 29, v162
	v_lshlrev_b32_e32 v160, v163, v160
	v_bfe_u32 v163, v10, 19, 4
	s_delay_alu instid0(VALU_DEP_2) | instskip(NEXT) | instid1(VALU_DEP_2)
	v_and_b32_e32 v160, 7, v160
	v_cmp_eq_u32_e32 vcc_lo, 0, v163
	v_cndmask_b32_e32 v162, v163, v162, vcc_lo
	s_delay_alu instid0(VALU_DEP_3) | instskip(SKIP_1) | instid1(VALU_DEP_3)
	v_cndmask_b32_e32 v160, v161, v160, vcc_lo
	v_and_b32_e32 v161, 0x80000000, v164
	v_lshl_add_u32 v162, v162, 23, 0x3b800000
	s_delay_alu instid0(VALU_DEP_3) | instskip(NEXT) | instid1(VALU_DEP_1)
	v_lshlrev_b32_e32 v160, 20, v160
	v_or3_b32 v161, v161, v162, v160
.LBB2_1797:                             ;   in Loop: Header=BB2_1629 Depth=3
	s_or_b32 exec_lo, exec_lo, s14
	s_delay_alu instid0(VALU_DEP_1) | instskip(NEXT) | instid1(VALU_DEP_1)
	v_add_f32_e32 v160, v151, v161
	v_and_b32_e32 v151, 0x7f800000, v160
	s_delay_alu instid0(VALU_DEP_1)
	v_cmp_ne_u32_e32 vcc_lo, 0x7f800000, v151
	v_mov_b32_e32 v151, 0x80
	s_and_saveexec_b32 s3, vcc_lo
	s_cbranch_execz .LBB2_1805
; %bb.1798:                             ;   in Loop: Header=BB2_1629 Depth=3
	v_mov_b32_e32 v151, 0
	s_mov_b32 s15, exec_lo
	v_cmpx_ne_u32_e32 0, v160
	s_cbranch_execz .LBB2_1804
; %bb.1799:                             ;   in Loop: Header=BB2_1629 Depth=3
	v_bfe_u32 v151, v160, 23, 8
	s_delay_alu instid0(VALU_DEP_1) | instskip(SKIP_1) | instid1(VALU_DEP_2)
	v_sub_nc_u32_e32 v162, 0x78, v151
	v_cmp_gt_u32_e32 vcc_lo, 0x79, v151
	v_dual_cndmask_b32 v162, 0, v162 :: v_dual_and_b32 v161, 0x7fffff, v160
	s_delay_alu instid0(VALU_DEP_1) | instskip(SKIP_2) | instid1(VALU_DEP_4)
	v_or_b32_e32 v163, 0x800000, v161
	v_cmp_eq_u32_e32 vcc_lo, 0, v151
	v_add_nc_u32_e32 v151, 0xffffff89, v151
	v_cndmask_b32_e64 v162, v162, 0x77, vcc_lo
	s_delay_alu instid0(VALU_DEP_2) | instskip(SKIP_1) | instid1(VALU_DEP_3)
	v_cndmask_b32_e64 v151, v151, 0xffffff8a, vcc_lo
	v_cndmask_b32_e32 v161, v163, v161, vcc_lo
	v_lshl_add_u32 v163, 0x100000, v162, -1
	v_lshlrev_b32_e64 v166, v162, 0x80000
	s_delay_alu instid0(VALU_DEP_3) | instskip(SKIP_1) | instid1(VALU_DEP_4)
	v_lshrrev_b32_e32 v164, v162, v161
	v_add_nc_u32_e32 v162, v162, v151
	v_and_b32_e32 v161, v163, v161
	s_delay_alu instid0(VALU_DEP_3) | instskip(NEXT) | instid1(VALU_DEP_2)
	v_bfe_u32 v165, v164, 20, 1
	v_cmp_eq_u32_e64 s14, v161, v166
	s_delay_alu instid0(VALU_DEP_2) | instskip(NEXT) | instid1(VALU_DEP_1)
	v_add_nc_u32_e32 v163, -1, v165
	v_cndmask_b32_e64 v161, 0, v163, s14
	v_lshrrev_b32_e32 v163, 23, v164
	s_mov_b32 s14, exec_lo
	s_delay_alu instid0(VALU_DEP_2) | instskip(NEXT) | instid1(VALU_DEP_2)
	v_add_nc_u32_e32 v161, v161, v164
	v_xor_b32_e32 v163, 1, v163
	s_delay_alu instid0(VALU_DEP_2) | instskip(NEXT) | instid1(VALU_DEP_1)
	v_and_b32_e32 v151, 0xfffff, v161
	v_add_nc_u32_e32 v161, v151, v164
                                        ; implicit-def: $vgpr151
	s_delay_alu instid0(VALU_DEP_3)
	v_cmpx_ne_u32_e64 v162, v163
	s_xor_b32 s14, exec_lo, s14
; %bb.1800:                             ;   in Loop: Header=BB2_1629 Depth=3
	s_delay_alu instid0(VALU_DEP_2) | instskip(SKIP_2) | instid1(VALU_DEP_2)
	v_cmp_lt_u32_e32 vcc_lo, 0xffffff, v161
	v_sub_nc_u32_e32 v151, v162, v163
	v_cndmask_b32_e64 v162, 0, 1, vcc_lo
	v_add_co_ci_u32_e32 v151, vcc_lo, 0, v151, vcc_lo
	s_delay_alu instid0(VALU_DEP_2)
	v_lshrrev_b32_e32 v161, v162, v161
; %bb.1801:                             ;   in Loop: Header=BB2_1629 Depth=3
	s_and_not1_saveexec_b32 s14, s14
; %bb.1802:                             ;   in Loop: Header=BB2_1629 Depth=3
	s_delay_alu instid0(VALU_DEP_1)
	v_bfe_u32 v151, v161, 23, 1
; %bb.1803:                             ;   in Loop: Header=BB2_1629 Depth=3
	s_or_b32 exec_lo, exec_lo, s14
	v_lshrrev_b32_e32 v161, 20, v161
	s_delay_alu instid0(VALU_DEP_2) | instskip(SKIP_2) | instid1(VALU_DEP_2)
	v_cmp_gt_i32_e32 vcc_lo, 16, v151
	v_lshrrev_b32_e32 v160, 24, v160
	v_min_i32_e32 v162, 15, v151
	v_dual_cndmask_b32 v161, 7, v161 :: v_dual_and_b32 v160, 0x80, v160
	s_delay_alu instid0(VALU_DEP_1) | instskip(SKIP_1) | instid1(VALU_DEP_2)
	v_or_b32_e32 v151, v151, v161
	v_and_b32_e32 v163, 7, v161
	v_cmp_ne_u32_e32 vcc_lo, 0, v151
	v_lshlrev_b32_e32 v162, 3, v162
	s_delay_alu instid0(VALU_DEP_1) | instskip(NEXT) | instid1(VALU_DEP_1)
	v_or3_b32 v160, v162, v160, v163
	v_cndmask_b32_e32 v151, 0, v160, vcc_lo
.LBB2_1804:                             ;   in Loop: Header=BB2_1629 Depth=3
	s_or_b32 exec_lo, exec_lo, s15
.LBB2_1805:                             ;   in Loop: Header=BB2_1629 Depth=3
	s_delay_alu instid0(SALU_CYCLE_1) | instskip(SKIP_3) | instid1(VALU_DEP_1)
	s_or_b32 exec_lo, exec_lo, s3
	v_lshrrev_b32_e32 v161, 24, v14
	s_mov_b32 s3, 0
	s_mov_b32 s15, exec_lo
                                        ; implicit-def: $sgpr14
	v_cmpx_lt_i16_e64 0x7f, v161
	s_xor_b32 s15, exec_lo, s15
	s_cbranch_execnz .LBB2_1976
; %bb.1806:                             ;   in Loop: Header=BB2_1629 Depth=3
	s_or_saveexec_b32 s15, s15
	v_mov_b32_e32 v160, s14
	s_xor_b32 exec_lo, exec_lo, s15
	s_cbranch_execnz .LBB2_1979
.LBB2_1807:                             ;   in Loop: Header=BB2_1629 Depth=3
	s_or_b32 exec_lo, exec_lo, s15
	s_and_saveexec_b32 s14, s3
	s_cbranch_execz .LBB2_1809
.LBB2_1808:                             ;   in Loop: Header=BB2_1629 Depth=3
	v_bfe_u32 v160, v14, 24, 3
	s_delay_alu instid0(VALU_DEP_1) | instskip(NEXT) | instid1(VALU_DEP_1)
	v_clz_i32_u32_e32 v162, v160
	v_min_u32_e32 v162, 32, v162
	s_delay_alu instid0(VALU_DEP_1) | instskip(SKIP_1) | instid1(VALU_DEP_2)
	v_subrev_nc_u32_e32 v163, 28, v162
	v_sub_nc_u32_e32 v162, 29, v162
	v_lshlrev_b32_e32 v161, v163, v161
	v_bfe_u32 v163, v14, 27, 4
	v_and_b32_e32 v14, 0x80000000, v14
	s_delay_alu instid0(VALU_DEP_2) | instskip(NEXT) | instid1(VALU_DEP_4)
	v_cmp_eq_u32_e32 vcc_lo, 0, v163
	v_dual_cndmask_b32 v162, v163, v162 :: v_dual_and_b32 v161, 7, v161
	s_delay_alu instid0(VALU_DEP_1) | instskip(NEXT) | instid1(VALU_DEP_2)
	v_cndmask_b32_e32 v160, v160, v161, vcc_lo
	v_lshl_add_u32 v161, v162, 23, 0x3b800000
	s_delay_alu instid0(VALU_DEP_2) | instskip(NEXT) | instid1(VALU_DEP_1)
	v_lshlrev_b32_e32 v160, 20, v160
	v_or3_b32 v160, v14, v161, v160
.LBB2_1809:                             ;   in Loop: Header=BB2_1629 Depth=3
	s_or_b32 exec_lo, exec_lo, s14
	v_lshrrev_b32_e32 v14, 24, v10
	s_mov_b32 s3, 0
	s_mov_b32 s15, exec_lo
                                        ; implicit-def: $sgpr14
	s_delay_alu instid0(VALU_DEP_1)
	v_cmpx_lt_i16_e32 0x7f, v14
	s_xor_b32 s15, exec_lo, s15
	s_cbranch_execnz .LBB2_1980
; %bb.1810:                             ;   in Loop: Header=BB2_1629 Depth=3
	s_or_saveexec_b32 s15, s15
	v_mov_b32_e32 v161, s14
	s_xor_b32 exec_lo, exec_lo, s15
	s_cbranch_execnz .LBB2_1983
.LBB2_1811:                             ;   in Loop: Header=BB2_1629 Depth=3
	s_or_b32 exec_lo, exec_lo, s15
	s_and_saveexec_b32 s14, s3
	s_cbranch_execz .LBB2_1813
.LBB2_1812:                             ;   in Loop: Header=BB2_1629 Depth=3
	v_bfe_u32 v161, v10, 24, 3
	s_delay_alu instid0(VALU_DEP_1) | instskip(NEXT) | instid1(VALU_DEP_1)
	v_clz_i32_u32_e32 v162, v161
	v_min_u32_e32 v162, 32, v162
	s_delay_alu instid0(VALU_DEP_1) | instskip(SKIP_1) | instid1(VALU_DEP_2)
	v_subrev_nc_u32_e32 v163, 28, v162
	v_sub_nc_u32_e32 v162, 29, v162
	v_lshlrev_b32_e32 v14, v163, v14
	v_bfe_u32 v163, v10, 27, 4
	v_and_b32_e32 v10, 0x80000000, v10
	s_delay_alu instid0(VALU_DEP_3) | instskip(NEXT) | instid1(VALU_DEP_3)
	v_and_b32_e32 v14, 7, v14
	v_cmp_eq_u32_e32 vcc_lo, 0, v163
	v_cndmask_b32_e32 v162, v163, v162, vcc_lo
	s_delay_alu instid0(VALU_DEP_3) | instskip(NEXT) | instid1(VALU_DEP_2)
	v_cndmask_b32_e32 v14, v161, v14, vcc_lo
	v_lshl_add_u32 v161, v162, 23, 0x3b800000
	s_delay_alu instid0(VALU_DEP_2) | instskip(NEXT) | instid1(VALU_DEP_1)
	v_lshlrev_b32_e32 v14, 20, v14
	v_or3_b32 v161, v10, v161, v14
.LBB2_1813:                             ;   in Loop: Header=BB2_1629 Depth=3
	s_or_b32 exec_lo, exec_lo, s14
	s_delay_alu instid0(VALU_DEP_1) | instskip(NEXT) | instid1(VALU_DEP_1)
	v_add_f32_e32 v14, v160, v161
	v_and_b32_e32 v10, 0x7f800000, v14
	s_delay_alu instid0(VALU_DEP_1)
	v_cmp_ne_u32_e32 vcc_lo, 0x7f800000, v10
	v_mov_b32_e32 v10, 0x80
	s_and_saveexec_b32 s3, vcc_lo
	s_cbranch_execz .LBB2_1821
; %bb.1814:                             ;   in Loop: Header=BB2_1629 Depth=3
	v_mov_b32_e32 v10, 0
	s_mov_b32 s15, exec_lo
	v_cmpx_ne_u32_e32 0, v14
	s_cbranch_execz .LBB2_1820
; %bb.1815:                             ;   in Loop: Header=BB2_1629 Depth=3
	v_bfe_u32 v10, v14, 23, 8
	s_delay_alu instid0(VALU_DEP_1) | instskip(SKIP_1) | instid1(VALU_DEP_2)
	v_sub_nc_u32_e32 v161, 0x78, v10
	v_cmp_gt_u32_e32 vcc_lo, 0x79, v10
	v_dual_cndmask_b32 v161, 0, v161 :: v_dual_and_b32 v160, 0x7fffff, v14
	s_delay_alu instid0(VALU_DEP_1) | instskip(SKIP_2) | instid1(VALU_DEP_4)
	v_or_b32_e32 v162, 0x800000, v160
	v_cmp_eq_u32_e32 vcc_lo, 0, v10
	v_add_nc_u32_e32 v10, 0xffffff89, v10
	v_cndmask_b32_e64 v161, v161, 0x77, vcc_lo
	s_delay_alu instid0(VALU_DEP_2) | instskip(SKIP_1) | instid1(VALU_DEP_3)
	v_cndmask_b32_e64 v10, v10, 0xffffff8a, vcc_lo
	v_cndmask_b32_e32 v160, v162, v160, vcc_lo
	v_lshl_add_u32 v162, 0x100000, v161, -1
	v_lshlrev_b32_e64 v165, v161, 0x80000
	s_delay_alu instid0(VALU_DEP_3) | instskip(SKIP_1) | instid1(VALU_DEP_4)
	v_lshrrev_b32_e32 v163, v161, v160
	v_add_nc_u32_e32 v161, v161, v10
	v_and_b32_e32 v160, v162, v160
	s_delay_alu instid0(VALU_DEP_3) | instskip(NEXT) | instid1(VALU_DEP_2)
	v_bfe_u32 v164, v163, 20, 1
	v_cmp_eq_u32_e64 s14, v160, v165
	s_delay_alu instid0(VALU_DEP_2) | instskip(NEXT) | instid1(VALU_DEP_1)
	v_add_nc_u32_e32 v162, -1, v164
	v_cndmask_b32_e64 v160, 0, v162, s14
	v_lshrrev_b32_e32 v162, 23, v163
	s_mov_b32 s14, exec_lo
	s_delay_alu instid0(VALU_DEP_2) | instskip(NEXT) | instid1(VALU_DEP_2)
	v_add_nc_u32_e32 v160, v160, v163
	v_xor_b32_e32 v162, 1, v162
	s_delay_alu instid0(VALU_DEP_2) | instskip(NEXT) | instid1(VALU_DEP_1)
	v_and_b32_e32 v10, 0xfffff, v160
	v_add_nc_u32_e32 v160, v10, v163
                                        ; implicit-def: $vgpr10
	s_delay_alu instid0(VALU_DEP_3)
	v_cmpx_ne_u32_e64 v161, v162
	s_xor_b32 s14, exec_lo, s14
; %bb.1816:                             ;   in Loop: Header=BB2_1629 Depth=3
	s_delay_alu instid0(VALU_DEP_2) | instskip(SKIP_2) | instid1(VALU_DEP_2)
	v_cmp_lt_u32_e32 vcc_lo, 0xffffff, v160
	v_sub_nc_u32_e32 v10, v161, v162
	v_cndmask_b32_e64 v161, 0, 1, vcc_lo
	v_add_co_ci_u32_e32 v10, vcc_lo, 0, v10, vcc_lo
	s_delay_alu instid0(VALU_DEP_2)
	v_lshrrev_b32_e32 v160, v161, v160
; %bb.1817:                             ;   in Loop: Header=BB2_1629 Depth=3
	s_and_not1_saveexec_b32 s14, s14
; %bb.1818:                             ;   in Loop: Header=BB2_1629 Depth=3
	s_delay_alu instid0(VALU_DEP_1)
	v_bfe_u32 v10, v160, 23, 1
; %bb.1819:                             ;   in Loop: Header=BB2_1629 Depth=3
	s_or_b32 exec_lo, exec_lo, s14
	v_lshrrev_b32_e32 v160, 20, v160
	s_delay_alu instid0(VALU_DEP_2) | instskip(SKIP_2) | instid1(VALU_DEP_4)
	v_cmp_gt_i32_e32 vcc_lo, 16, v10
	v_lshrrev_b32_e32 v14, 24, v14
	v_min_i32_e32 v161, 15, v10
	v_cndmask_b32_e32 v160, 7, v160, vcc_lo
	s_delay_alu instid0(VALU_DEP_3) | instskip(NEXT) | instid1(VALU_DEP_3)
	v_and_b32_e32 v14, 0x80, v14
	v_lshlrev_b32_e32 v161, 3, v161
	s_delay_alu instid0(VALU_DEP_3) | instskip(SKIP_1) | instid1(VALU_DEP_2)
	v_and_b32_e32 v162, 7, v160
	v_or_b32_e32 v10, v10, v160
	v_or3_b32 v14, v161, v14, v162
	s_delay_alu instid0(VALU_DEP_2) | instskip(NEXT) | instid1(VALU_DEP_2)
	v_cmp_ne_u32_e32 vcc_lo, 0, v10
	v_cndmask_b32_e32 v10, 0, v14, vcc_lo
.LBB2_1820:                             ;   in Loop: Header=BB2_1629 Depth=3
	s_or_b32 exec_lo, exec_lo, s15
.LBB2_1821:                             ;   in Loop: Header=BB2_1629 Depth=3
	s_delay_alu instid0(SALU_CYCLE_1) | instskip(SKIP_3) | instid1(VALU_DEP_1)
	s_or_b32 exec_lo, exec_lo, s3
	v_and_b32_e32 v160, 0xff, v15
	s_mov_b32 s3, 0
	s_mov_b32 s15, exec_lo
                                        ; implicit-def: $sgpr14
	v_cmpx_lt_i16_e64 0x7f, v160
	s_xor_b32 s15, exec_lo, s15
	s_cbranch_execnz .LBB2_1984
; %bb.1822:                             ;   in Loop: Header=BB2_1629 Depth=3
	s_or_saveexec_b32 s15, s15
	v_mov_b32_e32 v14, s14
	s_xor_b32 exec_lo, exec_lo, s15
	s_cbranch_execnz .LBB2_1987
.LBB2_1823:                             ;   in Loop: Header=BB2_1629 Depth=3
	s_or_b32 exec_lo, exec_lo, s15
	s_and_saveexec_b32 s14, s3
	s_cbranch_execz .LBB2_1825
.LBB2_1824:                             ;   in Loop: Header=BB2_1629 Depth=3
	v_and_b32_e32 v14, 7, v15
	v_bfe_u32 v162, v15, 3, 4
	s_delay_alu instid0(VALU_DEP_2) | instskip(NEXT) | instid1(VALU_DEP_2)
	v_clz_i32_u32_e32 v160, v14
	v_cmp_eq_u32_e32 vcc_lo, 0, v162
	s_delay_alu instid0(VALU_DEP_2) | instskip(NEXT) | instid1(VALU_DEP_1)
	v_min_u32_e32 v160, 32, v160
	v_subrev_nc_u32_e32 v161, 28, v160
	v_sub_nc_u32_e32 v160, 29, v160
	s_delay_alu instid0(VALU_DEP_1) | instskip(NEXT) | instid1(VALU_DEP_1)
	v_dual_cndmask_b32 v160, v162, v160 :: v_dual_lshlrev_b32 v161, v161, v15
	v_and_b32_e32 v161, 7, v161
	v_lshlrev_b32_e32 v163, 24, v15
	s_delay_alu instid0(VALU_DEP_3) | instskip(NEXT) | instid1(VALU_DEP_2)
	v_lshl_add_u32 v160, v160, 23, 0x3b800000
	v_dual_cndmask_b32 v14, v14, v161 :: v_dual_and_b32 v161, 0x80000000, v163
	s_delay_alu instid0(VALU_DEP_1) | instskip(NEXT) | instid1(VALU_DEP_1)
	v_lshlrev_b32_e32 v14, 20, v14
	v_or3_b32 v14, v161, v160, v14
.LBB2_1825:                             ;   in Loop: Header=BB2_1629 Depth=3
	s_or_b32 exec_lo, exec_lo, s14
	v_and_b32_e32 v161, 0xff, v11
	s_mov_b32 s3, 0
	s_mov_b32 s15, exec_lo
                                        ; implicit-def: $sgpr14
	s_delay_alu instid0(VALU_DEP_1)
	v_cmpx_lt_i16_e64 0x7f, v161
	s_xor_b32 s15, exec_lo, s15
	s_cbranch_execnz .LBB2_1988
; %bb.1826:                             ;   in Loop: Header=BB2_1629 Depth=3
	s_or_saveexec_b32 s15, s15
	v_mov_b32_e32 v160, s14
	s_xor_b32 exec_lo, exec_lo, s15
	s_cbranch_execnz .LBB2_1991
.LBB2_1827:                             ;   in Loop: Header=BB2_1629 Depth=3
	s_or_b32 exec_lo, exec_lo, s15
	s_and_saveexec_b32 s14, s3
	s_cbranch_execz .LBB2_1829
.LBB2_1828:                             ;   in Loop: Header=BB2_1629 Depth=3
	v_bfe_u32 v163, v11, 3, 4
	v_lshlrev_b32_e32 v164, 24, v11
	s_delay_alu instid0(VALU_DEP_2) | instskip(SKIP_1) | instid1(VALU_DEP_1)
	v_cmp_eq_u32_e32 vcc_lo, 0, v163
	v_and_b32_e32 v160, 7, v11
	v_clz_i32_u32_e32 v161, v160
	s_delay_alu instid0(VALU_DEP_1) | instskip(NEXT) | instid1(VALU_DEP_1)
	v_min_u32_e32 v161, 32, v161
	v_subrev_nc_u32_e32 v162, 28, v161
	v_sub_nc_u32_e32 v161, 29, v161
	s_delay_alu instid0(VALU_DEP_1) | instskip(NEXT) | instid1(VALU_DEP_1)
	v_dual_cndmask_b32 v161, v163, v161 :: v_dual_lshlrev_b32 v162, v162, v11
	v_and_b32_e32 v162, 7, v162
	s_delay_alu instid0(VALU_DEP_2) | instskip(NEXT) | instid1(VALU_DEP_2)
	v_lshl_add_u32 v161, v161, 23, 0x3b800000
	v_cndmask_b32_e32 v160, v160, v162, vcc_lo
	v_and_b32_e32 v162, 0x80000000, v164
	s_delay_alu instid0(VALU_DEP_2) | instskip(NEXT) | instid1(VALU_DEP_1)
	v_lshlrev_b32_e32 v160, 20, v160
	v_or3_b32 v160, v162, v161, v160
.LBB2_1829:                             ;   in Loop: Header=BB2_1629 Depth=3
	s_or_b32 exec_lo, exec_lo, s14
	s_delay_alu instid0(VALU_DEP_1) | instskip(NEXT) | instid1(VALU_DEP_1)
	v_add_f32_e32 v160, v14, v160
	v_and_b32_e32 v14, 0x7f800000, v160
	s_delay_alu instid0(VALU_DEP_1)
	v_cmp_ne_u32_e32 vcc_lo, 0x7f800000, v14
	v_mov_b32_e32 v14, 0x80
	s_and_saveexec_b32 s3, vcc_lo
	s_cbranch_execz .LBB2_1837
; %bb.1830:                             ;   in Loop: Header=BB2_1629 Depth=3
	v_mov_b32_e32 v14, 0
	s_mov_b32 s15, exec_lo
	v_cmpx_ne_u32_e32 0, v160
	s_cbranch_execz .LBB2_1836
; %bb.1831:                             ;   in Loop: Header=BB2_1629 Depth=3
	v_bfe_u32 v14, v160, 23, 8
	s_delay_alu instid0(VALU_DEP_1) | instskip(SKIP_1) | instid1(VALU_DEP_2)
	v_sub_nc_u32_e32 v162, 0x78, v14
	v_cmp_gt_u32_e32 vcc_lo, 0x79, v14
	v_dual_cndmask_b32 v162, 0, v162 :: v_dual_and_b32 v161, 0x7fffff, v160
	s_delay_alu instid0(VALU_DEP_1) | instskip(SKIP_2) | instid1(VALU_DEP_4)
	v_or_b32_e32 v163, 0x800000, v161
	v_cmp_eq_u32_e32 vcc_lo, 0, v14
	v_add_nc_u32_e32 v14, 0xffffff89, v14
	v_cndmask_b32_e64 v162, v162, 0x77, vcc_lo
	s_delay_alu instid0(VALU_DEP_4) | instskip(NEXT) | instid1(VALU_DEP_3)
	v_cndmask_b32_e32 v161, v163, v161, vcc_lo
	v_cndmask_b32_e64 v14, v14, 0xffffff8a, vcc_lo
	s_delay_alu instid0(VALU_DEP_3) | instskip(NEXT) | instid1(VALU_DEP_3)
	v_lshl_add_u32 v163, 0x100000, v162, -1
	v_lshrrev_b32_e32 v164, v162, v161
	v_lshlrev_b32_e64 v166, v162, 0x80000
	s_delay_alu instid0(VALU_DEP_4) | instskip(NEXT) | instid1(VALU_DEP_4)
	v_add_nc_u32_e32 v162, v162, v14
	v_and_b32_e32 v161, v163, v161
	s_delay_alu instid0(VALU_DEP_4) | instskip(NEXT) | instid1(VALU_DEP_2)
	v_bfe_u32 v165, v164, 20, 1
	v_cmp_eq_u32_e64 s14, v161, v166
	s_delay_alu instid0(VALU_DEP_2) | instskip(NEXT) | instid1(VALU_DEP_1)
	v_add_nc_u32_e32 v163, -1, v165
	v_cndmask_b32_e64 v161, 0, v163, s14
	v_lshrrev_b32_e32 v163, 23, v164
	s_mov_b32 s14, exec_lo
	s_delay_alu instid0(VALU_DEP_2) | instskip(NEXT) | instid1(VALU_DEP_2)
	v_add_nc_u32_e32 v161, v161, v164
	v_xor_b32_e32 v163, 1, v163
	s_delay_alu instid0(VALU_DEP_2) | instskip(NEXT) | instid1(VALU_DEP_1)
	v_and_b32_e32 v14, 0xfffff, v161
	v_add_nc_u32_e32 v161, v14, v164
                                        ; implicit-def: $vgpr14
	s_delay_alu instid0(VALU_DEP_3)
	v_cmpx_ne_u32_e64 v162, v163
	s_xor_b32 s14, exec_lo, s14
; %bb.1832:                             ;   in Loop: Header=BB2_1629 Depth=3
	s_delay_alu instid0(VALU_DEP_2) | instskip(SKIP_2) | instid1(VALU_DEP_2)
	v_cmp_lt_u32_e32 vcc_lo, 0xffffff, v161
	v_sub_nc_u32_e32 v14, v162, v163
	v_cndmask_b32_e64 v162, 0, 1, vcc_lo
	v_add_co_ci_u32_e32 v14, vcc_lo, 0, v14, vcc_lo
	s_delay_alu instid0(VALU_DEP_2)
	v_lshrrev_b32_e32 v161, v162, v161
; %bb.1833:                             ;   in Loop: Header=BB2_1629 Depth=3
	s_and_not1_saveexec_b32 s14, s14
; %bb.1834:                             ;   in Loop: Header=BB2_1629 Depth=3
	s_delay_alu instid0(VALU_DEP_1)
	v_bfe_u32 v14, v161, 23, 1
; %bb.1835:                             ;   in Loop: Header=BB2_1629 Depth=3
	s_or_b32 exec_lo, exec_lo, s14
	v_lshrrev_b32_e32 v161, 20, v161
	s_delay_alu instid0(VALU_DEP_2) | instskip(SKIP_2) | instid1(VALU_DEP_2)
	v_cmp_gt_i32_e32 vcc_lo, 16, v14
	v_lshrrev_b32_e32 v160, 24, v160
	v_min_i32_e32 v162, 15, v14
	v_dual_cndmask_b32 v161, 7, v161 :: v_dual_and_b32 v160, 0x80, v160
	s_delay_alu instid0(VALU_DEP_2) | instskip(NEXT) | instid1(VALU_DEP_2)
	v_lshlrev_b32_e32 v162, 3, v162
	v_or_b32_e32 v14, v14, v161
	s_delay_alu instid0(VALU_DEP_1) | instskip(SKIP_1) | instid1(VALU_DEP_1)
	v_cmp_ne_u32_e32 vcc_lo, 0, v14
	v_and_b32_e32 v163, 7, v161
	v_or3_b32 v160, v162, v160, v163
	s_delay_alu instid0(VALU_DEP_1)
	v_cndmask_b32_e32 v14, 0, v160, vcc_lo
.LBB2_1836:                             ;   in Loop: Header=BB2_1629 Depth=3
	s_or_b32 exec_lo, exec_lo, s15
.LBB2_1837:                             ;   in Loop: Header=BB2_1629 Depth=3
	s_delay_alu instid0(SALU_CYCLE_1) | instskip(SKIP_3) | instid1(VALU_DEP_1)
	s_or_b32 exec_lo, exec_lo, s3
	v_lshrrev_b16 v161, 8, v15
	s_mov_b32 s3, 0
	s_mov_b32 s15, exec_lo
                                        ; implicit-def: $sgpr14
	v_cmpx_lt_i16_e64 0x7f, v161
	s_xor_b32 s15, exec_lo, s15
	s_cbranch_execnz .LBB2_1992
; %bb.1838:                             ;   in Loop: Header=BB2_1629 Depth=3
	s_or_saveexec_b32 s15, s15
	v_mov_b32_e32 v160, s14
	s_xor_b32 exec_lo, exec_lo, s15
	s_cbranch_execnz .LBB2_1995
.LBB2_1839:                             ;   in Loop: Header=BB2_1629 Depth=3
	s_or_b32 exec_lo, exec_lo, s15
	s_and_saveexec_b32 s14, s3
	s_cbranch_execz .LBB2_1841
.LBB2_1840:                             ;   in Loop: Header=BB2_1629 Depth=3
	v_and_b32_e32 v160, 0xffff, v161
	s_delay_alu instid0(VALU_DEP_1) | instskip(NEXT) | instid1(VALU_DEP_1)
	v_and_b32_e32 v162, 7, v160
	v_clz_i32_u32_e32 v163, v162
	s_delay_alu instid0(VALU_DEP_1) | instskip(NEXT) | instid1(VALU_DEP_1)
	v_min_u32_e32 v163, 32, v163
	v_subrev_nc_u32_e32 v164, 28, v163
	v_sub_nc_u32_e32 v163, 29, v163
	s_delay_alu instid0(VALU_DEP_2) | instskip(SKIP_1) | instid1(VALU_DEP_2)
	v_lshlrev_b32_e32 v164, v164, v160
	v_bfe_u32 v160, v160, 3, 4
	v_and_b32_e32 v164, 7, v164
	s_delay_alu instid0(VALU_DEP_2) | instskip(SKIP_1) | instid1(VALU_DEP_1)
	v_cmp_eq_u32_e32 vcc_lo, 0, v160
	v_dual_cndmask_b32 v160, v160, v163 :: v_dual_lshlrev_b32 v161, 24, v161
	v_dual_cndmask_b32 v162, v162, v164 :: v_dual_and_b32 v161, 0x80000000, v161
	s_delay_alu instid0(VALU_DEP_2) | instskip(NEXT) | instid1(VALU_DEP_2)
	v_lshl_add_u32 v160, v160, 23, 0x3b800000
	v_lshlrev_b32_e32 v162, 20, v162
	s_delay_alu instid0(VALU_DEP_1)
	v_or3_b32 v160, v161, v160, v162
.LBB2_1841:                             ;   in Loop: Header=BB2_1629 Depth=3
	s_or_b32 exec_lo, exec_lo, s14
	v_lshrrev_b16 v161, 8, v11
	s_mov_b32 s3, 0
	s_mov_b32 s15, exec_lo
                                        ; implicit-def: $sgpr14
	s_delay_alu instid0(VALU_DEP_1)
	v_cmpx_lt_i16_e64 0x7f, v161
	s_xor_b32 s15, exec_lo, s15
	s_cbranch_execnz .LBB2_1996
; %bb.1842:                             ;   in Loop: Header=BB2_1629 Depth=3
	s_or_saveexec_b32 s15, s15
	v_mov_b32_e32 v162, s14
	s_xor_b32 exec_lo, exec_lo, s15
	s_cbranch_execnz .LBB2_1999
.LBB2_1843:                             ;   in Loop: Header=BB2_1629 Depth=3
	s_or_b32 exec_lo, exec_lo, s15
	s_and_saveexec_b32 s14, s3
	s_cbranch_execz .LBB2_1845
.LBB2_1844:                             ;   in Loop: Header=BB2_1629 Depth=3
	v_and_b32_e32 v162, 0xffff, v161
	v_lshlrev_b32_e32 v161, 24, v161
	s_delay_alu instid0(VALU_DEP_2) | instskip(NEXT) | instid1(VALU_DEP_2)
	v_and_b32_e32 v163, 7, v162
	v_and_b32_e32 v161, 0x80000000, v161
	s_delay_alu instid0(VALU_DEP_2) | instskip(NEXT) | instid1(VALU_DEP_1)
	v_clz_i32_u32_e32 v164, v163
	v_min_u32_e32 v164, 32, v164
	s_delay_alu instid0(VALU_DEP_1) | instskip(SKIP_1) | instid1(VALU_DEP_2)
	v_subrev_nc_u32_e32 v165, 28, v164
	v_sub_nc_u32_e32 v164, 29, v164
	v_lshlrev_b32_e32 v165, v165, v162
	v_bfe_u32 v162, v162, 3, 4
	s_delay_alu instid0(VALU_DEP_2) | instskip(NEXT) | instid1(VALU_DEP_2)
	v_and_b32_e32 v165, 7, v165
	v_cmp_eq_u32_e32 vcc_lo, 0, v162
	s_delay_alu instid0(VALU_DEP_2) | instskip(NEXT) | instid1(VALU_DEP_1)
	v_dual_cndmask_b32 v162, v162, v164 :: v_dual_cndmask_b32 v163, v163, v165
	v_lshl_add_u32 v162, v162, 23, 0x3b800000
	s_delay_alu instid0(VALU_DEP_2) | instskip(NEXT) | instid1(VALU_DEP_1)
	v_lshlrev_b32_e32 v163, 20, v163
	v_or3_b32 v162, v161, v162, v163
.LBB2_1845:                             ;   in Loop: Header=BB2_1629 Depth=3
	s_or_b32 exec_lo, exec_lo, s14
	s_delay_alu instid0(VALU_DEP_1) | instskip(NEXT) | instid1(VALU_DEP_1)
	v_add_f32_e32 v161, v160, v162
	v_and_b32_e32 v160, 0x7f800000, v161
	s_delay_alu instid0(VALU_DEP_1)
	v_cmp_ne_u32_e32 vcc_lo, 0x7f800000, v160
	v_mov_b32_e32 v160, 0x8000
	s_and_saveexec_b32 s3, vcc_lo
	s_cbranch_execz .LBB2_1853
; %bb.1846:                             ;   in Loop: Header=BB2_1629 Depth=3
	v_mov_b32_e32 v160, 0
	s_mov_b32 s15, exec_lo
	v_cmpx_ne_u32_e32 0, v161
	s_cbranch_execz .LBB2_1852
; %bb.1847:                             ;   in Loop: Header=BB2_1629 Depth=3
	v_bfe_u32 v160, v161, 23, 8
	s_delay_alu instid0(VALU_DEP_1) | instskip(SKIP_1) | instid1(VALU_DEP_2)
	v_sub_nc_u32_e32 v163, 0x78, v160
	v_cmp_gt_u32_e32 vcc_lo, 0x79, v160
	v_dual_cndmask_b32 v163, 0, v163 :: v_dual_and_b32 v162, 0x7fffff, v161
	s_delay_alu instid0(VALU_DEP_1) | instskip(SKIP_2) | instid1(VALU_DEP_4)
	v_or_b32_e32 v164, 0x800000, v162
	v_cmp_eq_u32_e32 vcc_lo, 0, v160
	v_add_nc_u32_e32 v160, 0xffffff89, v160
	v_cndmask_b32_e64 v163, v163, 0x77, vcc_lo
	s_delay_alu instid0(VALU_DEP_2) | instskip(SKIP_1) | instid1(VALU_DEP_3)
	v_cndmask_b32_e64 v160, v160, 0xffffff8a, vcc_lo
	v_cndmask_b32_e32 v162, v164, v162, vcc_lo
	v_lshl_add_u32 v164, 0x100000, v163, -1
	v_lshlrev_b32_e64 v167, v163, 0x80000
	s_delay_alu instid0(VALU_DEP_3) | instskip(SKIP_1) | instid1(VALU_DEP_4)
	v_lshrrev_b32_e32 v165, v163, v162
	v_add_nc_u32_e32 v163, v163, v160
	v_and_b32_e32 v162, v164, v162
	s_delay_alu instid0(VALU_DEP_3) | instskip(NEXT) | instid1(VALU_DEP_2)
	v_bfe_u32 v166, v165, 20, 1
	v_cmp_eq_u32_e64 s14, v162, v167
	s_delay_alu instid0(VALU_DEP_2) | instskip(NEXT) | instid1(VALU_DEP_1)
	v_add_nc_u32_e32 v164, -1, v166
	v_cndmask_b32_e64 v162, 0, v164, s14
	v_lshrrev_b32_e32 v164, 23, v165
	s_mov_b32 s14, exec_lo
	s_delay_alu instid0(VALU_DEP_2) | instskip(NEXT) | instid1(VALU_DEP_2)
	v_add_nc_u32_e32 v162, v162, v165
	v_xor_b32_e32 v164, 1, v164
	s_delay_alu instid0(VALU_DEP_2) | instskip(NEXT) | instid1(VALU_DEP_1)
	v_and_b32_e32 v160, 0xfffff, v162
	v_add_nc_u32_e32 v162, v160, v165
                                        ; implicit-def: $vgpr160
	s_delay_alu instid0(VALU_DEP_3)
	v_cmpx_ne_u32_e64 v163, v164
	s_xor_b32 s14, exec_lo, s14
; %bb.1848:                             ;   in Loop: Header=BB2_1629 Depth=3
	s_delay_alu instid0(VALU_DEP_2) | instskip(SKIP_2) | instid1(VALU_DEP_2)
	v_cmp_lt_u32_e32 vcc_lo, 0xffffff, v162
	v_sub_nc_u32_e32 v160, v163, v164
	v_cndmask_b32_e64 v163, 0, 1, vcc_lo
	v_add_co_ci_u32_e32 v160, vcc_lo, 0, v160, vcc_lo
	s_delay_alu instid0(VALU_DEP_2)
	v_lshrrev_b32_e32 v162, v163, v162
; %bb.1849:                             ;   in Loop: Header=BB2_1629 Depth=3
	s_and_not1_saveexec_b32 s14, s14
; %bb.1850:                             ;   in Loop: Header=BB2_1629 Depth=3
	s_delay_alu instid0(VALU_DEP_1)
	v_bfe_u32 v160, v162, 23, 1
; %bb.1851:                             ;   in Loop: Header=BB2_1629 Depth=3
	s_or_b32 exec_lo, exec_lo, s14
	v_lshrrev_b32_e32 v162, 20, v162
	s_delay_alu instid0(VALU_DEP_2) | instskip(SKIP_2) | instid1(VALU_DEP_2)
	v_cmp_gt_i32_e32 vcc_lo, 16, v160
	v_min_i32_e32 v163, 15, v160
	v_lshrrev_b32_e32 v161, 24, v161
	v_dual_cndmask_b32 v162, 7, v162 :: v_dual_lshlrev_b32 v163, 3, v163
	s_delay_alu instid0(VALU_DEP_2) | instskip(NEXT) | instid1(VALU_DEP_2)
	v_and_b32_e32 v161, 0x80, v161
	v_or_b32_e32 v160, v160, v162
	v_and_b32_e32 v164, 7, v162
	s_delay_alu instid0(VALU_DEP_2) | instskip(SKIP_1) | instid1(VALU_DEP_1)
	v_cmp_ne_u32_e32 vcc_lo, 0, v160
	v_and_b32_e32 v163, 0xf8, v163
	v_or3_b32 v161, v161, v163, v164
	s_delay_alu instid0(VALU_DEP_1) | instskip(NEXT) | instid1(VALU_DEP_1)
	v_lshlrev_b32_e32 v161, 8, v161
	v_cndmask_b32_e32 v160, 0, v161, vcc_lo
.LBB2_1852:                             ;   in Loop: Header=BB2_1629 Depth=3
	s_or_b32 exec_lo, exec_lo, s15
.LBB2_1853:                             ;   in Loop: Header=BB2_1629 Depth=3
	s_delay_alu instid0(SALU_CYCLE_1) | instskip(SKIP_3) | instid1(VALU_DEP_1)
	s_or_b32 exec_lo, exec_lo, s3
	v_lshrrev_b32_e32 v162, 16, v15
	s_mov_b32 s3, 0
	s_mov_b32 s15, exec_lo
                                        ; implicit-def: $sgpr14
	v_and_b32_e32 v163, 0xff, v162
	s_delay_alu instid0(VALU_DEP_1)
	v_cmpx_lt_i16_e64 0x7f, v163
	s_xor_b32 s15, exec_lo, s15
	s_cbranch_execnz .LBB2_2000
; %bb.1854:                             ;   in Loop: Header=BB2_1629 Depth=3
	s_or_saveexec_b32 s15, s15
	v_mov_b32_e32 v161, s14
	s_xor_b32 exec_lo, exec_lo, s15
	s_cbranch_execnz .LBB2_2003
.LBB2_1855:                             ;   in Loop: Header=BB2_1629 Depth=3
	s_or_b32 exec_lo, exec_lo, s15
	s_and_saveexec_b32 s14, s3
	s_cbranch_execz .LBB2_1857
.LBB2_1856:                             ;   in Loop: Header=BB2_1629 Depth=3
	v_bfe_u32 v161, v15, 16, 3
	v_lshlrev_b32_e32 v165, 8, v15
	s_delay_alu instid0(VALU_DEP_2) | instskip(NEXT) | instid1(VALU_DEP_1)
	v_clz_i32_u32_e32 v163, v161
	v_min_u32_e32 v163, 32, v163
	s_delay_alu instid0(VALU_DEP_1) | instskip(SKIP_1) | instid1(VALU_DEP_2)
	v_subrev_nc_u32_e32 v164, 28, v163
	v_sub_nc_u32_e32 v163, 29, v163
	v_lshlrev_b32_e32 v162, v164, v162
	v_bfe_u32 v164, v15, 19, 4
	s_delay_alu instid0(VALU_DEP_1) | instskip(NEXT) | instid1(VALU_DEP_3)
	v_cmp_eq_u32_e32 vcc_lo, 0, v164
	v_dual_cndmask_b32 v163, v164, v163 :: v_dual_and_b32 v162, 7, v162
	s_delay_alu instid0(VALU_DEP_1) | instskip(NEXT) | instid1(VALU_DEP_2)
	v_dual_cndmask_b32 v161, v161, v162 :: v_dual_and_b32 v162, 0x80000000, v165
	v_lshl_add_u32 v163, v163, 23, 0x3b800000
	s_delay_alu instid0(VALU_DEP_2) | instskip(NEXT) | instid1(VALU_DEP_1)
	v_lshlrev_b32_e32 v161, 20, v161
	v_or3_b32 v161, v162, v163, v161
.LBB2_1857:                             ;   in Loop: Header=BB2_1629 Depth=3
	s_or_b32 exec_lo, exec_lo, s14
	v_lshrrev_b32_e32 v162, 16, v11
	s_mov_b32 s3, 0
	s_mov_b32 s15, exec_lo
                                        ; implicit-def: $sgpr14
	s_delay_alu instid0(VALU_DEP_1) | instskip(NEXT) | instid1(VALU_DEP_1)
	v_and_b32_e32 v164, 0xff, v162
	v_cmpx_lt_i16_e64 0x7f, v164
	s_xor_b32 s15, exec_lo, s15
	s_cbranch_execnz .LBB2_2004
; %bb.1858:                             ;   in Loop: Header=BB2_1629 Depth=3
	s_or_saveexec_b32 s15, s15
	v_mov_b32_e32 v163, s14
	s_xor_b32 exec_lo, exec_lo, s15
	s_cbranch_execnz .LBB2_2007
.LBB2_1859:                             ;   in Loop: Header=BB2_1629 Depth=3
	s_or_b32 exec_lo, exec_lo, s15
	s_and_saveexec_b32 s14, s3
	s_cbranch_execz .LBB2_1861
.LBB2_1860:                             ;   in Loop: Header=BB2_1629 Depth=3
	v_bfe_u32 v163, v11, 16, 3
	v_lshlrev_b32_e32 v166, 8, v11
	s_delay_alu instid0(VALU_DEP_2) | instskip(NEXT) | instid1(VALU_DEP_1)
	v_clz_i32_u32_e32 v164, v163
	v_min_u32_e32 v164, 32, v164
	s_delay_alu instid0(VALU_DEP_1) | instskip(SKIP_1) | instid1(VALU_DEP_2)
	v_subrev_nc_u32_e32 v165, 28, v164
	v_sub_nc_u32_e32 v164, 29, v164
	v_lshlrev_b32_e32 v162, v165, v162
	v_bfe_u32 v165, v11, 19, 4
	s_delay_alu instid0(VALU_DEP_2) | instskip(NEXT) | instid1(VALU_DEP_2)
	v_and_b32_e32 v162, 7, v162
	v_cmp_eq_u32_e32 vcc_lo, 0, v165
	v_cndmask_b32_e32 v164, v165, v164, vcc_lo
	s_delay_alu instid0(VALU_DEP_3) | instskip(SKIP_1) | instid1(VALU_DEP_3)
	v_cndmask_b32_e32 v162, v163, v162, vcc_lo
	v_and_b32_e32 v163, 0x80000000, v166
	v_lshl_add_u32 v164, v164, 23, 0x3b800000
	s_delay_alu instid0(VALU_DEP_3) | instskip(NEXT) | instid1(VALU_DEP_1)
	v_lshlrev_b32_e32 v162, 20, v162
	v_or3_b32 v163, v163, v164, v162
.LBB2_1861:                             ;   in Loop: Header=BB2_1629 Depth=3
	s_or_b32 exec_lo, exec_lo, s14
	s_delay_alu instid0(VALU_DEP_1) | instskip(NEXT) | instid1(VALU_DEP_1)
	v_add_f32_e32 v162, v161, v163
	v_and_b32_e32 v161, 0x7f800000, v162
	s_delay_alu instid0(VALU_DEP_1)
	v_cmp_ne_u32_e32 vcc_lo, 0x7f800000, v161
	v_mov_b32_e32 v161, 0x80
	s_and_saveexec_b32 s3, vcc_lo
	s_cbranch_execz .LBB2_1869
; %bb.1862:                             ;   in Loop: Header=BB2_1629 Depth=3
	v_mov_b32_e32 v161, 0
	s_mov_b32 s15, exec_lo
	v_cmpx_ne_u32_e32 0, v162
	s_cbranch_execz .LBB2_1868
; %bb.1863:                             ;   in Loop: Header=BB2_1629 Depth=3
	v_bfe_u32 v161, v162, 23, 8
	s_delay_alu instid0(VALU_DEP_1) | instskip(SKIP_1) | instid1(VALU_DEP_2)
	v_sub_nc_u32_e32 v164, 0x78, v161
	v_cmp_gt_u32_e32 vcc_lo, 0x79, v161
	v_dual_cndmask_b32 v164, 0, v164 :: v_dual_and_b32 v163, 0x7fffff, v162
	s_delay_alu instid0(VALU_DEP_1) | instskip(SKIP_2) | instid1(VALU_DEP_4)
	v_or_b32_e32 v165, 0x800000, v163
	v_cmp_eq_u32_e32 vcc_lo, 0, v161
	v_add_nc_u32_e32 v161, 0xffffff89, v161
	v_cndmask_b32_e64 v164, v164, 0x77, vcc_lo
	s_delay_alu instid0(VALU_DEP_2) | instskip(SKIP_1) | instid1(VALU_DEP_3)
	v_cndmask_b32_e64 v161, v161, 0xffffff8a, vcc_lo
	v_cndmask_b32_e32 v163, v165, v163, vcc_lo
	v_lshl_add_u32 v165, 0x100000, v164, -1
	v_lshlrev_b32_e64 v176, v164, 0x80000
	s_delay_alu instid0(VALU_DEP_3) | instskip(SKIP_1) | instid1(VALU_DEP_4)
	v_lshrrev_b32_e32 v166, v164, v163
	v_add_nc_u32_e32 v164, v164, v161
	v_and_b32_e32 v163, v165, v163
	s_delay_alu instid0(VALU_DEP_3) | instskip(NEXT) | instid1(VALU_DEP_2)
	v_bfe_u32 v167, v166, 20, 1
	v_cmp_eq_u32_e64 s14, v163, v176
	s_delay_alu instid0(VALU_DEP_2) | instskip(NEXT) | instid1(VALU_DEP_1)
	v_add_nc_u32_e32 v165, -1, v167
	v_cndmask_b32_e64 v163, 0, v165, s14
	v_lshrrev_b32_e32 v165, 23, v166
	s_mov_b32 s14, exec_lo
	s_delay_alu instid0(VALU_DEP_2) | instskip(NEXT) | instid1(VALU_DEP_2)
	v_add_nc_u32_e32 v163, v163, v166
	v_xor_b32_e32 v165, 1, v165
	s_delay_alu instid0(VALU_DEP_2) | instskip(NEXT) | instid1(VALU_DEP_1)
	v_and_b32_e32 v161, 0xfffff, v163
	v_add_nc_u32_e32 v163, v161, v166
                                        ; implicit-def: $vgpr161
	s_delay_alu instid0(VALU_DEP_3)
	v_cmpx_ne_u32_e64 v164, v165
	s_xor_b32 s14, exec_lo, s14
; %bb.1864:                             ;   in Loop: Header=BB2_1629 Depth=3
	s_delay_alu instid0(VALU_DEP_2) | instskip(SKIP_2) | instid1(VALU_DEP_2)
	v_cmp_lt_u32_e32 vcc_lo, 0xffffff, v163
	v_sub_nc_u32_e32 v161, v164, v165
	v_cndmask_b32_e64 v164, 0, 1, vcc_lo
	v_add_co_ci_u32_e32 v161, vcc_lo, 0, v161, vcc_lo
	s_delay_alu instid0(VALU_DEP_2)
	v_lshrrev_b32_e32 v163, v164, v163
; %bb.1865:                             ;   in Loop: Header=BB2_1629 Depth=3
	s_and_not1_saveexec_b32 s14, s14
; %bb.1866:                             ;   in Loop: Header=BB2_1629 Depth=3
	s_delay_alu instid0(VALU_DEP_1)
	v_bfe_u32 v161, v163, 23, 1
; %bb.1867:                             ;   in Loop: Header=BB2_1629 Depth=3
	s_or_b32 exec_lo, exec_lo, s14
	v_lshrrev_b32_e32 v163, 20, v163
	s_delay_alu instid0(VALU_DEP_2) | instskip(SKIP_2) | instid1(VALU_DEP_2)
	v_cmp_gt_i32_e32 vcc_lo, 16, v161
	v_min_i32_e32 v164, 15, v161
	v_lshrrev_b32_e32 v162, 24, v162
	v_dual_cndmask_b32 v163, 7, v163 :: v_dual_lshlrev_b32 v164, 3, v164
	s_delay_alu instid0(VALU_DEP_2) | instskip(NEXT) | instid1(VALU_DEP_2)
	v_and_b32_e32 v162, 0x80, v162
	v_or_b32_e32 v161, v161, v163
	v_and_b32_e32 v165, 7, v163
	s_delay_alu instid0(VALU_DEP_2) | instskip(SKIP_1) | instid1(VALU_DEP_1)
	v_cmp_ne_u32_e32 vcc_lo, 0, v161
	v_and_b32_e32 v164, 0xf8, v164
	v_or3_b32 v162, v164, v162, v165
	s_delay_alu instid0(VALU_DEP_1)
	v_cndmask_b32_e32 v161, 0, v162, vcc_lo
.LBB2_1868:                             ;   in Loop: Header=BB2_1629 Depth=3
	s_or_b32 exec_lo, exec_lo, s15
.LBB2_1869:                             ;   in Loop: Header=BB2_1629 Depth=3
	s_delay_alu instid0(SALU_CYCLE_1) | instskip(SKIP_3) | instid1(VALU_DEP_1)
	s_or_b32 exec_lo, exec_lo, s3
	v_lshrrev_b32_e32 v163, 24, v15
	s_mov_b32 s3, 0
	s_mov_b32 s15, exec_lo
                                        ; implicit-def: $sgpr14
	v_cmpx_lt_i16_e64 0x7f, v163
	s_xor_b32 s15, exec_lo, s15
	s_cbranch_execnz .LBB2_2008
; %bb.1870:                             ;   in Loop: Header=BB2_1629 Depth=3
	s_or_saveexec_b32 s15, s15
	v_mov_b32_e32 v162, s14
	s_xor_b32 exec_lo, exec_lo, s15
	s_cbranch_execnz .LBB2_2011
.LBB2_1871:                             ;   in Loop: Header=BB2_1629 Depth=3
	s_or_b32 exec_lo, exec_lo, s15
	s_and_saveexec_b32 s14, s3
	s_cbranch_execz .LBB2_1873
.LBB2_1872:                             ;   in Loop: Header=BB2_1629 Depth=3
	v_bfe_u32 v162, v15, 24, 3
	s_delay_alu instid0(VALU_DEP_1) | instskip(NEXT) | instid1(VALU_DEP_1)
	v_clz_i32_u32_e32 v164, v162
	v_min_u32_e32 v164, 32, v164
	s_delay_alu instid0(VALU_DEP_1) | instskip(SKIP_1) | instid1(VALU_DEP_2)
	v_subrev_nc_u32_e32 v165, 28, v164
	v_sub_nc_u32_e32 v164, 29, v164
	v_lshlrev_b32_e32 v163, v165, v163
	v_bfe_u32 v165, v15, 27, 4
	v_and_b32_e32 v15, 0x80000000, v15
	s_delay_alu instid0(VALU_DEP_2) | instskip(NEXT) | instid1(VALU_DEP_4)
	v_cmp_eq_u32_e32 vcc_lo, 0, v165
	v_dual_cndmask_b32 v164, v165, v164 :: v_dual_and_b32 v163, 7, v163
	s_delay_alu instid0(VALU_DEP_1) | instskip(NEXT) | instid1(VALU_DEP_2)
	v_cndmask_b32_e32 v162, v162, v163, vcc_lo
	v_lshl_add_u32 v163, v164, 23, 0x3b800000
	s_delay_alu instid0(VALU_DEP_2) | instskip(NEXT) | instid1(VALU_DEP_1)
	v_lshlrev_b32_e32 v162, 20, v162
	v_or3_b32 v162, v15, v163, v162
.LBB2_1873:                             ;   in Loop: Header=BB2_1629 Depth=3
	s_or_b32 exec_lo, exec_lo, s14
	v_lshrrev_b32_e32 v15, 24, v11
	s_mov_b32 s3, 0
	s_mov_b32 s15, exec_lo
                                        ; implicit-def: $sgpr14
	s_delay_alu instid0(VALU_DEP_1)
	v_cmpx_lt_i16_e32 0x7f, v15
	s_xor_b32 s15, exec_lo, s15
	s_cbranch_execnz .LBB2_2012
; %bb.1874:                             ;   in Loop: Header=BB2_1629 Depth=3
	s_or_saveexec_b32 s15, s15
	v_mov_b32_e32 v163, s14
	s_xor_b32 exec_lo, exec_lo, s15
	s_cbranch_execnz .LBB2_2015
.LBB2_1875:                             ;   in Loop: Header=BB2_1629 Depth=3
	s_or_b32 exec_lo, exec_lo, s15
	s_and_saveexec_b32 s14, s3
	s_cbranch_execz .LBB2_1877
.LBB2_1876:                             ;   in Loop: Header=BB2_1629 Depth=3
	v_bfe_u32 v163, v11, 24, 3
	s_delay_alu instid0(VALU_DEP_1) | instskip(NEXT) | instid1(VALU_DEP_1)
	v_clz_i32_u32_e32 v164, v163
	v_min_u32_e32 v164, 32, v164
	s_delay_alu instid0(VALU_DEP_1) | instskip(SKIP_1) | instid1(VALU_DEP_2)
	v_subrev_nc_u32_e32 v165, 28, v164
	v_sub_nc_u32_e32 v164, 29, v164
	v_lshlrev_b32_e32 v15, v165, v15
	v_bfe_u32 v165, v11, 27, 4
	v_and_b32_e32 v11, 0x80000000, v11
	s_delay_alu instid0(VALU_DEP_2) | instskip(NEXT) | instid1(VALU_DEP_4)
	v_cmp_eq_u32_e32 vcc_lo, 0, v165
	v_dual_cndmask_b32 v164, v165, v164 :: v_dual_and_b32 v15, 7, v15
	s_delay_alu instid0(VALU_DEP_1) | instskip(NEXT) | instid1(VALU_DEP_2)
	v_cndmask_b32_e32 v15, v163, v15, vcc_lo
	v_lshl_add_u32 v163, v164, 23, 0x3b800000
	s_delay_alu instid0(VALU_DEP_2) | instskip(NEXT) | instid1(VALU_DEP_1)
	v_lshlrev_b32_e32 v15, 20, v15
	v_or3_b32 v163, v11, v163, v15
.LBB2_1877:                             ;   in Loop: Header=BB2_1629 Depth=3
	s_or_b32 exec_lo, exec_lo, s14
	s_delay_alu instid0(VALU_DEP_1) | instskip(NEXT) | instid1(VALU_DEP_1)
	v_add_f32_e32 v11, v162, v163
	v_and_b32_e32 v15, 0x7f800000, v11
	s_delay_alu instid0(VALU_DEP_1)
	v_cmp_ne_u32_e32 vcc_lo, 0x7f800000, v15
	v_mov_b32_e32 v15, 0x8000
	s_and_saveexec_b32 s3, vcc_lo
	s_cbranch_execz .LBB2_1885
; %bb.1878:                             ;   in Loop: Header=BB2_1629 Depth=3
	v_mov_b32_e32 v15, 0
	s_mov_b32 s15, exec_lo
	v_cmpx_ne_u32_e32 0, v11
	s_cbranch_execz .LBB2_1884
; %bb.1879:                             ;   in Loop: Header=BB2_1629 Depth=3
	v_bfe_u32 v15, v11, 23, 8
	v_and_b32_e32 v162, 0x7fffff, v11
	s_delay_alu instid0(VALU_DEP_2) | instskip(SKIP_1) | instid1(VALU_DEP_3)
	v_sub_nc_u32_e32 v163, 0x78, v15
	v_cmp_gt_u32_e32 vcc_lo, 0x79, v15
	v_or_b32_e32 v164, 0x800000, v162
	s_delay_alu instid0(VALU_DEP_3) | instskip(SKIP_1) | instid1(VALU_DEP_3)
	v_cndmask_b32_e32 v163, 0, v163, vcc_lo
	v_cmp_eq_u32_e32 vcc_lo, 0, v15
	v_dual_cndmask_b32 v162, v164, v162 :: v_dual_add_nc_u32 v15, 0xffffff89, v15
	s_delay_alu instid0(VALU_DEP_3) | instskip(NEXT) | instid1(VALU_DEP_2)
	v_cndmask_b32_e64 v163, v163, 0x77, vcc_lo
	v_cndmask_b32_e64 v15, v15, 0xffffff8a, vcc_lo
	s_delay_alu instid0(VALU_DEP_2) | instskip(SKIP_2) | instid1(VALU_DEP_4)
	v_lshrrev_b32_e32 v165, v163, v162
	v_lshl_add_u32 v164, 0x100000, v163, -1
	v_lshlrev_b32_e64 v167, v163, 0x80000
	v_add_nc_u32_e32 v163, v163, v15
	s_delay_alu instid0(VALU_DEP_4) | instskip(NEXT) | instid1(VALU_DEP_4)
	v_bfe_u32 v166, v165, 20, 1
	v_and_b32_e32 v162, v164, v162
	s_delay_alu instid0(VALU_DEP_2) | instskip(NEXT) | instid1(VALU_DEP_2)
	v_add_nc_u32_e32 v164, -1, v166
	v_cmp_eq_u32_e64 s14, v162, v167
	s_delay_alu instid0(VALU_DEP_1) | instskip(SKIP_2) | instid1(VALU_DEP_2)
	v_cndmask_b32_e64 v162, 0, v164, s14
	v_lshrrev_b32_e32 v164, 23, v165
	s_mov_b32 s14, exec_lo
	v_add_nc_u32_e32 v162, v162, v165
	s_delay_alu instid0(VALU_DEP_2) | instskip(NEXT) | instid1(VALU_DEP_2)
	v_xor_b32_e32 v164, 1, v164
	v_and_b32_e32 v15, 0xfffff, v162
	s_delay_alu instid0(VALU_DEP_1) | instskip(NEXT) | instid1(VALU_DEP_3)
	v_add_nc_u32_e32 v162, v15, v165
                                        ; implicit-def: $vgpr15
	v_cmpx_ne_u32_e64 v163, v164
	s_xor_b32 s14, exec_lo, s14
; %bb.1880:                             ;   in Loop: Header=BB2_1629 Depth=3
	s_delay_alu instid0(VALU_DEP_2) | instskip(SKIP_2) | instid1(VALU_DEP_2)
	v_cmp_lt_u32_e32 vcc_lo, 0xffffff, v162
	v_sub_nc_u32_e32 v15, v163, v164
	v_cndmask_b32_e64 v163, 0, 1, vcc_lo
	v_add_co_ci_u32_e32 v15, vcc_lo, 0, v15, vcc_lo
	s_delay_alu instid0(VALU_DEP_2)
	v_lshrrev_b32_e32 v162, v163, v162
; %bb.1881:                             ;   in Loop: Header=BB2_1629 Depth=3
	s_and_not1_saveexec_b32 s14, s14
; %bb.1882:                             ;   in Loop: Header=BB2_1629 Depth=3
	s_delay_alu instid0(VALU_DEP_1)
	v_bfe_u32 v15, v162, 23, 1
; %bb.1883:                             ;   in Loop: Header=BB2_1629 Depth=3
	s_or_b32 exec_lo, exec_lo, s14
	v_lshrrev_b32_e32 v162, 20, v162
	s_delay_alu instid0(VALU_DEP_2) | instskip(SKIP_2) | instid1(VALU_DEP_2)
	v_cmp_gt_i32_e32 vcc_lo, 16, v15
	v_min_i32_e32 v163, 15, v15
	v_lshrrev_b32_e32 v11, 24, v11
	v_dual_cndmask_b32 v162, 7, v162 :: v_dual_lshlrev_b32 v163, 3, v163
	s_delay_alu instid0(VALU_DEP_2) | instskip(NEXT) | instid1(VALU_DEP_2)
	v_and_b32_e32 v11, 0x80, v11
	v_or_b32_e32 v15, v15, v162
	s_delay_alu instid0(VALU_DEP_3) | instskip(NEXT) | instid1(VALU_DEP_2)
	v_and_b32_e32 v163, 0xf8, v163
	v_cmp_ne_u32_e32 vcc_lo, 0, v15
	v_and_b32_e32 v164, 7, v162
	s_delay_alu instid0(VALU_DEP_1) | instskip(NEXT) | instid1(VALU_DEP_1)
	v_or3_b32 v11, v11, v163, v164
	v_lshlrev_b32_e32 v11, 8, v11
	s_delay_alu instid0(VALU_DEP_1)
	v_cndmask_b32_e32 v15, 0, v11, vcc_lo
.LBB2_1884:                             ;   in Loop: Header=BB2_1629 Depth=3
	s_or_b32 exec_lo, exec_lo, s15
.LBB2_1885:                             ;   in Loop: Header=BB2_1629 Depth=3
	s_delay_alu instid0(SALU_CYCLE_1)
	s_or_b32 exec_lo, exec_lo, s3
	v_or_b32_e32 v9, v9, v149
	v_and_b32_e32 v11, 0xff, v147
	v_lshlrev_b32_e32 v146, 8, v146
	v_and_b32_e32 v147, 0xff, v151
	v_lshlrev_b32_e32 v149, 8, v150
	v_or_b32_e32 v15, v15, v161
	v_and_b32_e32 v12, 0xff, v12
	v_lshlrev_b32_e32 v8, 24, v8
	v_lshlrev_b32_e32 v9, 16, v9
	;; [unrolled: 1-line block ×3, first 2 shown]
	v_perm_b32 v145, v146, v145, 0xc0c0500
	v_lshlrev_b32_e32 v10, 24, v10
	v_lshlrev_b32_e32 v146, 16, v147
	v_perm_b32 v13, v149, v13, 0xc0c0500
	v_and_b32_e32 v14, 0xff, v14
	v_lshlrev_b32_e32 v15, 16, v15
	v_or3_b32 v9, v148, v12, v9
	v_or3_b32 v8, v8, v11, v145
	;; [unrolled: 1-line block ×3, first 2 shown]
	s_mov_b64 s[14:15], 0
	v_or3_b32 v11, v160, v14, v15
	s_mov_b32 s3, -1
.LBB2_1886:                             ;   Parent Loop BB2_51 Depth=1
                                        ;     Parent Loop BB2_1542 Depth=2
                                        ;       Parent Loop BB2_1629 Depth=3
                                        ; =>      This Inner Loop Header: Depth=4
	s_cmp_eq_u32 s14, 0
	v_cndmask_b32_e64 v14, 0, 1, s3
	s_cselect_b32 vcc_lo, -1, 0
	s_cmp_eq_u32 s14, 1
	s_mov_b32 s3, 0
	s_cselect_b32 s14, -1, 0
	s_delay_alu instid0(SALU_CYCLE_1) | instskip(SKIP_1) | instid1(VALU_DEP_2)
	v_cndmask_b32_e64 v12, v64, v66, s14
	v_cndmask_b32_e64 v13, v65, v67, s14
	v_add_co_u32 v15, s15, 0x200, v12
	s_delay_alu instid0(VALU_DEP_1) | instskip(SKIP_1) | instid1(VALU_DEP_3)
	v_add_co_ci_u32_e64 v145, s15, 0, v13, s15
	v_cmp_ne_u32_e64 s15, 1, v14
	v_cndmask_b32_e64 v66, v66, v15, s14
	v_cndmask_b32_e32 v64, v64, v15, vcc_lo
	s_delay_alu instid0(VALU_DEP_4)
	v_cndmask_b32_e64 v67, v67, v145, s14
	v_cndmask_b32_e32 v65, v65, v145, vcc_lo
	s_and_b32 vcc_lo, exec_lo, s15
	s_mov_b64 s[14:15], 1
	global_store_b128 v[12:13], v[8:11], off glc slc dlc
	s_cbranch_vccz .LBB2_1886
; %bb.1887:                             ;   in Loop: Header=BB2_1629 Depth=3
	v_add_co_u32 v68, vcc_lo, v68, v100
	v_add_co_ci_u32_e32 v69, vcc_lo, v69, v101, vcc_lo
	v_add_co_u32 v70, vcc_lo, v70, v100
	v_sub_nc_u32_e32 v134, v134, v86
	v_add_co_ci_u32_e32 v71, vcc_lo, v71, v101, vcc_lo
	v_add_co_u32 v64, vcc_lo, v64, v87
	v_add_co_ci_u32_e32 v65, vcc_lo, v65, v98, vcc_lo
	s_delay_alu instid0(VALU_DEP_4) | instskip(SKIP_1) | instid1(VALU_DEP_1)
	v_cmp_gt_i32_e32 vcc_lo, 16, v134
	v_add_co_u32 v66, s14, v66, v87
	v_add_co_ci_u32_e64 v67, s14, v67, v98, s14
	v_sub_nc_u32_e32 v144, v144, v83
	s_or_b32 s17, vcc_lo, s17
	s_delay_alu instid0(SALU_CYCLE_1)
	s_and_not1_b32 exec_lo, exec_lo, s17
	s_cbranch_execnz .LBB2_1629
	s_branch .LBB2_2016
.LBB2_1888:                             ;   in Loop: Header=BB2_1629 Depth=3
	s_mov_b32 s3, -1
	s_mov_b32 s24, exec_lo
                                        ; implicit-def: $sgpr14
	v_cmpx_eq_u16_e64 0x80, v146
; %bb.1889:                             ;   in Loop: Header=BB2_1629 Depth=3
	s_mov_b32 s14, 0x7f800001
	s_xor_b32 s3, exec_lo, -1
; %bb.1890:                             ;   in Loop: Header=BB2_1629 Depth=3
	s_or_b32 exec_lo, exec_lo, s24
	s_delay_alu instid0(SALU_CYCLE_1)
	s_and_b32 s3, s3, exec_lo
                                        ; implicit-def: $vgpr146
	s_or_saveexec_b32 s15, s15
	v_mov_b32_e32 v145, s14
	s_xor_b32 exec_lo, exec_lo, s15
	s_cbranch_execz .LBB2_1631
.LBB2_1891:                             ;   in Loop: Header=BB2_1629 Depth=3
	v_cmp_ne_u16_e64 vcc_lo, 0, v146
	v_mov_b32_e32 v145, 0
	s_and_not1_b32 s3, s3, exec_lo
	s_delay_alu instid0(VALU_DEP_2) | instskip(NEXT) | instid1(SALU_CYCLE_1)
	s_and_b32 s14, vcc_lo, exec_lo
	s_or_b32 s3, s3, s14
	s_or_b32 exec_lo, exec_lo, s15
	s_and_saveexec_b32 s14, s3
	s_cbranch_execnz .LBB2_1632
	s_branch .LBB2_1633
.LBB2_1892:                             ;   in Loop: Header=BB2_1629 Depth=3
	s_mov_b32 s3, -1
	s_mov_b32 s24, exec_lo
                                        ; implicit-def: $sgpr14
	v_cmpx_eq_u16_e64 0x80, v147
; %bb.1893:                             ;   in Loop: Header=BB2_1629 Depth=3
	s_mov_b32 s14, 0x7f800001
	s_xor_b32 s3, exec_lo, -1
; %bb.1894:                             ;   in Loop: Header=BB2_1629 Depth=3
	s_or_b32 exec_lo, exec_lo, s24
	s_delay_alu instid0(SALU_CYCLE_1)
	s_and_b32 s3, s3, exec_lo
                                        ; implicit-def: $vgpr147
	s_or_saveexec_b32 s15, s15
	v_mov_b32_e32 v146, s14
	s_xor_b32 exec_lo, exec_lo, s15
	s_cbranch_execz .LBB2_1635
.LBB2_1895:                             ;   in Loop: Header=BB2_1629 Depth=3
	v_cmp_ne_u16_e64 vcc_lo, 0, v147
	v_mov_b32_e32 v146, 0
	s_and_not1_b32 s3, s3, exec_lo
	s_delay_alu instid0(VALU_DEP_2) | instskip(NEXT) | instid1(SALU_CYCLE_1)
	s_and_b32 s14, vcc_lo, exec_lo
	s_or_b32 s3, s3, s14
	s_or_b32 exec_lo, exec_lo, s15
	s_and_saveexec_b32 s14, s3
	s_cbranch_execnz .LBB2_1636
	s_branch .LBB2_1637
.LBB2_1896:                             ;   in Loop: Header=BB2_1629 Depth=3
	s_mov_b32 s3, -1
	s_mov_b32 s24, exec_lo
                                        ; implicit-def: $sgpr14
	v_cmpx_eq_u16_e64 0x80, v147
; %bb.1897:                             ;   in Loop: Header=BB2_1629 Depth=3
	s_mov_b32 s14, 0x7f800001
	s_xor_b32 s3, exec_lo, -1
; %bb.1898:                             ;   in Loop: Header=BB2_1629 Depth=3
	s_or_b32 exec_lo, exec_lo, s24
	s_delay_alu instid0(SALU_CYCLE_1)
	s_and_b32 s3, s3, exec_lo
	s_or_saveexec_b32 s15, s15
	v_mov_b32_e32 v146, s14
	s_xor_b32 exec_lo, exec_lo, s15
	s_cbranch_execz .LBB2_1647
.LBB2_1899:                             ;   in Loop: Header=BB2_1629 Depth=3
	v_cmp_ne_u16_e64 vcc_lo, 0, v147
	v_mov_b32_e32 v146, 0
	s_and_not1_b32 s3, s3, exec_lo
	s_delay_alu instid0(VALU_DEP_2) | instskip(NEXT) | instid1(SALU_CYCLE_1)
	s_and_b32 s14, vcc_lo, exec_lo
	s_or_b32 s3, s3, s14
	s_or_b32 exec_lo, exec_lo, s15
	s_and_saveexec_b32 s14, s3
	s_cbranch_execnz .LBB2_1648
	s_branch .LBB2_1649
.LBB2_1900:                             ;   in Loop: Header=BB2_1629 Depth=3
	s_mov_b32 s3, -1
	s_mov_b32 s24, exec_lo
                                        ; implicit-def: $sgpr14
	v_cmpx_eq_u16_e64 0x80, v147
; %bb.1901:                             ;   in Loop: Header=BB2_1629 Depth=3
	s_mov_b32 s14, 0x7f800001
	s_xor_b32 s3, exec_lo, -1
; %bb.1902:                             ;   in Loop: Header=BB2_1629 Depth=3
	s_or_b32 exec_lo, exec_lo, s24
	s_delay_alu instid0(SALU_CYCLE_1)
	s_and_b32 s3, s3, exec_lo
	s_or_saveexec_b32 s15, s15
	v_mov_b32_e32 v148, s14
	s_xor_b32 exec_lo, exec_lo, s15
	s_cbranch_execz .LBB2_1651
.LBB2_1903:                             ;   in Loop: Header=BB2_1629 Depth=3
	v_cmp_ne_u16_e64 vcc_lo, 0, v147
	v_mov_b32_e32 v148, 0
	s_and_not1_b32 s3, s3, exec_lo
	s_delay_alu instid0(VALU_DEP_2) | instskip(NEXT) | instid1(SALU_CYCLE_1)
	s_and_b32 s14, vcc_lo, exec_lo
	s_or_b32 s3, s3, s14
	s_or_b32 exec_lo, exec_lo, s15
	s_and_saveexec_b32 s14, s3
	s_cbranch_execnz .LBB2_1652
	s_branch .LBB2_1653
.LBB2_1904:                             ;   in Loop: Header=BB2_1629 Depth=3
	s_mov_b32 s3, -1
	s_mov_b32 s24, exec_lo
                                        ; implicit-def: $sgpr14
	v_cmpx_eq_u16_e64 0x80, v149
; %bb.1905:                             ;   in Loop: Header=BB2_1629 Depth=3
	s_mov_b32 s14, 0x7f800001
	s_xor_b32 s3, exec_lo, -1
; %bb.1906:                             ;   in Loop: Header=BB2_1629 Depth=3
	s_or_b32 exec_lo, exec_lo, s24
	s_delay_alu instid0(SALU_CYCLE_1)
	s_and_b32 s3, s3, exec_lo
                                        ; implicit-def: $vgpr149
	s_or_saveexec_b32 s15, s15
	v_mov_b32_e32 v147, s14
	s_xor_b32 exec_lo, exec_lo, s15
	s_cbranch_execz .LBB2_1663
.LBB2_1907:                             ;   in Loop: Header=BB2_1629 Depth=3
	v_cmp_ne_u16_e64 vcc_lo, 0, v149
	v_mov_b32_e32 v147, 0
	s_and_not1_b32 s3, s3, exec_lo
	s_delay_alu instid0(VALU_DEP_2) | instskip(NEXT) | instid1(SALU_CYCLE_1)
	s_and_b32 s14, vcc_lo, exec_lo
	s_or_b32 s3, s3, s14
	s_or_b32 exec_lo, exec_lo, s15
	s_and_saveexec_b32 s14, s3
	s_cbranch_execnz .LBB2_1664
	s_branch .LBB2_1665
.LBB2_1908:                             ;   in Loop: Header=BB2_1629 Depth=3
	s_mov_b32 s3, -1
	s_mov_b32 s24, exec_lo
                                        ; implicit-def: $sgpr14
	v_cmpx_eq_u16_e64 0x80, v150
; %bb.1909:                             ;   in Loop: Header=BB2_1629 Depth=3
	s_mov_b32 s14, 0x7f800001
	s_xor_b32 s3, exec_lo, -1
; %bb.1910:                             ;   in Loop: Header=BB2_1629 Depth=3
	s_or_b32 exec_lo, exec_lo, s24
	s_delay_alu instid0(SALU_CYCLE_1)
	s_and_b32 s3, s3, exec_lo
                                        ; implicit-def: $vgpr150
	s_or_saveexec_b32 s15, s15
	v_mov_b32_e32 v149, s14
	s_xor_b32 exec_lo, exec_lo, s15
	s_cbranch_execz .LBB2_1667
.LBB2_1911:                             ;   in Loop: Header=BB2_1629 Depth=3
	v_cmp_ne_u16_e64 vcc_lo, 0, v150
	v_mov_b32_e32 v149, 0
	s_and_not1_b32 s3, s3, exec_lo
	s_delay_alu instid0(VALU_DEP_2) | instskip(NEXT) | instid1(SALU_CYCLE_1)
	s_and_b32 s14, vcc_lo, exec_lo
	s_or_b32 s3, s3, s14
	s_or_b32 exec_lo, exec_lo, s15
	s_and_saveexec_b32 s14, s3
	s_cbranch_execnz .LBB2_1668
	s_branch .LBB2_1669
.LBB2_1912:                             ;   in Loop: Header=BB2_1629 Depth=3
	s_mov_b32 s3, -1
	s_mov_b32 s24, exec_lo
                                        ; implicit-def: $sgpr14
	v_cmpx_eq_u16_e64 0x80, v149
; %bb.1913:                             ;   in Loop: Header=BB2_1629 Depth=3
	s_mov_b32 s14, 0x7f800001
	s_xor_b32 s3, exec_lo, -1
; %bb.1914:                             ;   in Loop: Header=BB2_1629 Depth=3
	s_or_b32 exec_lo, exec_lo, s24
	s_delay_alu instid0(SALU_CYCLE_1)
	s_and_b32 s3, s3, exec_lo
	s_or_saveexec_b32 s15, s15
	v_mov_b32_e32 v148, s14
	s_xor_b32 exec_lo, exec_lo, s15
	s_cbranch_execz .LBB2_1679
.LBB2_1915:                             ;   in Loop: Header=BB2_1629 Depth=3
	v_cmp_ne_u16_e64 vcc_lo, 0, v149
	v_mov_b32_e32 v148, 0
	s_and_not1_b32 s3, s3, exec_lo
	s_delay_alu instid0(VALU_DEP_2) | instskip(NEXT) | instid1(SALU_CYCLE_1)
	s_and_b32 s14, vcc_lo, exec_lo
	s_or_b32 s3, s3, s14
	s_or_b32 exec_lo, exec_lo, s15
	s_and_saveexec_b32 s14, s3
	s_cbranch_execnz .LBB2_1680
	s_branch .LBB2_1681
.LBB2_1916:                             ;   in Loop: Header=BB2_1629 Depth=3
	s_mov_b32 s3, -1
	s_mov_b32 s24, exec_lo
                                        ; implicit-def: $sgpr14
	v_cmpx_eq_u16_e32 0x80, v12
; %bb.1917:                             ;   in Loop: Header=BB2_1629 Depth=3
	s_mov_b32 s14, 0x7f800001
	s_xor_b32 s3, exec_lo, -1
; %bb.1918:                             ;   in Loop: Header=BB2_1629 Depth=3
	s_or_b32 exec_lo, exec_lo, s24
	s_delay_alu instid0(SALU_CYCLE_1)
	s_and_b32 s3, s3, exec_lo
	s_or_saveexec_b32 s15, s15
	v_mov_b32_e32 v149, s14
	s_xor_b32 exec_lo, exec_lo, s15
	s_cbranch_execz .LBB2_1683
.LBB2_1919:                             ;   in Loop: Header=BB2_1629 Depth=3
	v_cmp_ne_u16_e32 vcc_lo, 0, v12
	v_mov_b32_e32 v149, 0
	s_and_not1_b32 s3, s3, exec_lo
	s_and_b32 s14, vcc_lo, exec_lo
	s_delay_alu instid0(SALU_CYCLE_1)
	s_or_b32 s3, s3, s14
	s_or_b32 exec_lo, exec_lo, s15
	s_and_saveexec_b32 s14, s3
	s_cbranch_execnz .LBB2_1684
	s_branch .LBB2_1685
.LBB2_1920:                             ;   in Loop: Header=BB2_1629 Depth=3
	s_mov_b32 s3, -1
	s_mov_b32 s24, exec_lo
                                        ; implicit-def: $sgpr14
	v_cmpx_eq_u16_e64 0x80, v148
; %bb.1921:                             ;   in Loop: Header=BB2_1629 Depth=3
	s_mov_b32 s14, 0x7f800001
	s_xor_b32 s3, exec_lo, -1
; %bb.1922:                             ;   in Loop: Header=BB2_1629 Depth=3
	s_or_b32 exec_lo, exec_lo, s24
	s_delay_alu instid0(SALU_CYCLE_1)
	s_and_b32 s3, s3, exec_lo
                                        ; implicit-def: $vgpr148
	s_or_saveexec_b32 s15, s15
	v_mov_b32_e32 v12, s14
	s_xor_b32 exec_lo, exec_lo, s15
	s_cbranch_execz .LBB2_1695
.LBB2_1923:                             ;   in Loop: Header=BB2_1629 Depth=3
	v_cmp_ne_u16_e64 vcc_lo, 0, v148
	v_mov_b32_e32 v12, 0
	s_and_not1_b32 s3, s3, exec_lo
	s_delay_alu instid0(VALU_DEP_2) | instskip(NEXT) | instid1(SALU_CYCLE_1)
	s_and_b32 s14, vcc_lo, exec_lo
	s_or_b32 s3, s3, s14
	s_or_b32 exec_lo, exec_lo, s15
	s_and_saveexec_b32 s14, s3
	s_cbranch_execnz .LBB2_1696
	s_branch .LBB2_1697
.LBB2_1924:                             ;   in Loop: Header=BB2_1629 Depth=3
	s_mov_b32 s3, -1
	s_mov_b32 s24, exec_lo
                                        ; implicit-def: $sgpr14
	v_cmpx_eq_u16_e64 0x80, v149
; %bb.1925:                             ;   in Loop: Header=BB2_1629 Depth=3
	s_mov_b32 s14, 0x7f800001
	s_xor_b32 s3, exec_lo, -1
; %bb.1926:                             ;   in Loop: Header=BB2_1629 Depth=3
	s_or_b32 exec_lo, exec_lo, s24
	s_delay_alu instid0(SALU_CYCLE_1)
	s_and_b32 s3, s3, exec_lo
                                        ; implicit-def: $vgpr149
	s_or_saveexec_b32 s15, s15
	v_mov_b32_e32 v148, s14
	s_xor_b32 exec_lo, exec_lo, s15
	s_cbranch_execz .LBB2_1699
.LBB2_1927:                             ;   in Loop: Header=BB2_1629 Depth=3
	v_cmp_ne_u16_e64 vcc_lo, 0, v149
	v_mov_b32_e32 v148, 0
	s_and_not1_b32 s3, s3, exec_lo
	s_delay_alu instid0(VALU_DEP_2) | instskip(NEXT) | instid1(SALU_CYCLE_1)
	s_and_b32 s14, vcc_lo, exec_lo
	s_or_b32 s3, s3, s14
	s_or_b32 exec_lo, exec_lo, s15
	s_and_saveexec_b32 s14, s3
	s_cbranch_execnz .LBB2_1700
	s_branch .LBB2_1701
.LBB2_1928:                             ;   in Loop: Header=BB2_1629 Depth=3
	s_mov_b32 s3, -1
	s_mov_b32 s24, exec_lo
                                        ; implicit-def: $sgpr14
	v_cmpx_eq_u16_e64 0x80, v149
; %bb.1929:                             ;   in Loop: Header=BB2_1629 Depth=3
	s_mov_b32 s14, 0x7f800001
	s_xor_b32 s3, exec_lo, -1
; %bb.1930:                             ;   in Loop: Header=BB2_1629 Depth=3
	s_or_b32 exec_lo, exec_lo, s24
	s_delay_alu instid0(SALU_CYCLE_1)
	s_and_b32 s3, s3, exec_lo
	s_or_saveexec_b32 s15, s15
	v_mov_b32_e32 v148, s14
	s_xor_b32 exec_lo, exec_lo, s15
	s_cbranch_execz .LBB2_1711
.LBB2_1931:                             ;   in Loop: Header=BB2_1629 Depth=3
	v_cmp_ne_u16_e64 vcc_lo, 0, v149
	v_mov_b32_e32 v148, 0
	s_and_not1_b32 s3, s3, exec_lo
	s_delay_alu instid0(VALU_DEP_2) | instskip(NEXT) | instid1(SALU_CYCLE_1)
	s_and_b32 s14, vcc_lo, exec_lo
	s_or_b32 s3, s3, s14
	s_or_b32 exec_lo, exec_lo, s15
	s_and_saveexec_b32 s14, s3
	s_cbranch_execnz .LBB2_1712
	s_branch .LBB2_1713
.LBB2_1932:                             ;   in Loop: Header=BB2_1629 Depth=3
	s_mov_b32 s3, -1
	s_mov_b32 s24, exec_lo
                                        ; implicit-def: $sgpr14
	v_cmpx_eq_u16_e64 0x80, v149
; %bb.1933:                             ;   in Loop: Header=BB2_1629 Depth=3
	s_mov_b32 s14, 0x7f800001
	s_xor_b32 s3, exec_lo, -1
; %bb.1934:                             ;   in Loop: Header=BB2_1629 Depth=3
	s_or_b32 exec_lo, exec_lo, s24
	s_delay_alu instid0(SALU_CYCLE_1)
	s_and_b32 s3, s3, exec_lo
	s_or_saveexec_b32 s15, s15
	v_mov_b32_e32 v150, s14
	s_xor_b32 exec_lo, exec_lo, s15
	s_cbranch_execz .LBB2_1715
.LBB2_1935:                             ;   in Loop: Header=BB2_1629 Depth=3
	v_cmp_ne_u16_e64 vcc_lo, 0, v149
	v_mov_b32_e32 v150, 0
	s_and_not1_b32 s3, s3, exec_lo
	s_delay_alu instid0(VALU_DEP_2) | instskip(NEXT) | instid1(SALU_CYCLE_1)
	s_and_b32 s14, vcc_lo, exec_lo
	s_or_b32 s3, s3, s14
	s_or_b32 exec_lo, exec_lo, s15
	s_and_saveexec_b32 s14, s3
	s_cbranch_execnz .LBB2_1716
	s_branch .LBB2_1717
.LBB2_1936:                             ;   in Loop: Header=BB2_1629 Depth=3
	s_mov_b32 s3, -1
	s_mov_b32 s24, exec_lo
                                        ; implicit-def: $sgpr14
	v_cmpx_eq_u16_e64 0x80, v151
; %bb.1937:                             ;   in Loop: Header=BB2_1629 Depth=3
	s_mov_b32 s14, 0x7f800001
	s_xor_b32 s3, exec_lo, -1
; %bb.1938:                             ;   in Loop: Header=BB2_1629 Depth=3
	s_or_b32 exec_lo, exec_lo, s24
	s_delay_alu instid0(SALU_CYCLE_1)
	s_and_b32 s3, s3, exec_lo
                                        ; implicit-def: $vgpr151
	s_or_saveexec_b32 s15, s15
	v_mov_b32_e32 v149, s14
	s_xor_b32 exec_lo, exec_lo, s15
	s_cbranch_execz .LBB2_1727
.LBB2_1939:                             ;   in Loop: Header=BB2_1629 Depth=3
	v_cmp_ne_u16_e64 vcc_lo, 0, v151
	v_mov_b32_e32 v149, 0
	s_and_not1_b32 s3, s3, exec_lo
	s_delay_alu instid0(VALU_DEP_2) | instskip(NEXT) | instid1(SALU_CYCLE_1)
	s_and_b32 s14, vcc_lo, exec_lo
	s_or_b32 s3, s3, s14
	s_or_b32 exec_lo, exec_lo, s15
	s_and_saveexec_b32 s14, s3
	s_cbranch_execnz .LBB2_1728
	s_branch .LBB2_1729
.LBB2_1940:                             ;   in Loop: Header=BB2_1629 Depth=3
	s_mov_b32 s3, -1
	s_mov_b32 s24, exec_lo
                                        ; implicit-def: $sgpr14
	v_cmpx_eq_u16_e64 0x80, v160
; %bb.1941:                             ;   in Loop: Header=BB2_1629 Depth=3
	s_mov_b32 s14, 0x7f800001
	s_xor_b32 s3, exec_lo, -1
; %bb.1942:                             ;   in Loop: Header=BB2_1629 Depth=3
	s_or_b32 exec_lo, exec_lo, s24
	s_delay_alu instid0(SALU_CYCLE_1)
	s_and_b32 s3, s3, exec_lo
                                        ; implicit-def: $vgpr160
	s_or_saveexec_b32 s15, s15
	v_mov_b32_e32 v151, s14
	s_xor_b32 exec_lo, exec_lo, s15
	s_cbranch_execz .LBB2_1731
.LBB2_1943:                             ;   in Loop: Header=BB2_1629 Depth=3
	v_cmp_ne_u16_e64 vcc_lo, 0, v160
	v_mov_b32_e32 v151, 0
	s_and_not1_b32 s3, s3, exec_lo
	s_delay_alu instid0(VALU_DEP_2) | instskip(NEXT) | instid1(SALU_CYCLE_1)
	s_and_b32 s14, vcc_lo, exec_lo
	s_or_b32 s3, s3, s14
	s_or_b32 exec_lo, exec_lo, s15
	s_and_saveexec_b32 s14, s3
	s_cbranch_execnz .LBB2_1732
	s_branch .LBB2_1733
.LBB2_1944:                             ;   in Loop: Header=BB2_1629 Depth=3
	s_mov_b32 s3, -1
	s_mov_b32 s24, exec_lo
                                        ; implicit-def: $sgpr14
	v_cmpx_eq_u16_e64 0x80, v151
; %bb.1945:                             ;   in Loop: Header=BB2_1629 Depth=3
	s_mov_b32 s14, 0x7f800001
	s_xor_b32 s3, exec_lo, -1
; %bb.1946:                             ;   in Loop: Header=BB2_1629 Depth=3
	s_or_b32 exec_lo, exec_lo, s24
	s_delay_alu instid0(SALU_CYCLE_1)
	s_and_b32 s3, s3, exec_lo
	s_or_saveexec_b32 s15, s15
	v_mov_b32_e32 v150, s14
	s_xor_b32 exec_lo, exec_lo, s15
	s_cbranch_execz .LBB2_1743
.LBB2_1947:                             ;   in Loop: Header=BB2_1629 Depth=3
	v_cmp_ne_u16_e64 vcc_lo, 0, v151
	v_mov_b32_e32 v150, 0
	s_and_not1_b32 s3, s3, exec_lo
	s_delay_alu instid0(VALU_DEP_2) | instskip(NEXT) | instid1(SALU_CYCLE_1)
	s_and_b32 s14, vcc_lo, exec_lo
	s_or_b32 s3, s3, s14
	s_or_b32 exec_lo, exec_lo, s15
	s_and_saveexec_b32 s14, s3
	s_cbranch_execnz .LBB2_1744
	s_branch .LBB2_1745
.LBB2_1948:                             ;   in Loop: Header=BB2_1629 Depth=3
	s_mov_b32 s3, -1
	s_mov_b32 s24, exec_lo
                                        ; implicit-def: $sgpr14
	v_cmpx_eq_u16_e32 0x80, v13
; %bb.1949:                             ;   in Loop: Header=BB2_1629 Depth=3
	s_mov_b32 s14, 0x7f800001
	s_xor_b32 s3, exec_lo, -1
; %bb.1950:                             ;   in Loop: Header=BB2_1629 Depth=3
	s_or_b32 exec_lo, exec_lo, s24
	s_delay_alu instid0(SALU_CYCLE_1)
	s_and_b32 s3, s3, exec_lo
	s_or_saveexec_b32 s15, s15
	v_mov_b32_e32 v151, s14
	s_xor_b32 exec_lo, exec_lo, s15
	s_cbranch_execz .LBB2_1747
.LBB2_1951:                             ;   in Loop: Header=BB2_1629 Depth=3
	v_cmp_ne_u16_e32 vcc_lo, 0, v13
	v_mov_b32_e32 v151, 0
	s_and_not1_b32 s3, s3, exec_lo
	s_and_b32 s14, vcc_lo, exec_lo
	s_delay_alu instid0(SALU_CYCLE_1)
	s_or_b32 s3, s3, s14
	s_or_b32 exec_lo, exec_lo, s15
	s_and_saveexec_b32 s14, s3
	s_cbranch_execnz .LBB2_1748
	s_branch .LBB2_1749
.LBB2_1952:                             ;   in Loop: Header=BB2_1629 Depth=3
	s_mov_b32 s3, -1
	s_mov_b32 s24, exec_lo
                                        ; implicit-def: $sgpr14
	v_cmpx_eq_u16_e64 0x80, v150
; %bb.1953:                             ;   in Loop: Header=BB2_1629 Depth=3
	s_mov_b32 s14, 0x7f800001
	s_xor_b32 s3, exec_lo, -1
; %bb.1954:                             ;   in Loop: Header=BB2_1629 Depth=3
	s_or_b32 exec_lo, exec_lo, s24
	s_delay_alu instid0(SALU_CYCLE_1)
	s_and_b32 s3, s3, exec_lo
                                        ; implicit-def: $vgpr150
	s_or_saveexec_b32 s15, s15
	v_mov_b32_e32 v13, s14
	s_xor_b32 exec_lo, exec_lo, s15
	s_cbranch_execz .LBB2_1759
.LBB2_1955:                             ;   in Loop: Header=BB2_1629 Depth=3
	v_cmp_ne_u16_e64 vcc_lo, 0, v150
	v_mov_b32_e32 v13, 0
	s_and_not1_b32 s3, s3, exec_lo
	s_delay_alu instid0(VALU_DEP_2) | instskip(NEXT) | instid1(SALU_CYCLE_1)
	s_and_b32 s14, vcc_lo, exec_lo
	s_or_b32 s3, s3, s14
	s_or_b32 exec_lo, exec_lo, s15
	s_and_saveexec_b32 s14, s3
	s_cbranch_execnz .LBB2_1760
	s_branch .LBB2_1761
.LBB2_1956:                             ;   in Loop: Header=BB2_1629 Depth=3
	s_mov_b32 s3, -1
	s_mov_b32 s24, exec_lo
                                        ; implicit-def: $sgpr14
	v_cmpx_eq_u16_e64 0x80, v151
; %bb.1957:                             ;   in Loop: Header=BB2_1629 Depth=3
	s_mov_b32 s14, 0x7f800001
	s_xor_b32 s3, exec_lo, -1
; %bb.1958:                             ;   in Loop: Header=BB2_1629 Depth=3
	s_or_b32 exec_lo, exec_lo, s24
	s_delay_alu instid0(SALU_CYCLE_1)
	s_and_b32 s3, s3, exec_lo
                                        ; implicit-def: $vgpr151
	s_or_saveexec_b32 s15, s15
	v_mov_b32_e32 v150, s14
	s_xor_b32 exec_lo, exec_lo, s15
	s_cbranch_execz .LBB2_1763
.LBB2_1959:                             ;   in Loop: Header=BB2_1629 Depth=3
	v_cmp_ne_u16_e64 vcc_lo, 0, v151
	v_mov_b32_e32 v150, 0
	s_and_not1_b32 s3, s3, exec_lo
	s_delay_alu instid0(VALU_DEP_2) | instskip(NEXT) | instid1(SALU_CYCLE_1)
	s_and_b32 s14, vcc_lo, exec_lo
	s_or_b32 s3, s3, s14
	s_or_b32 exec_lo, exec_lo, s15
	s_and_saveexec_b32 s14, s3
	s_cbranch_execnz .LBB2_1764
	s_branch .LBB2_1765
.LBB2_1960:                             ;   in Loop: Header=BB2_1629 Depth=3
	s_mov_b32 s3, -1
	s_mov_b32 s24, exec_lo
                                        ; implicit-def: $sgpr14
	v_cmpx_eq_u16_e64 0x80, v151
; %bb.1961:                             ;   in Loop: Header=BB2_1629 Depth=3
	s_mov_b32 s14, 0x7f800001
	s_xor_b32 s3, exec_lo, -1
; %bb.1962:                             ;   in Loop: Header=BB2_1629 Depth=3
	s_or_b32 exec_lo, exec_lo, s24
	s_delay_alu instid0(SALU_CYCLE_1)
	s_and_b32 s3, s3, exec_lo
	s_or_saveexec_b32 s15, s15
	v_mov_b32_e32 v150, s14
	s_xor_b32 exec_lo, exec_lo, s15
	s_cbranch_execz .LBB2_1775
.LBB2_1963:                             ;   in Loop: Header=BB2_1629 Depth=3
	v_cmp_ne_u16_e64 vcc_lo, 0, v151
	v_mov_b32_e32 v150, 0
	s_and_not1_b32 s3, s3, exec_lo
	s_delay_alu instid0(VALU_DEP_2) | instskip(NEXT) | instid1(SALU_CYCLE_1)
	s_and_b32 s14, vcc_lo, exec_lo
	s_or_b32 s3, s3, s14
	s_or_b32 exec_lo, exec_lo, s15
	s_and_saveexec_b32 s14, s3
	s_cbranch_execnz .LBB2_1776
	s_branch .LBB2_1777
.LBB2_1964:                             ;   in Loop: Header=BB2_1629 Depth=3
	s_mov_b32 s3, -1
	s_mov_b32 s24, exec_lo
                                        ; implicit-def: $sgpr14
	v_cmpx_eq_u16_e64 0x80, v151
; %bb.1965:                             ;   in Loop: Header=BB2_1629 Depth=3
	s_mov_b32 s14, 0x7f800001
	s_xor_b32 s3, exec_lo, -1
; %bb.1966:                             ;   in Loop: Header=BB2_1629 Depth=3
	s_or_b32 exec_lo, exec_lo, s24
	s_delay_alu instid0(SALU_CYCLE_1)
	s_and_b32 s3, s3, exec_lo
	s_or_saveexec_b32 s15, s15
	v_mov_b32_e32 v160, s14
	s_xor_b32 exec_lo, exec_lo, s15
	s_cbranch_execz .LBB2_1779
.LBB2_1967:                             ;   in Loop: Header=BB2_1629 Depth=3
	v_cmp_ne_u16_e64 vcc_lo, 0, v151
	v_mov_b32_e32 v160, 0
	s_and_not1_b32 s3, s3, exec_lo
	s_delay_alu instid0(VALU_DEP_2) | instskip(NEXT) | instid1(SALU_CYCLE_1)
	s_and_b32 s14, vcc_lo, exec_lo
	s_or_b32 s3, s3, s14
	s_or_b32 exec_lo, exec_lo, s15
	s_and_saveexec_b32 s14, s3
	s_cbranch_execnz .LBB2_1780
	s_branch .LBB2_1781
.LBB2_1968:                             ;   in Loop: Header=BB2_1629 Depth=3
	s_mov_b32 s3, -1
	s_mov_b32 s24, exec_lo
                                        ; implicit-def: $sgpr14
	v_cmpx_eq_u16_e64 0x80, v161
; %bb.1969:                             ;   in Loop: Header=BB2_1629 Depth=3
	s_mov_b32 s14, 0x7f800001
	s_xor_b32 s3, exec_lo, -1
; %bb.1970:                             ;   in Loop: Header=BB2_1629 Depth=3
	s_or_b32 exec_lo, exec_lo, s24
	s_delay_alu instid0(SALU_CYCLE_1)
	s_and_b32 s3, s3, exec_lo
                                        ; implicit-def: $vgpr161
	s_or_saveexec_b32 s15, s15
	v_mov_b32_e32 v151, s14
	s_xor_b32 exec_lo, exec_lo, s15
	s_cbranch_execz .LBB2_1791
.LBB2_1971:                             ;   in Loop: Header=BB2_1629 Depth=3
	v_cmp_ne_u16_e64 vcc_lo, 0, v161
	v_mov_b32_e32 v151, 0
	s_and_not1_b32 s3, s3, exec_lo
	s_delay_alu instid0(VALU_DEP_2) | instskip(NEXT) | instid1(SALU_CYCLE_1)
	s_and_b32 s14, vcc_lo, exec_lo
	s_or_b32 s3, s3, s14
	s_or_b32 exec_lo, exec_lo, s15
	s_and_saveexec_b32 s14, s3
	s_cbranch_execnz .LBB2_1792
	s_branch .LBB2_1793
.LBB2_1972:                             ;   in Loop: Header=BB2_1629 Depth=3
	s_mov_b32 s3, -1
	s_mov_b32 s24, exec_lo
                                        ; implicit-def: $sgpr14
	v_cmpx_eq_u16_e64 0x80, v162
; %bb.1973:                             ;   in Loop: Header=BB2_1629 Depth=3
	s_mov_b32 s14, 0x7f800001
	s_xor_b32 s3, exec_lo, -1
; %bb.1974:                             ;   in Loop: Header=BB2_1629 Depth=3
	s_or_b32 exec_lo, exec_lo, s24
	s_delay_alu instid0(SALU_CYCLE_1)
	s_and_b32 s3, s3, exec_lo
                                        ; implicit-def: $vgpr162
	s_or_saveexec_b32 s15, s15
	v_mov_b32_e32 v161, s14
	s_xor_b32 exec_lo, exec_lo, s15
	s_cbranch_execz .LBB2_1795
.LBB2_1975:                             ;   in Loop: Header=BB2_1629 Depth=3
	v_cmp_ne_u16_e64 vcc_lo, 0, v162
	v_mov_b32_e32 v161, 0
	s_and_not1_b32 s3, s3, exec_lo
	s_delay_alu instid0(VALU_DEP_2) | instskip(NEXT) | instid1(SALU_CYCLE_1)
	s_and_b32 s14, vcc_lo, exec_lo
	s_or_b32 s3, s3, s14
	s_or_b32 exec_lo, exec_lo, s15
	s_and_saveexec_b32 s14, s3
	s_cbranch_execnz .LBB2_1796
	s_branch .LBB2_1797
.LBB2_1976:                             ;   in Loop: Header=BB2_1629 Depth=3
	s_mov_b32 s3, -1
	s_mov_b32 s24, exec_lo
                                        ; implicit-def: $sgpr14
	v_cmpx_eq_u16_e64 0x80, v161
; %bb.1977:                             ;   in Loop: Header=BB2_1629 Depth=3
	s_mov_b32 s14, 0x7f800001
	s_xor_b32 s3, exec_lo, -1
; %bb.1978:                             ;   in Loop: Header=BB2_1629 Depth=3
	s_or_b32 exec_lo, exec_lo, s24
	s_delay_alu instid0(SALU_CYCLE_1)
	s_and_b32 s3, s3, exec_lo
	s_or_saveexec_b32 s15, s15
	v_mov_b32_e32 v160, s14
	s_xor_b32 exec_lo, exec_lo, s15
	s_cbranch_execz .LBB2_1807
.LBB2_1979:                             ;   in Loop: Header=BB2_1629 Depth=3
	v_cmp_ne_u16_e64 vcc_lo, 0, v161
	v_mov_b32_e32 v160, 0
	s_and_not1_b32 s3, s3, exec_lo
	s_delay_alu instid0(VALU_DEP_2) | instskip(NEXT) | instid1(SALU_CYCLE_1)
	s_and_b32 s14, vcc_lo, exec_lo
	s_or_b32 s3, s3, s14
	s_or_b32 exec_lo, exec_lo, s15
	s_and_saveexec_b32 s14, s3
	s_cbranch_execnz .LBB2_1808
	s_branch .LBB2_1809
.LBB2_1980:                             ;   in Loop: Header=BB2_1629 Depth=3
	s_mov_b32 s3, -1
	s_mov_b32 s24, exec_lo
                                        ; implicit-def: $sgpr14
	v_cmpx_eq_u16_e32 0x80, v14
; %bb.1981:                             ;   in Loop: Header=BB2_1629 Depth=3
	s_mov_b32 s14, 0x7f800001
	s_xor_b32 s3, exec_lo, -1
; %bb.1982:                             ;   in Loop: Header=BB2_1629 Depth=3
	s_or_b32 exec_lo, exec_lo, s24
	s_delay_alu instid0(SALU_CYCLE_1)
	s_and_b32 s3, s3, exec_lo
	s_or_saveexec_b32 s15, s15
	v_mov_b32_e32 v161, s14
	s_xor_b32 exec_lo, exec_lo, s15
	s_cbranch_execz .LBB2_1811
.LBB2_1983:                             ;   in Loop: Header=BB2_1629 Depth=3
	v_cmp_ne_u16_e32 vcc_lo, 0, v14
	v_mov_b32_e32 v161, 0
	s_and_not1_b32 s3, s3, exec_lo
	s_and_b32 s14, vcc_lo, exec_lo
	s_delay_alu instid0(SALU_CYCLE_1)
	s_or_b32 s3, s3, s14
	s_or_b32 exec_lo, exec_lo, s15
	s_and_saveexec_b32 s14, s3
	s_cbranch_execnz .LBB2_1812
	s_branch .LBB2_1813
.LBB2_1984:                             ;   in Loop: Header=BB2_1629 Depth=3
	s_mov_b32 s3, -1
	s_mov_b32 s24, exec_lo
                                        ; implicit-def: $sgpr14
	v_cmpx_eq_u16_e64 0x80, v160
; %bb.1985:                             ;   in Loop: Header=BB2_1629 Depth=3
	s_mov_b32 s14, 0x7f800001
	s_xor_b32 s3, exec_lo, -1
; %bb.1986:                             ;   in Loop: Header=BB2_1629 Depth=3
	s_or_b32 exec_lo, exec_lo, s24
	s_delay_alu instid0(SALU_CYCLE_1)
	s_and_b32 s3, s3, exec_lo
                                        ; implicit-def: $vgpr160
	s_or_saveexec_b32 s15, s15
	v_mov_b32_e32 v14, s14
	s_xor_b32 exec_lo, exec_lo, s15
	s_cbranch_execz .LBB2_1823
.LBB2_1987:                             ;   in Loop: Header=BB2_1629 Depth=3
	v_cmp_ne_u16_e64 vcc_lo, 0, v160
	v_mov_b32_e32 v14, 0
	s_and_not1_b32 s3, s3, exec_lo
	s_delay_alu instid0(VALU_DEP_2) | instskip(NEXT) | instid1(SALU_CYCLE_1)
	s_and_b32 s14, vcc_lo, exec_lo
	s_or_b32 s3, s3, s14
	s_or_b32 exec_lo, exec_lo, s15
	s_and_saveexec_b32 s14, s3
	s_cbranch_execnz .LBB2_1824
	s_branch .LBB2_1825
.LBB2_1988:                             ;   in Loop: Header=BB2_1629 Depth=3
	s_mov_b32 s3, -1
	s_mov_b32 s24, exec_lo
                                        ; implicit-def: $sgpr14
	v_cmpx_eq_u16_e64 0x80, v161
; %bb.1989:                             ;   in Loop: Header=BB2_1629 Depth=3
	s_mov_b32 s14, 0x7f800001
	s_xor_b32 s3, exec_lo, -1
; %bb.1990:                             ;   in Loop: Header=BB2_1629 Depth=3
	s_or_b32 exec_lo, exec_lo, s24
	s_delay_alu instid0(SALU_CYCLE_1)
	s_and_b32 s3, s3, exec_lo
                                        ; implicit-def: $vgpr161
	s_or_saveexec_b32 s15, s15
	v_mov_b32_e32 v160, s14
	s_xor_b32 exec_lo, exec_lo, s15
	s_cbranch_execz .LBB2_1827
.LBB2_1991:                             ;   in Loop: Header=BB2_1629 Depth=3
	v_cmp_ne_u16_e64 vcc_lo, 0, v161
	v_mov_b32_e32 v160, 0
	s_and_not1_b32 s3, s3, exec_lo
	s_delay_alu instid0(VALU_DEP_2) | instskip(NEXT) | instid1(SALU_CYCLE_1)
	s_and_b32 s14, vcc_lo, exec_lo
	s_or_b32 s3, s3, s14
	s_or_b32 exec_lo, exec_lo, s15
	s_and_saveexec_b32 s14, s3
	s_cbranch_execnz .LBB2_1828
	s_branch .LBB2_1829
.LBB2_1992:                             ;   in Loop: Header=BB2_1629 Depth=3
	s_mov_b32 s3, -1
	s_mov_b32 s24, exec_lo
                                        ; implicit-def: $sgpr14
	v_cmpx_eq_u16_e64 0x80, v161
; %bb.1993:                             ;   in Loop: Header=BB2_1629 Depth=3
	s_mov_b32 s14, 0x7f800001
	s_xor_b32 s3, exec_lo, -1
; %bb.1994:                             ;   in Loop: Header=BB2_1629 Depth=3
	s_or_b32 exec_lo, exec_lo, s24
	s_delay_alu instid0(SALU_CYCLE_1)
	s_and_b32 s3, s3, exec_lo
	s_or_saveexec_b32 s15, s15
	v_mov_b32_e32 v160, s14
	s_xor_b32 exec_lo, exec_lo, s15
	s_cbranch_execz .LBB2_1839
.LBB2_1995:                             ;   in Loop: Header=BB2_1629 Depth=3
	v_cmp_ne_u16_e64 vcc_lo, 0, v161
	v_mov_b32_e32 v160, 0
	s_and_not1_b32 s3, s3, exec_lo
	s_delay_alu instid0(VALU_DEP_2) | instskip(NEXT) | instid1(SALU_CYCLE_1)
	s_and_b32 s14, vcc_lo, exec_lo
	s_or_b32 s3, s3, s14
	s_or_b32 exec_lo, exec_lo, s15
	s_and_saveexec_b32 s14, s3
	s_cbranch_execnz .LBB2_1840
	s_branch .LBB2_1841
.LBB2_1996:                             ;   in Loop: Header=BB2_1629 Depth=3
	s_mov_b32 s3, -1
	s_mov_b32 s24, exec_lo
                                        ; implicit-def: $sgpr14
	v_cmpx_eq_u16_e64 0x80, v161
; %bb.1997:                             ;   in Loop: Header=BB2_1629 Depth=3
	s_mov_b32 s14, 0x7f800001
	s_xor_b32 s3, exec_lo, -1
; %bb.1998:                             ;   in Loop: Header=BB2_1629 Depth=3
	s_or_b32 exec_lo, exec_lo, s24
	s_delay_alu instid0(SALU_CYCLE_1)
	s_and_b32 s3, s3, exec_lo
	s_or_saveexec_b32 s15, s15
	v_mov_b32_e32 v162, s14
	s_xor_b32 exec_lo, exec_lo, s15
	s_cbranch_execz .LBB2_1843
.LBB2_1999:                             ;   in Loop: Header=BB2_1629 Depth=3
	v_cmp_ne_u16_e64 vcc_lo, 0, v161
	v_mov_b32_e32 v162, 0
	s_and_not1_b32 s3, s3, exec_lo
	s_delay_alu instid0(VALU_DEP_2) | instskip(NEXT) | instid1(SALU_CYCLE_1)
	s_and_b32 s14, vcc_lo, exec_lo
	s_or_b32 s3, s3, s14
	s_or_b32 exec_lo, exec_lo, s15
	s_and_saveexec_b32 s14, s3
	s_cbranch_execnz .LBB2_1844
	s_branch .LBB2_1845
.LBB2_2000:                             ;   in Loop: Header=BB2_1629 Depth=3
	s_mov_b32 s3, -1
	s_mov_b32 s24, exec_lo
                                        ; implicit-def: $sgpr14
	v_cmpx_eq_u16_e64 0x80, v163
; %bb.2001:                             ;   in Loop: Header=BB2_1629 Depth=3
	s_mov_b32 s14, 0x7f800001
	s_xor_b32 s3, exec_lo, -1
; %bb.2002:                             ;   in Loop: Header=BB2_1629 Depth=3
	s_or_b32 exec_lo, exec_lo, s24
	s_delay_alu instid0(SALU_CYCLE_1)
	s_and_b32 s3, s3, exec_lo
                                        ; implicit-def: $vgpr163
	s_or_saveexec_b32 s15, s15
	v_mov_b32_e32 v161, s14
	s_xor_b32 exec_lo, exec_lo, s15
	s_cbranch_execz .LBB2_1855
.LBB2_2003:                             ;   in Loop: Header=BB2_1629 Depth=3
	v_cmp_ne_u16_e64 vcc_lo, 0, v163
	v_mov_b32_e32 v161, 0
	s_and_not1_b32 s3, s3, exec_lo
	s_delay_alu instid0(VALU_DEP_2) | instskip(NEXT) | instid1(SALU_CYCLE_1)
	s_and_b32 s14, vcc_lo, exec_lo
	s_or_b32 s3, s3, s14
	s_or_b32 exec_lo, exec_lo, s15
	s_and_saveexec_b32 s14, s3
	s_cbranch_execnz .LBB2_1856
	s_branch .LBB2_1857
.LBB2_2004:                             ;   in Loop: Header=BB2_1629 Depth=3
	s_mov_b32 s3, -1
	s_mov_b32 s24, exec_lo
                                        ; implicit-def: $sgpr14
	v_cmpx_eq_u16_e64 0x80, v164
; %bb.2005:                             ;   in Loop: Header=BB2_1629 Depth=3
	s_mov_b32 s14, 0x7f800001
	s_xor_b32 s3, exec_lo, -1
; %bb.2006:                             ;   in Loop: Header=BB2_1629 Depth=3
	s_or_b32 exec_lo, exec_lo, s24
	s_delay_alu instid0(SALU_CYCLE_1)
	s_and_b32 s3, s3, exec_lo
                                        ; implicit-def: $vgpr164
	s_or_saveexec_b32 s15, s15
	v_mov_b32_e32 v163, s14
	s_xor_b32 exec_lo, exec_lo, s15
	s_cbranch_execz .LBB2_1859
.LBB2_2007:                             ;   in Loop: Header=BB2_1629 Depth=3
	v_cmp_ne_u16_e64 vcc_lo, 0, v164
	v_mov_b32_e32 v163, 0
	s_and_not1_b32 s3, s3, exec_lo
	s_delay_alu instid0(VALU_DEP_2) | instskip(NEXT) | instid1(SALU_CYCLE_1)
	s_and_b32 s14, vcc_lo, exec_lo
	s_or_b32 s3, s3, s14
	s_or_b32 exec_lo, exec_lo, s15
	s_and_saveexec_b32 s14, s3
	s_cbranch_execnz .LBB2_1860
	s_branch .LBB2_1861
.LBB2_2008:                             ;   in Loop: Header=BB2_1629 Depth=3
	s_mov_b32 s3, -1
	s_mov_b32 s24, exec_lo
                                        ; implicit-def: $sgpr14
	v_cmpx_eq_u16_e64 0x80, v163
; %bb.2009:                             ;   in Loop: Header=BB2_1629 Depth=3
	s_mov_b32 s14, 0x7f800001
	s_xor_b32 s3, exec_lo, -1
; %bb.2010:                             ;   in Loop: Header=BB2_1629 Depth=3
	s_or_b32 exec_lo, exec_lo, s24
	s_delay_alu instid0(SALU_CYCLE_1)
	s_and_b32 s3, s3, exec_lo
	s_or_saveexec_b32 s15, s15
	v_mov_b32_e32 v162, s14
	s_xor_b32 exec_lo, exec_lo, s15
	s_cbranch_execz .LBB2_1871
.LBB2_2011:                             ;   in Loop: Header=BB2_1629 Depth=3
	v_cmp_ne_u16_e64 vcc_lo, 0, v163
	v_mov_b32_e32 v162, 0
	s_and_not1_b32 s3, s3, exec_lo
	s_delay_alu instid0(VALU_DEP_2) | instskip(NEXT) | instid1(SALU_CYCLE_1)
	s_and_b32 s14, vcc_lo, exec_lo
	s_or_b32 s3, s3, s14
	s_or_b32 exec_lo, exec_lo, s15
	s_and_saveexec_b32 s14, s3
	s_cbranch_execnz .LBB2_1872
	s_branch .LBB2_1873
.LBB2_2012:                             ;   in Loop: Header=BB2_1629 Depth=3
	s_mov_b32 s3, -1
	s_mov_b32 s24, exec_lo
                                        ; implicit-def: $sgpr14
	v_cmpx_eq_u16_e32 0x80, v15
; %bb.2013:                             ;   in Loop: Header=BB2_1629 Depth=3
	s_mov_b32 s14, 0x7f800001
	s_xor_b32 s3, exec_lo, -1
; %bb.2014:                             ;   in Loop: Header=BB2_1629 Depth=3
	s_or_b32 exec_lo, exec_lo, s24
	s_delay_alu instid0(SALU_CYCLE_1)
	s_and_b32 s3, s3, exec_lo
	s_or_saveexec_b32 s15, s15
	v_mov_b32_e32 v163, s14
	s_xor_b32 exec_lo, exec_lo, s15
	s_cbranch_execz .LBB2_1875
.LBB2_2015:                             ;   in Loop: Header=BB2_1629 Depth=3
	v_cmp_ne_u16_e32 vcc_lo, 0, v15
	v_mov_b32_e32 v163, 0
	s_and_not1_b32 s3, s3, exec_lo
	s_and_b32 s14, vcc_lo, exec_lo
	s_delay_alu instid0(SALU_CYCLE_1)
	s_or_b32 s3, s3, s14
	s_or_b32 exec_lo, exec_lo, s15
	s_and_saveexec_b32 s14, s3
	s_cbranch_execnz .LBB2_1876
	s_branch .LBB2_1877
.LBB2_2016:                             ;   in Loop: Header=BB2_1542 Depth=2
	s_or_b32 exec_lo, exec_lo, s17
.LBB2_2017:                             ;   in Loop: Header=BB2_1542 Depth=2
	s_delay_alu instid0(SALU_CYCLE_1) | instskip(SKIP_3) | instid1(VALU_DEP_1)
	s_or_b32 exec_lo, exec_lo, s16
	v_dual_mov_b32 v64, 0 :: v_dual_and_b32 v9, 15, v55
	s_mov_b32 s3, 0
	s_mov_b32 s16, exec_lo
                                        ; implicit-def: $vgpr65
                                        ; implicit-def: $vgpr66
                                        ; implicit-def: $vgpr8
	v_cndmask_b32_e64 v134, v135, v9, s13
	s_delay_alu instid0(VALU_DEP_1)
	v_cmpx_ne_u32_e32 0, v134
	s_cbranch_execz .LBB2_2412
; %bb.2018:                             ;   in Loop: Header=BB2_1542 Depth=2
	v_cmp_lt_i32_e32 vcc_lo, 0, v144
	v_ashrrev_i32_e32 v11, 31, v134
	v_sub_nc_u32_e32 v9, v135, v9
	s_mov_b32 s17, exec_lo
	v_cndmask_b32_e32 v8, 0, v83, vcc_lo
	s_delay_alu instid0(VALU_DEP_3) | instskip(NEXT) | instid1(VALU_DEP_3)
	v_lshrrev_b32_e32 v11, 23, v11
	v_cndmask_b32_e64 v9, 0, v9, s13
	s_delay_alu instid0(VALU_DEP_3) | instskip(NEXT) | instid1(VALU_DEP_3)
	v_sub_nc_u32_e32 v8, v8, v144
	v_add_nc_u32_e32 v11, v134, v11
	s_delay_alu instid0(VALU_DEP_3) | instskip(NEXT) | instid1(VALU_DEP_3)
	v_add_nc_u32_e32 v2, v9, v2
	v_lshl_add_u32 v8, v8, 5, v85
	s_delay_alu instid0(VALU_DEP_3) | instskip(SKIP_1) | instid1(VALU_DEP_3)
	v_and_b32_e32 v144, 0xfffffe00, v11
	v_ashrrev_i32_e32 v11, 9, v11
	v_ashrrev_i32_e32 v10, 31, v8
	s_delay_alu instid0(VALU_DEP_3) | instskip(NEXT) | instid1(VALU_DEP_2)
	v_sub_nc_u32_e32 v135, v134, v144
	v_lshrrev_b32_e32 v10, 27, v10
	s_delay_alu instid0(VALU_DEP_2) | instskip(NEXT) | instid1(VALU_DEP_2)
	v_cmp_lt_i32_e64 s13, 15, v135
	v_add_nc_u32_e32 v10, v8, v10
	s_delay_alu instid0(VALU_DEP_2) | instskip(NEXT) | instid1(VALU_DEP_2)
	v_add_co_ci_u32_e64 v11, vcc_lo, 0, v11, s13
	v_and_b32_e32 v12, 0xffffffe0, v10
	v_ashrrev_i32_e32 v10, 5, v10
	s_delay_alu instid0(VALU_DEP_2) | instskip(NEXT) | instid1(VALU_DEP_2)
	v_sub_nc_u32_e32 v145, v8, v12
	v_sub_nc_u32_e32 v146, v11, v10
	s_delay_alu instid0(VALU_DEP_2) | instskip(NEXT) | instid1(VALU_DEP_1)
	v_lshlrev_b32_e32 v8, 4, v145
	v_lshl_add_u32 v8, v10, 9, v8
	s_delay_alu instid0(VALU_DEP_1) | instskip(NEXT) | instid1(VALU_DEP_1)
	v_sub_nc_u32_e32 v147, v134, v8
	v_cmpx_lt_i32_e32 15, v147
	s_cbranch_execz .LBB2_2409
; %bb.2019:                             ;   in Loop: Header=BB2_1542 Depth=2
	s_cbranch_execnz .LBB2_4770
; %bb.2020:                             ;   in Loop: Header=BB2_1542 Depth=2
	ds_load_b128 v[9:12], v0
	v_add_nc_u32_e32 v8, v8, v2
	s_mov_b32 s30, 0
	s_delay_alu instid0(VALU_DEP_1) | instskip(SKIP_2) | instid1(VALU_DEP_2)
	v_ashrrev_i32_e32 v13, 31, v8
	s_waitcnt lgkmcnt(0)
	v_add_co_u32 v64, vcc_lo, v9, v8
	v_add_co_ci_u32_e32 v65, vcc_lo, v10, v13, vcc_lo
	s_delay_alu instid0(VALU_DEP_1) | instskip(SKIP_2) | instid1(VALU_DEP_1)
	v_mov_b32_e32 v69, v65
	v_add_co_u32 v66, vcc_lo, v11, v8
	v_add_co_ci_u32_e32 v67, vcc_lo, v12, v13, vcc_lo
	v_dual_mov_b32 v68, v64 :: v_dual_mov_b32 v71, v67
	s_delay_alu instid0(VALU_DEP_3)
	v_mov_b32_e32 v70, v66
.LBB2_2021:                             ;   Parent Loop BB2_51 Depth=1
                                        ;     Parent Loop BB2_1542 Depth=2
                                        ; =>    This Loop Header: Depth=3
                                        ;         Child Loop BB2_2278 Depth 4
	global_load_b128 v[12:15], v[68:69], off slc dlc
	global_load_b128 v[8:11], v[70:71], off slc dlc
	s_mov_b32 s3, 0
	s_mov_b32 s15, exec_lo
                                        ; implicit-def: $sgpr14
	s_waitcnt vmcnt(1)
	v_and_b32_e32 v149, 0xff, v12
	s_delay_alu instid0(VALU_DEP_1)
	v_cmpx_lt_i16_e64 0x7f, v149
	s_xor_b32 s15, exec_lo, s15
	s_cbranch_execnz .LBB2_2280
; %bb.2022:                             ;   in Loop: Header=BB2_2021 Depth=3
	s_or_saveexec_b32 s15, s15
	v_mov_b32_e32 v148, s14
	s_xor_b32 exec_lo, exec_lo, s15
	s_cbranch_execnz .LBB2_2283
.LBB2_2023:                             ;   in Loop: Header=BB2_2021 Depth=3
	s_or_b32 exec_lo, exec_lo, s15
	s_and_saveexec_b32 s14, s3
	s_cbranch_execz .LBB2_2025
.LBB2_2024:                             ;   in Loop: Header=BB2_2021 Depth=3
	v_bfe_u32 v151, v12, 3, 4
	v_lshlrev_b32_e32 v160, 24, v12
	s_delay_alu instid0(VALU_DEP_2) | instskip(SKIP_1) | instid1(VALU_DEP_1)
	v_cmp_eq_u32_e32 vcc_lo, 0, v151
	v_and_b32_e32 v148, 7, v12
	v_clz_i32_u32_e32 v149, v148
	s_delay_alu instid0(VALU_DEP_1) | instskip(NEXT) | instid1(VALU_DEP_1)
	v_min_u32_e32 v149, 32, v149
	v_subrev_nc_u32_e32 v150, 28, v149
	v_sub_nc_u32_e32 v149, 29, v149
	s_delay_alu instid0(VALU_DEP_1) | instskip(NEXT) | instid1(VALU_DEP_1)
	v_dual_cndmask_b32 v149, v151, v149 :: v_dual_lshlrev_b32 v150, v150, v12
	v_and_b32_e32 v150, 7, v150
	s_delay_alu instid0(VALU_DEP_2) | instskip(NEXT) | instid1(VALU_DEP_2)
	v_lshl_add_u32 v149, v149, 23, 0x3b800000
	v_cndmask_b32_e32 v148, v148, v150, vcc_lo
	v_and_b32_e32 v150, 0x80000000, v160
	s_delay_alu instid0(VALU_DEP_2) | instskip(NEXT) | instid1(VALU_DEP_1)
	v_lshlrev_b32_e32 v148, 20, v148
	v_or3_b32 v148, v150, v149, v148
.LBB2_2025:                             ;   in Loop: Header=BB2_2021 Depth=3
	s_or_b32 exec_lo, exec_lo, s14
	s_waitcnt vmcnt(0)
	v_and_b32_e32 v150, 0xff, v8
	s_mov_b32 s3, 0
	s_mov_b32 s15, exec_lo
                                        ; implicit-def: $sgpr14
	s_delay_alu instid0(VALU_DEP_1)
	v_cmpx_lt_i16_e64 0x7f, v150
	s_xor_b32 s15, exec_lo, s15
	s_cbranch_execnz .LBB2_2284
; %bb.2026:                             ;   in Loop: Header=BB2_2021 Depth=3
	s_or_saveexec_b32 s15, s15
	v_mov_b32_e32 v149, s14
	s_xor_b32 exec_lo, exec_lo, s15
	s_cbranch_execnz .LBB2_2287
.LBB2_2027:                             ;   in Loop: Header=BB2_2021 Depth=3
	s_or_b32 exec_lo, exec_lo, s15
	s_and_saveexec_b32 s14, s3
	s_cbranch_execz .LBB2_2029
.LBB2_2028:                             ;   in Loop: Header=BB2_2021 Depth=3
	v_bfe_u32 v160, v8, 3, 4
	v_lshlrev_b32_e32 v161, 24, v8
	s_delay_alu instid0(VALU_DEP_2) | instskip(SKIP_1) | instid1(VALU_DEP_1)
	v_cmp_eq_u32_e32 vcc_lo, 0, v160
	v_and_b32_e32 v149, 7, v8
	v_clz_i32_u32_e32 v150, v149
	s_delay_alu instid0(VALU_DEP_1) | instskip(NEXT) | instid1(VALU_DEP_1)
	v_min_u32_e32 v150, 32, v150
	v_subrev_nc_u32_e32 v151, 28, v150
	v_sub_nc_u32_e32 v150, 29, v150
	s_delay_alu instid0(VALU_DEP_1) | instskip(NEXT) | instid1(VALU_DEP_1)
	v_dual_cndmask_b32 v150, v160, v150 :: v_dual_lshlrev_b32 v151, v151, v8
	v_and_b32_e32 v151, 7, v151
	s_delay_alu instid0(VALU_DEP_2) | instskip(NEXT) | instid1(VALU_DEP_2)
	v_lshl_add_u32 v150, v150, 23, 0x3b800000
	v_cndmask_b32_e32 v149, v149, v151, vcc_lo
	v_and_b32_e32 v151, 0x80000000, v161
	s_delay_alu instid0(VALU_DEP_2) | instskip(NEXT) | instid1(VALU_DEP_1)
	v_lshlrev_b32_e32 v149, 20, v149
	v_or3_b32 v149, v151, v150, v149
.LBB2_2029:                             ;   in Loop: Header=BB2_2021 Depth=3
	s_or_b32 exec_lo, exec_lo, s14
	s_delay_alu instid0(VALU_DEP_1) | instskip(NEXT) | instid1(VALU_DEP_1)
	v_add_f32_e32 v149, v148, v149
	v_and_b32_e32 v148, 0x7f800000, v149
	s_delay_alu instid0(VALU_DEP_1)
	v_cmp_ne_u32_e32 vcc_lo, 0x7f800000, v148
	v_mov_b32_e32 v148, 0x80
	s_and_saveexec_b32 s3, vcc_lo
	s_cbranch_execz .LBB2_2037
; %bb.2030:                             ;   in Loop: Header=BB2_2021 Depth=3
	v_mov_b32_e32 v148, 0
	s_mov_b32 s15, exec_lo
	v_cmpx_ne_u32_e32 0, v149
	s_cbranch_execz .LBB2_2036
; %bb.2031:                             ;   in Loop: Header=BB2_2021 Depth=3
	v_bfe_u32 v148, v149, 23, 8
	s_delay_alu instid0(VALU_DEP_1) | instskip(SKIP_1) | instid1(VALU_DEP_2)
	v_sub_nc_u32_e32 v151, 0x78, v148
	v_cmp_gt_u32_e32 vcc_lo, 0x79, v148
	v_dual_cndmask_b32 v151, 0, v151 :: v_dual_and_b32 v150, 0x7fffff, v149
	s_delay_alu instid0(VALU_DEP_1) | instskip(SKIP_2) | instid1(VALU_DEP_4)
	v_or_b32_e32 v160, 0x800000, v150
	v_cmp_eq_u32_e32 vcc_lo, 0, v148
	v_add_nc_u32_e32 v148, 0xffffff89, v148
	v_cndmask_b32_e64 v151, v151, 0x77, vcc_lo
	s_delay_alu instid0(VALU_DEP_2) | instskip(SKIP_1) | instid1(VALU_DEP_3)
	v_cndmask_b32_e64 v148, v148, 0xffffff8a, vcc_lo
	v_cndmask_b32_e32 v150, v160, v150, vcc_lo
	v_lshl_add_u32 v160, 0x100000, v151, -1
	v_lshlrev_b32_e64 v163, v151, 0x80000
	s_delay_alu instid0(VALU_DEP_3) | instskip(SKIP_1) | instid1(VALU_DEP_4)
	v_lshrrev_b32_e32 v161, v151, v150
	v_add_nc_u32_e32 v151, v151, v148
	v_and_b32_e32 v150, v160, v150
	s_delay_alu instid0(VALU_DEP_3) | instskip(NEXT) | instid1(VALU_DEP_2)
	v_bfe_u32 v162, v161, 20, 1
	v_cmp_eq_u32_e64 s14, v150, v163
	s_delay_alu instid0(VALU_DEP_2) | instskip(NEXT) | instid1(VALU_DEP_1)
	v_add_nc_u32_e32 v160, -1, v162
	v_cndmask_b32_e64 v150, 0, v160, s14
	v_lshrrev_b32_e32 v160, 23, v161
	s_mov_b32 s14, exec_lo
	s_delay_alu instid0(VALU_DEP_2) | instskip(NEXT) | instid1(VALU_DEP_2)
	v_add_nc_u32_e32 v150, v150, v161
	v_xor_b32_e32 v160, 1, v160
	s_delay_alu instid0(VALU_DEP_2) | instskip(NEXT) | instid1(VALU_DEP_1)
	v_and_b32_e32 v148, 0xfffff, v150
	v_add_nc_u32_e32 v150, v148, v161
                                        ; implicit-def: $vgpr148
	s_delay_alu instid0(VALU_DEP_3)
	v_cmpx_ne_u32_e64 v151, v160
	s_xor_b32 s14, exec_lo, s14
; %bb.2032:                             ;   in Loop: Header=BB2_2021 Depth=3
	s_delay_alu instid0(VALU_DEP_2) | instskip(SKIP_2) | instid1(VALU_DEP_2)
	v_cmp_lt_u32_e32 vcc_lo, 0xffffff, v150
	v_sub_nc_u32_e32 v148, v151, v160
	v_cndmask_b32_e64 v151, 0, 1, vcc_lo
	v_add_co_ci_u32_e32 v148, vcc_lo, 0, v148, vcc_lo
	s_delay_alu instid0(VALU_DEP_2)
	v_lshrrev_b32_e32 v150, v151, v150
; %bb.2033:                             ;   in Loop: Header=BB2_2021 Depth=3
	s_and_not1_saveexec_b32 s14, s14
; %bb.2034:                             ;   in Loop: Header=BB2_2021 Depth=3
	s_delay_alu instid0(VALU_DEP_1)
	v_bfe_u32 v148, v150, 23, 1
; %bb.2035:                             ;   in Loop: Header=BB2_2021 Depth=3
	s_or_b32 exec_lo, exec_lo, s14
	v_lshrrev_b32_e32 v150, 20, v150
	s_delay_alu instid0(VALU_DEP_2) | instskip(SKIP_2) | instid1(VALU_DEP_2)
	v_cmp_gt_i32_e32 vcc_lo, 16, v148
	v_lshrrev_b32_e32 v149, 24, v149
	v_min_i32_e32 v151, 15, v148
	v_dual_cndmask_b32 v150, 7, v150 :: v_dual_and_b32 v149, 0x80, v149
	s_delay_alu instid0(VALU_DEP_1) | instskip(SKIP_1) | instid1(VALU_DEP_2)
	v_or_b32_e32 v148, v148, v150
	v_and_b32_e32 v160, 7, v150
	v_cmp_ne_u32_e32 vcc_lo, 0, v148
	v_lshlrev_b32_e32 v151, 3, v151
	s_delay_alu instid0(VALU_DEP_1) | instskip(NEXT) | instid1(VALU_DEP_1)
	v_or3_b32 v149, v151, v149, v160
	v_cndmask_b32_e32 v148, 0, v149, vcc_lo
.LBB2_2036:                             ;   in Loop: Header=BB2_2021 Depth=3
	s_or_b32 exec_lo, exec_lo, s15
.LBB2_2037:                             ;   in Loop: Header=BB2_2021 Depth=3
	s_delay_alu instid0(SALU_CYCLE_1) | instskip(SKIP_3) | instid1(VALU_DEP_1)
	s_or_b32 exec_lo, exec_lo, s3
	v_lshrrev_b16 v150, 8, v12
	s_mov_b32 s3, 0
	s_mov_b32 s15, exec_lo
                                        ; implicit-def: $sgpr14
	v_cmpx_lt_i16_e64 0x7f, v150
	s_xor_b32 s15, exec_lo, s15
	s_cbranch_execnz .LBB2_2288
; %bb.2038:                             ;   in Loop: Header=BB2_2021 Depth=3
	s_or_saveexec_b32 s15, s15
	v_mov_b32_e32 v149, s14
	s_xor_b32 exec_lo, exec_lo, s15
	s_cbranch_execnz .LBB2_2291
.LBB2_2039:                             ;   in Loop: Header=BB2_2021 Depth=3
	s_or_b32 exec_lo, exec_lo, s15
	s_and_saveexec_b32 s14, s3
	s_cbranch_execz .LBB2_2041
.LBB2_2040:                             ;   in Loop: Header=BB2_2021 Depth=3
	v_and_b32_e32 v149, 0xffff, v150
	s_delay_alu instid0(VALU_DEP_1) | instskip(NEXT) | instid1(VALU_DEP_1)
	v_and_b32_e32 v151, 7, v149
	v_clz_i32_u32_e32 v160, v151
	s_delay_alu instid0(VALU_DEP_1) | instskip(NEXT) | instid1(VALU_DEP_1)
	v_min_u32_e32 v160, 32, v160
	v_subrev_nc_u32_e32 v161, 28, v160
	v_sub_nc_u32_e32 v160, 29, v160
	s_delay_alu instid0(VALU_DEP_2) | instskip(SKIP_1) | instid1(VALU_DEP_2)
	v_lshlrev_b32_e32 v161, v161, v149
	v_bfe_u32 v149, v149, 3, 4
	v_and_b32_e32 v161, 7, v161
	s_delay_alu instid0(VALU_DEP_2) | instskip(SKIP_1) | instid1(VALU_DEP_1)
	v_cmp_eq_u32_e32 vcc_lo, 0, v149
	v_dual_cndmask_b32 v149, v149, v160 :: v_dual_lshlrev_b32 v150, 24, v150
	v_dual_cndmask_b32 v151, v151, v161 :: v_dual_and_b32 v150, 0x80000000, v150
	s_delay_alu instid0(VALU_DEP_2) | instskip(NEXT) | instid1(VALU_DEP_2)
	v_lshl_add_u32 v149, v149, 23, 0x3b800000
	v_lshlrev_b32_e32 v151, 20, v151
	s_delay_alu instid0(VALU_DEP_1)
	v_or3_b32 v149, v150, v149, v151
.LBB2_2041:                             ;   in Loop: Header=BB2_2021 Depth=3
	s_or_b32 exec_lo, exec_lo, s14
	v_lshrrev_b16 v150, 8, v8
	s_mov_b32 s3, 0
	s_mov_b32 s15, exec_lo
                                        ; implicit-def: $sgpr14
	s_delay_alu instid0(VALU_DEP_1)
	v_cmpx_lt_i16_e64 0x7f, v150
	s_xor_b32 s15, exec_lo, s15
	s_cbranch_execnz .LBB2_2292
; %bb.2042:                             ;   in Loop: Header=BB2_2021 Depth=3
	s_or_saveexec_b32 s15, s15
	v_mov_b32_e32 v151, s14
	s_xor_b32 exec_lo, exec_lo, s15
	s_cbranch_execnz .LBB2_2295
.LBB2_2043:                             ;   in Loop: Header=BB2_2021 Depth=3
	s_or_b32 exec_lo, exec_lo, s15
	s_and_saveexec_b32 s14, s3
	s_cbranch_execz .LBB2_2045
.LBB2_2044:                             ;   in Loop: Header=BB2_2021 Depth=3
	v_and_b32_e32 v151, 0xffff, v150
	v_lshlrev_b32_e32 v150, 24, v150
	s_delay_alu instid0(VALU_DEP_2) | instskip(NEXT) | instid1(VALU_DEP_2)
	v_and_b32_e32 v160, 7, v151
	v_and_b32_e32 v150, 0x80000000, v150
	s_delay_alu instid0(VALU_DEP_2) | instskip(NEXT) | instid1(VALU_DEP_1)
	v_clz_i32_u32_e32 v161, v160
	v_min_u32_e32 v161, 32, v161
	s_delay_alu instid0(VALU_DEP_1) | instskip(SKIP_1) | instid1(VALU_DEP_2)
	v_subrev_nc_u32_e32 v162, 28, v161
	v_sub_nc_u32_e32 v161, 29, v161
	v_lshlrev_b32_e32 v162, v162, v151
	v_bfe_u32 v151, v151, 3, 4
	s_delay_alu instid0(VALU_DEP_2) | instskip(NEXT) | instid1(VALU_DEP_2)
	v_and_b32_e32 v162, 7, v162
	v_cmp_eq_u32_e32 vcc_lo, 0, v151
	s_delay_alu instid0(VALU_DEP_2) | instskip(NEXT) | instid1(VALU_DEP_1)
	v_dual_cndmask_b32 v151, v151, v161 :: v_dual_cndmask_b32 v160, v160, v162
	v_lshl_add_u32 v151, v151, 23, 0x3b800000
	s_delay_alu instid0(VALU_DEP_2) | instskip(NEXT) | instid1(VALU_DEP_1)
	v_lshlrev_b32_e32 v160, 20, v160
	v_or3_b32 v151, v150, v151, v160
.LBB2_2045:                             ;   in Loop: Header=BB2_2021 Depth=3
	s_or_b32 exec_lo, exec_lo, s14
	s_delay_alu instid0(VALU_DEP_1) | instskip(NEXT) | instid1(VALU_DEP_1)
	v_add_f32_e32 v150, v149, v151
	v_and_b32_e32 v149, 0x7f800000, v150
	s_delay_alu instid0(VALU_DEP_1)
	v_cmp_ne_u32_e32 vcc_lo, 0x7f800000, v149
	v_mov_b32_e32 v149, 0x80
	s_and_saveexec_b32 s3, vcc_lo
	s_cbranch_execz .LBB2_2053
; %bb.2046:                             ;   in Loop: Header=BB2_2021 Depth=3
	v_mov_b32_e32 v149, 0
	s_mov_b32 s15, exec_lo
	v_cmpx_ne_u32_e32 0, v150
	s_cbranch_execz .LBB2_2052
; %bb.2047:                             ;   in Loop: Header=BB2_2021 Depth=3
	v_bfe_u32 v149, v150, 23, 8
	s_delay_alu instid0(VALU_DEP_1) | instskip(SKIP_1) | instid1(VALU_DEP_2)
	v_sub_nc_u32_e32 v160, 0x78, v149
	v_cmp_gt_u32_e32 vcc_lo, 0x79, v149
	v_dual_cndmask_b32 v160, 0, v160 :: v_dual_and_b32 v151, 0x7fffff, v150
	s_delay_alu instid0(VALU_DEP_1) | instskip(SKIP_2) | instid1(VALU_DEP_4)
	v_or_b32_e32 v161, 0x800000, v151
	v_cmp_eq_u32_e32 vcc_lo, 0, v149
	v_add_nc_u32_e32 v149, 0xffffff89, v149
	v_cndmask_b32_e64 v160, v160, 0x77, vcc_lo
	s_delay_alu instid0(VALU_DEP_2) | instskip(SKIP_1) | instid1(VALU_DEP_3)
	v_cndmask_b32_e64 v149, v149, 0xffffff8a, vcc_lo
	v_cndmask_b32_e32 v151, v161, v151, vcc_lo
	v_lshl_add_u32 v161, 0x100000, v160, -1
	v_lshlrev_b32_e64 v164, v160, 0x80000
	s_delay_alu instid0(VALU_DEP_3) | instskip(SKIP_1) | instid1(VALU_DEP_4)
	v_lshrrev_b32_e32 v162, v160, v151
	v_add_nc_u32_e32 v160, v160, v149
	v_and_b32_e32 v151, v161, v151
	s_delay_alu instid0(VALU_DEP_3) | instskip(NEXT) | instid1(VALU_DEP_2)
	v_bfe_u32 v163, v162, 20, 1
	v_cmp_eq_u32_e64 s14, v151, v164
	s_delay_alu instid0(VALU_DEP_2) | instskip(NEXT) | instid1(VALU_DEP_1)
	v_add_nc_u32_e32 v161, -1, v163
	v_cndmask_b32_e64 v151, 0, v161, s14
	v_lshrrev_b32_e32 v161, 23, v162
	s_mov_b32 s14, exec_lo
	s_delay_alu instid0(VALU_DEP_2) | instskip(NEXT) | instid1(VALU_DEP_2)
	v_add_nc_u32_e32 v151, v151, v162
	v_xor_b32_e32 v161, 1, v161
	s_delay_alu instid0(VALU_DEP_2) | instskip(NEXT) | instid1(VALU_DEP_1)
	v_and_b32_e32 v149, 0xfffff, v151
	v_add_nc_u32_e32 v151, v149, v162
                                        ; implicit-def: $vgpr149
	s_delay_alu instid0(VALU_DEP_3)
	v_cmpx_ne_u32_e64 v160, v161
	s_xor_b32 s14, exec_lo, s14
; %bb.2048:                             ;   in Loop: Header=BB2_2021 Depth=3
	s_delay_alu instid0(VALU_DEP_2) | instskip(SKIP_2) | instid1(VALU_DEP_2)
	v_cmp_lt_u32_e32 vcc_lo, 0xffffff, v151
	v_sub_nc_u32_e32 v149, v160, v161
	v_cndmask_b32_e64 v160, 0, 1, vcc_lo
	v_add_co_ci_u32_e32 v149, vcc_lo, 0, v149, vcc_lo
	s_delay_alu instid0(VALU_DEP_2)
	v_lshrrev_b32_e32 v151, v160, v151
; %bb.2049:                             ;   in Loop: Header=BB2_2021 Depth=3
	s_and_not1_saveexec_b32 s14, s14
; %bb.2050:                             ;   in Loop: Header=BB2_2021 Depth=3
	s_delay_alu instid0(VALU_DEP_1)
	v_bfe_u32 v149, v151, 23, 1
; %bb.2051:                             ;   in Loop: Header=BB2_2021 Depth=3
	s_or_b32 exec_lo, exec_lo, s14
	v_lshrrev_b32_e32 v151, 20, v151
	s_delay_alu instid0(VALU_DEP_2) | instskip(SKIP_2) | instid1(VALU_DEP_2)
	v_cmp_gt_i32_e32 vcc_lo, 16, v149
	v_lshrrev_b32_e32 v150, 24, v150
	v_min_i32_e32 v160, 15, v149
	v_dual_cndmask_b32 v151, 7, v151 :: v_dual_and_b32 v150, 0x80, v150
	s_delay_alu instid0(VALU_DEP_1) | instskip(SKIP_1) | instid1(VALU_DEP_2)
	v_or_b32_e32 v149, v149, v151
	v_and_b32_e32 v161, 7, v151
	v_cmp_ne_u32_e32 vcc_lo, 0, v149
	v_lshlrev_b32_e32 v160, 3, v160
	s_delay_alu instid0(VALU_DEP_1) | instskip(NEXT) | instid1(VALU_DEP_1)
	v_or3_b32 v150, v160, v150, v161
	v_cndmask_b32_e32 v149, 0, v150, vcc_lo
.LBB2_2052:                             ;   in Loop: Header=BB2_2021 Depth=3
	s_or_b32 exec_lo, exec_lo, s15
.LBB2_2053:                             ;   in Loop: Header=BB2_2021 Depth=3
	s_delay_alu instid0(SALU_CYCLE_1) | instskip(SKIP_3) | instid1(VALU_DEP_1)
	s_or_b32 exec_lo, exec_lo, s3
	v_lshrrev_b32_e32 v151, 16, v12
	s_mov_b32 s3, 0
	s_mov_b32 s15, exec_lo
                                        ; implicit-def: $sgpr14
	v_and_b32_e32 v160, 0xff, v151
	s_delay_alu instid0(VALU_DEP_1)
	v_cmpx_lt_i16_e64 0x7f, v160
	s_xor_b32 s15, exec_lo, s15
	s_cbranch_execnz .LBB2_2296
; %bb.2054:                             ;   in Loop: Header=BB2_2021 Depth=3
	s_or_saveexec_b32 s15, s15
	v_mov_b32_e32 v150, s14
	s_xor_b32 exec_lo, exec_lo, s15
	s_cbranch_execnz .LBB2_2299
.LBB2_2055:                             ;   in Loop: Header=BB2_2021 Depth=3
	s_or_b32 exec_lo, exec_lo, s15
	s_and_saveexec_b32 s14, s3
	s_cbranch_execz .LBB2_2057
.LBB2_2056:                             ;   in Loop: Header=BB2_2021 Depth=3
	v_bfe_u32 v150, v12, 16, 3
	v_lshlrev_b32_e32 v162, 8, v12
	s_delay_alu instid0(VALU_DEP_2) | instskip(NEXT) | instid1(VALU_DEP_1)
	v_clz_i32_u32_e32 v160, v150
	v_min_u32_e32 v160, 32, v160
	s_delay_alu instid0(VALU_DEP_1) | instskip(SKIP_1) | instid1(VALU_DEP_2)
	v_subrev_nc_u32_e32 v161, 28, v160
	v_sub_nc_u32_e32 v160, 29, v160
	v_lshlrev_b32_e32 v151, v161, v151
	v_bfe_u32 v161, v12, 19, 4
	s_delay_alu instid0(VALU_DEP_1) | instskip(NEXT) | instid1(VALU_DEP_3)
	v_cmp_eq_u32_e32 vcc_lo, 0, v161
	v_dual_cndmask_b32 v160, v161, v160 :: v_dual_and_b32 v151, 7, v151
	s_delay_alu instid0(VALU_DEP_1) | instskip(NEXT) | instid1(VALU_DEP_2)
	v_dual_cndmask_b32 v150, v150, v151 :: v_dual_and_b32 v151, 0x80000000, v162
	v_lshl_add_u32 v160, v160, 23, 0x3b800000
	s_delay_alu instid0(VALU_DEP_2) | instskip(NEXT) | instid1(VALU_DEP_1)
	v_lshlrev_b32_e32 v150, 20, v150
	v_or3_b32 v150, v151, v160, v150
.LBB2_2057:                             ;   in Loop: Header=BB2_2021 Depth=3
	s_or_b32 exec_lo, exec_lo, s14
	v_lshrrev_b32_e32 v151, 16, v8
	s_mov_b32 s3, 0
	s_mov_b32 s15, exec_lo
                                        ; implicit-def: $sgpr14
	s_delay_alu instid0(VALU_DEP_1) | instskip(NEXT) | instid1(VALU_DEP_1)
	v_and_b32_e32 v161, 0xff, v151
	v_cmpx_lt_i16_e64 0x7f, v161
	s_xor_b32 s15, exec_lo, s15
	s_cbranch_execnz .LBB2_2300
; %bb.2058:                             ;   in Loop: Header=BB2_2021 Depth=3
	s_or_saveexec_b32 s15, s15
	v_mov_b32_e32 v160, s14
	s_xor_b32 exec_lo, exec_lo, s15
	s_cbranch_execnz .LBB2_2303
.LBB2_2059:                             ;   in Loop: Header=BB2_2021 Depth=3
	s_or_b32 exec_lo, exec_lo, s15
	s_and_saveexec_b32 s14, s3
	s_cbranch_execz .LBB2_2061
.LBB2_2060:                             ;   in Loop: Header=BB2_2021 Depth=3
	v_bfe_u32 v160, v8, 16, 3
	v_lshlrev_b32_e32 v163, 8, v8
	s_delay_alu instid0(VALU_DEP_2) | instskip(NEXT) | instid1(VALU_DEP_1)
	v_clz_i32_u32_e32 v161, v160
	v_min_u32_e32 v161, 32, v161
	s_delay_alu instid0(VALU_DEP_1) | instskip(SKIP_1) | instid1(VALU_DEP_2)
	v_subrev_nc_u32_e32 v162, 28, v161
	v_sub_nc_u32_e32 v161, 29, v161
	v_lshlrev_b32_e32 v151, v162, v151
	v_bfe_u32 v162, v8, 19, 4
	s_delay_alu instid0(VALU_DEP_2) | instskip(NEXT) | instid1(VALU_DEP_2)
	v_and_b32_e32 v151, 7, v151
	v_cmp_eq_u32_e32 vcc_lo, 0, v162
	v_cndmask_b32_e32 v161, v162, v161, vcc_lo
	s_delay_alu instid0(VALU_DEP_3) | instskip(SKIP_1) | instid1(VALU_DEP_3)
	v_cndmask_b32_e32 v151, v160, v151, vcc_lo
	v_and_b32_e32 v160, 0x80000000, v163
	v_lshl_add_u32 v161, v161, 23, 0x3b800000
	s_delay_alu instid0(VALU_DEP_3) | instskip(NEXT) | instid1(VALU_DEP_1)
	v_lshlrev_b32_e32 v151, 20, v151
	v_or3_b32 v160, v160, v161, v151
.LBB2_2061:                             ;   in Loop: Header=BB2_2021 Depth=3
	s_or_b32 exec_lo, exec_lo, s14
	s_delay_alu instid0(VALU_DEP_1) | instskip(NEXT) | instid1(VALU_DEP_1)
	v_add_f32_e32 v151, v150, v160
	v_and_b32_e32 v150, 0x7f800000, v151
	s_delay_alu instid0(VALU_DEP_1)
	v_cmp_ne_u32_e32 vcc_lo, 0x7f800000, v150
	v_mov_b32_e32 v150, 0x80
	s_and_saveexec_b32 s3, vcc_lo
	s_cbranch_execz .LBB2_2069
; %bb.2062:                             ;   in Loop: Header=BB2_2021 Depth=3
	v_mov_b32_e32 v150, 0
	s_mov_b32 s15, exec_lo
	v_cmpx_ne_u32_e32 0, v151
	s_cbranch_execz .LBB2_2068
; %bb.2063:                             ;   in Loop: Header=BB2_2021 Depth=3
	v_bfe_u32 v150, v151, 23, 8
	s_delay_alu instid0(VALU_DEP_1) | instskip(SKIP_1) | instid1(VALU_DEP_2)
	v_sub_nc_u32_e32 v161, 0x78, v150
	v_cmp_gt_u32_e32 vcc_lo, 0x79, v150
	v_dual_cndmask_b32 v161, 0, v161 :: v_dual_and_b32 v160, 0x7fffff, v151
	s_delay_alu instid0(VALU_DEP_1) | instskip(SKIP_2) | instid1(VALU_DEP_4)
	v_or_b32_e32 v162, 0x800000, v160
	v_cmp_eq_u32_e32 vcc_lo, 0, v150
	v_add_nc_u32_e32 v150, 0xffffff89, v150
	v_cndmask_b32_e64 v161, v161, 0x77, vcc_lo
	s_delay_alu instid0(VALU_DEP_2) | instskip(SKIP_1) | instid1(VALU_DEP_3)
	v_cndmask_b32_e64 v150, v150, 0xffffff8a, vcc_lo
	v_cndmask_b32_e32 v160, v162, v160, vcc_lo
	v_lshl_add_u32 v162, 0x100000, v161, -1
	v_lshlrev_b32_e64 v165, v161, 0x80000
	s_delay_alu instid0(VALU_DEP_3) | instskip(SKIP_1) | instid1(VALU_DEP_4)
	v_lshrrev_b32_e32 v163, v161, v160
	v_add_nc_u32_e32 v161, v161, v150
	v_and_b32_e32 v160, v162, v160
	s_delay_alu instid0(VALU_DEP_3) | instskip(NEXT) | instid1(VALU_DEP_2)
	v_bfe_u32 v164, v163, 20, 1
	v_cmp_eq_u32_e64 s14, v160, v165
	s_delay_alu instid0(VALU_DEP_2) | instskip(NEXT) | instid1(VALU_DEP_1)
	v_add_nc_u32_e32 v162, -1, v164
	v_cndmask_b32_e64 v160, 0, v162, s14
	v_lshrrev_b32_e32 v162, 23, v163
	s_mov_b32 s14, exec_lo
	s_delay_alu instid0(VALU_DEP_2) | instskip(NEXT) | instid1(VALU_DEP_2)
	v_add_nc_u32_e32 v160, v160, v163
	v_xor_b32_e32 v162, 1, v162
	s_delay_alu instid0(VALU_DEP_2) | instskip(NEXT) | instid1(VALU_DEP_1)
	v_and_b32_e32 v150, 0xfffff, v160
	v_add_nc_u32_e32 v160, v150, v163
                                        ; implicit-def: $vgpr150
	s_delay_alu instid0(VALU_DEP_3)
	v_cmpx_ne_u32_e64 v161, v162
	s_xor_b32 s14, exec_lo, s14
; %bb.2064:                             ;   in Loop: Header=BB2_2021 Depth=3
	s_delay_alu instid0(VALU_DEP_2) | instskip(SKIP_2) | instid1(VALU_DEP_2)
	v_cmp_lt_u32_e32 vcc_lo, 0xffffff, v160
	v_sub_nc_u32_e32 v150, v161, v162
	v_cndmask_b32_e64 v161, 0, 1, vcc_lo
	v_add_co_ci_u32_e32 v150, vcc_lo, 0, v150, vcc_lo
	s_delay_alu instid0(VALU_DEP_2)
	v_lshrrev_b32_e32 v160, v161, v160
; %bb.2065:                             ;   in Loop: Header=BB2_2021 Depth=3
	s_and_not1_saveexec_b32 s14, s14
; %bb.2066:                             ;   in Loop: Header=BB2_2021 Depth=3
	s_delay_alu instid0(VALU_DEP_1)
	v_bfe_u32 v150, v160, 23, 1
; %bb.2067:                             ;   in Loop: Header=BB2_2021 Depth=3
	s_or_b32 exec_lo, exec_lo, s14
	v_lshrrev_b32_e32 v160, 20, v160
	s_delay_alu instid0(VALU_DEP_2) | instskip(SKIP_2) | instid1(VALU_DEP_2)
	v_cmp_gt_i32_e32 vcc_lo, 16, v150
	v_lshrrev_b32_e32 v151, 24, v151
	v_min_i32_e32 v161, 15, v150
	v_dual_cndmask_b32 v160, 7, v160 :: v_dual_and_b32 v151, 0x80, v151
	s_delay_alu instid0(VALU_DEP_1) | instskip(SKIP_1) | instid1(VALU_DEP_2)
	v_or_b32_e32 v150, v150, v160
	v_and_b32_e32 v162, 7, v160
	v_cmp_ne_u32_e32 vcc_lo, 0, v150
	v_lshlrev_b32_e32 v161, 3, v161
	s_delay_alu instid0(VALU_DEP_1) | instskip(NEXT) | instid1(VALU_DEP_1)
	v_or3_b32 v151, v161, v151, v162
	v_cndmask_b32_e32 v150, 0, v151, vcc_lo
.LBB2_2068:                             ;   in Loop: Header=BB2_2021 Depth=3
	s_or_b32 exec_lo, exec_lo, s15
.LBB2_2069:                             ;   in Loop: Header=BB2_2021 Depth=3
	s_delay_alu instid0(SALU_CYCLE_1) | instskip(SKIP_3) | instid1(VALU_DEP_1)
	s_or_b32 exec_lo, exec_lo, s3
	v_lshrrev_b32_e32 v160, 24, v12
	s_mov_b32 s3, 0
	s_mov_b32 s15, exec_lo
                                        ; implicit-def: $sgpr14
	v_cmpx_lt_i16_e64 0x7f, v160
	s_xor_b32 s15, exec_lo, s15
	s_cbranch_execnz .LBB2_2304
; %bb.2070:                             ;   in Loop: Header=BB2_2021 Depth=3
	s_or_saveexec_b32 s15, s15
	v_mov_b32_e32 v151, s14
	s_xor_b32 exec_lo, exec_lo, s15
	s_cbranch_execnz .LBB2_2307
.LBB2_2071:                             ;   in Loop: Header=BB2_2021 Depth=3
	s_or_b32 exec_lo, exec_lo, s15
	s_and_saveexec_b32 s14, s3
	s_cbranch_execz .LBB2_2073
.LBB2_2072:                             ;   in Loop: Header=BB2_2021 Depth=3
	v_bfe_u32 v151, v12, 24, 3
	s_delay_alu instid0(VALU_DEP_1) | instskip(NEXT) | instid1(VALU_DEP_1)
	v_clz_i32_u32_e32 v161, v151
	v_min_u32_e32 v161, 32, v161
	s_delay_alu instid0(VALU_DEP_1) | instskip(SKIP_1) | instid1(VALU_DEP_2)
	v_subrev_nc_u32_e32 v162, 28, v161
	v_sub_nc_u32_e32 v161, 29, v161
	v_lshlrev_b32_e32 v160, v162, v160
	v_bfe_u32 v162, v12, 27, 4
	v_and_b32_e32 v12, 0x80000000, v12
	s_delay_alu instid0(VALU_DEP_2) | instskip(NEXT) | instid1(VALU_DEP_4)
	v_cmp_eq_u32_e32 vcc_lo, 0, v162
	v_dual_cndmask_b32 v161, v162, v161 :: v_dual_and_b32 v160, 7, v160
	s_delay_alu instid0(VALU_DEP_1) | instskip(NEXT) | instid1(VALU_DEP_2)
	v_cndmask_b32_e32 v151, v151, v160, vcc_lo
	v_lshl_add_u32 v160, v161, 23, 0x3b800000
	s_delay_alu instid0(VALU_DEP_2) | instskip(NEXT) | instid1(VALU_DEP_1)
	v_lshlrev_b32_e32 v151, 20, v151
	v_or3_b32 v151, v12, v160, v151
.LBB2_2073:                             ;   in Loop: Header=BB2_2021 Depth=3
	s_or_b32 exec_lo, exec_lo, s14
	v_lshrrev_b32_e32 v12, 24, v8
	s_mov_b32 s3, 0
	s_mov_b32 s15, exec_lo
                                        ; implicit-def: $sgpr14
	s_delay_alu instid0(VALU_DEP_1)
	v_cmpx_lt_i16_e32 0x7f, v12
	s_xor_b32 s15, exec_lo, s15
	s_cbranch_execnz .LBB2_2308
; %bb.2074:                             ;   in Loop: Header=BB2_2021 Depth=3
	s_or_saveexec_b32 s15, s15
	v_mov_b32_e32 v160, s14
	s_xor_b32 exec_lo, exec_lo, s15
	s_cbranch_execnz .LBB2_2311
.LBB2_2075:                             ;   in Loop: Header=BB2_2021 Depth=3
	s_or_b32 exec_lo, exec_lo, s15
	s_and_saveexec_b32 s14, s3
	s_cbranch_execz .LBB2_2077
.LBB2_2076:                             ;   in Loop: Header=BB2_2021 Depth=3
	v_bfe_u32 v160, v8, 24, 3
	s_delay_alu instid0(VALU_DEP_1) | instskip(NEXT) | instid1(VALU_DEP_1)
	v_clz_i32_u32_e32 v161, v160
	v_min_u32_e32 v161, 32, v161
	s_delay_alu instid0(VALU_DEP_1) | instskip(SKIP_1) | instid1(VALU_DEP_2)
	v_subrev_nc_u32_e32 v162, 28, v161
	v_sub_nc_u32_e32 v161, 29, v161
	v_lshlrev_b32_e32 v12, v162, v12
	v_bfe_u32 v162, v8, 27, 4
	v_and_b32_e32 v8, 0x80000000, v8
	s_delay_alu instid0(VALU_DEP_2) | instskip(NEXT) | instid1(VALU_DEP_4)
	v_cmp_eq_u32_e32 vcc_lo, 0, v162
	v_dual_cndmask_b32 v161, v162, v161 :: v_dual_and_b32 v12, 7, v12
	s_delay_alu instid0(VALU_DEP_1) | instskip(NEXT) | instid1(VALU_DEP_2)
	v_cndmask_b32_e32 v12, v160, v12, vcc_lo
	v_lshl_add_u32 v160, v161, 23, 0x3b800000
	s_delay_alu instid0(VALU_DEP_2) | instskip(NEXT) | instid1(VALU_DEP_1)
	v_lshlrev_b32_e32 v12, 20, v12
	v_or3_b32 v160, v8, v160, v12
.LBB2_2077:                             ;   in Loop: Header=BB2_2021 Depth=3
	s_or_b32 exec_lo, exec_lo, s14
	s_delay_alu instid0(VALU_DEP_1) | instskip(NEXT) | instid1(VALU_DEP_1)
	v_add_f32_e32 v12, v151, v160
	v_and_b32_e32 v8, 0x7f800000, v12
	s_delay_alu instid0(VALU_DEP_1)
	v_cmp_ne_u32_e32 vcc_lo, 0x7f800000, v8
	v_mov_b32_e32 v8, 0x80
	s_and_saveexec_b32 s3, vcc_lo
	s_cbranch_execz .LBB2_2085
; %bb.2078:                             ;   in Loop: Header=BB2_2021 Depth=3
	v_mov_b32_e32 v8, 0
	s_mov_b32 s15, exec_lo
	v_cmpx_ne_u32_e32 0, v12
	s_cbranch_execz .LBB2_2084
; %bb.2079:                             ;   in Loop: Header=BB2_2021 Depth=3
	v_bfe_u32 v8, v12, 23, 8
	v_and_b32_e32 v151, 0x7fffff, v12
	s_delay_alu instid0(VALU_DEP_2) | instskip(SKIP_1) | instid1(VALU_DEP_3)
	v_sub_nc_u32_e32 v160, 0x78, v8
	v_cmp_gt_u32_e32 vcc_lo, 0x79, v8
	v_or_b32_e32 v161, 0x800000, v151
	s_delay_alu instid0(VALU_DEP_3) | instskip(SKIP_1) | instid1(VALU_DEP_3)
	v_cndmask_b32_e32 v160, 0, v160, vcc_lo
	v_cmp_eq_u32_e32 vcc_lo, 0, v8
	v_dual_cndmask_b32 v151, v161, v151 :: v_dual_add_nc_u32 v8, 0xffffff89, v8
	s_delay_alu instid0(VALU_DEP_3) | instskip(NEXT) | instid1(VALU_DEP_2)
	v_cndmask_b32_e64 v160, v160, 0x77, vcc_lo
	v_cndmask_b32_e64 v8, v8, 0xffffff8a, vcc_lo
	s_delay_alu instid0(VALU_DEP_2) | instskip(SKIP_2) | instid1(VALU_DEP_4)
	v_lshrrev_b32_e32 v162, v160, v151
	v_lshl_add_u32 v161, 0x100000, v160, -1
	v_lshlrev_b32_e64 v164, v160, 0x80000
	v_add_nc_u32_e32 v160, v160, v8
	s_delay_alu instid0(VALU_DEP_4) | instskip(NEXT) | instid1(VALU_DEP_4)
	v_bfe_u32 v163, v162, 20, 1
	v_and_b32_e32 v151, v161, v151
	s_delay_alu instid0(VALU_DEP_2) | instskip(NEXT) | instid1(VALU_DEP_2)
	v_add_nc_u32_e32 v161, -1, v163
	v_cmp_eq_u32_e64 s14, v151, v164
	s_delay_alu instid0(VALU_DEP_1) | instskip(SKIP_2) | instid1(VALU_DEP_2)
	v_cndmask_b32_e64 v151, 0, v161, s14
	v_lshrrev_b32_e32 v161, 23, v162
	s_mov_b32 s14, exec_lo
	v_add_nc_u32_e32 v151, v151, v162
	s_delay_alu instid0(VALU_DEP_2) | instskip(NEXT) | instid1(VALU_DEP_2)
	v_xor_b32_e32 v161, 1, v161
	v_and_b32_e32 v8, 0xfffff, v151
	s_delay_alu instid0(VALU_DEP_1) | instskip(NEXT) | instid1(VALU_DEP_3)
	v_add_nc_u32_e32 v151, v8, v162
                                        ; implicit-def: $vgpr8
	v_cmpx_ne_u32_e64 v160, v161
	s_xor_b32 s14, exec_lo, s14
; %bb.2080:                             ;   in Loop: Header=BB2_2021 Depth=3
	s_delay_alu instid0(VALU_DEP_2) | instskip(SKIP_2) | instid1(VALU_DEP_2)
	v_cmp_lt_u32_e32 vcc_lo, 0xffffff, v151
	v_sub_nc_u32_e32 v8, v160, v161
	v_cndmask_b32_e64 v160, 0, 1, vcc_lo
	v_add_co_ci_u32_e32 v8, vcc_lo, 0, v8, vcc_lo
	s_delay_alu instid0(VALU_DEP_2)
	v_lshrrev_b32_e32 v151, v160, v151
; %bb.2081:                             ;   in Loop: Header=BB2_2021 Depth=3
	s_and_not1_saveexec_b32 s14, s14
; %bb.2082:                             ;   in Loop: Header=BB2_2021 Depth=3
	s_delay_alu instid0(VALU_DEP_1)
	v_bfe_u32 v8, v151, 23, 1
; %bb.2083:                             ;   in Loop: Header=BB2_2021 Depth=3
	s_or_b32 exec_lo, exec_lo, s14
	v_lshrrev_b32_e32 v151, 20, v151
	s_delay_alu instid0(VALU_DEP_2) | instskip(SKIP_2) | instid1(VALU_DEP_2)
	v_cmp_gt_i32_e32 vcc_lo, 16, v8
	v_lshrrev_b32_e32 v12, 24, v12
	v_min_i32_e32 v160, 15, v8
	v_dual_cndmask_b32 v151, 7, v151 :: v_dual_and_b32 v12, 0x80, v12
	s_delay_alu instid0(VALU_DEP_2) | instskip(NEXT) | instid1(VALU_DEP_2)
	v_lshlrev_b32_e32 v160, 3, v160
	v_or_b32_e32 v8, v8, v151
	s_delay_alu instid0(VALU_DEP_1) | instskip(SKIP_1) | instid1(VALU_DEP_1)
	v_cmp_ne_u32_e32 vcc_lo, 0, v8
	v_and_b32_e32 v161, 7, v151
	v_or3_b32 v12, v160, v12, v161
	s_delay_alu instid0(VALU_DEP_1)
	v_cndmask_b32_e32 v8, 0, v12, vcc_lo
.LBB2_2084:                             ;   in Loop: Header=BB2_2021 Depth=3
	s_or_b32 exec_lo, exec_lo, s15
.LBB2_2085:                             ;   in Loop: Header=BB2_2021 Depth=3
	s_delay_alu instid0(SALU_CYCLE_1) | instskip(SKIP_3) | instid1(VALU_DEP_1)
	s_or_b32 exec_lo, exec_lo, s3
	v_and_b32_e32 v151, 0xff, v13
	s_mov_b32 s3, 0
	s_mov_b32 s15, exec_lo
                                        ; implicit-def: $sgpr14
	v_cmpx_lt_i16_e64 0x7f, v151
	s_xor_b32 s15, exec_lo, s15
	s_cbranch_execnz .LBB2_2312
; %bb.2086:                             ;   in Loop: Header=BB2_2021 Depth=3
	s_or_saveexec_b32 s15, s15
	v_mov_b32_e32 v12, s14
	s_xor_b32 exec_lo, exec_lo, s15
	s_cbranch_execnz .LBB2_2315
.LBB2_2087:                             ;   in Loop: Header=BB2_2021 Depth=3
	s_or_b32 exec_lo, exec_lo, s15
	s_and_saveexec_b32 s14, s3
	s_cbranch_execz .LBB2_2089
.LBB2_2088:                             ;   in Loop: Header=BB2_2021 Depth=3
	v_bfe_u32 v161, v13, 3, 4
	v_lshlrev_b32_e32 v162, 24, v13
	s_delay_alu instid0(VALU_DEP_2) | instskip(SKIP_1) | instid1(VALU_DEP_1)
	v_cmp_eq_u32_e32 vcc_lo, 0, v161
	v_and_b32_e32 v12, 7, v13
	v_clz_i32_u32_e32 v151, v12
	s_delay_alu instid0(VALU_DEP_1) | instskip(NEXT) | instid1(VALU_DEP_1)
	v_min_u32_e32 v151, 32, v151
	v_subrev_nc_u32_e32 v160, 28, v151
	v_sub_nc_u32_e32 v151, 29, v151
	s_delay_alu instid0(VALU_DEP_1) | instskip(NEXT) | instid1(VALU_DEP_1)
	v_dual_cndmask_b32 v151, v161, v151 :: v_dual_lshlrev_b32 v160, v160, v13
	v_and_b32_e32 v160, 7, v160
	s_delay_alu instid0(VALU_DEP_2) | instskip(NEXT) | instid1(VALU_DEP_2)
	v_lshl_add_u32 v151, v151, 23, 0x3b800000
	v_cndmask_b32_e32 v12, v12, v160, vcc_lo
	v_and_b32_e32 v160, 0x80000000, v162
	s_delay_alu instid0(VALU_DEP_2) | instskip(NEXT) | instid1(VALU_DEP_1)
	v_lshlrev_b32_e32 v12, 20, v12
	v_or3_b32 v12, v160, v151, v12
.LBB2_2089:                             ;   in Loop: Header=BB2_2021 Depth=3
	s_or_b32 exec_lo, exec_lo, s14
	v_and_b32_e32 v160, 0xff, v9
	s_mov_b32 s3, 0
	s_mov_b32 s15, exec_lo
                                        ; implicit-def: $sgpr14
	s_delay_alu instid0(VALU_DEP_1)
	v_cmpx_lt_i16_e64 0x7f, v160
	s_xor_b32 s15, exec_lo, s15
	s_cbranch_execnz .LBB2_2316
; %bb.2090:                             ;   in Loop: Header=BB2_2021 Depth=3
	s_or_saveexec_b32 s15, s15
	v_mov_b32_e32 v151, s14
	s_xor_b32 exec_lo, exec_lo, s15
	s_cbranch_execnz .LBB2_2319
.LBB2_2091:                             ;   in Loop: Header=BB2_2021 Depth=3
	s_or_b32 exec_lo, exec_lo, s15
	s_and_saveexec_b32 s14, s3
	s_cbranch_execz .LBB2_2093
.LBB2_2092:                             ;   in Loop: Header=BB2_2021 Depth=3
	v_bfe_u32 v162, v9, 3, 4
	v_lshlrev_b32_e32 v163, 24, v9
	s_delay_alu instid0(VALU_DEP_2) | instskip(SKIP_1) | instid1(VALU_DEP_1)
	v_cmp_eq_u32_e32 vcc_lo, 0, v162
	v_and_b32_e32 v151, 7, v9
	v_clz_i32_u32_e32 v160, v151
	s_delay_alu instid0(VALU_DEP_1) | instskip(NEXT) | instid1(VALU_DEP_1)
	v_min_u32_e32 v160, 32, v160
	v_subrev_nc_u32_e32 v161, 28, v160
	v_sub_nc_u32_e32 v160, 29, v160
	s_delay_alu instid0(VALU_DEP_1) | instskip(NEXT) | instid1(VALU_DEP_1)
	v_dual_cndmask_b32 v160, v162, v160 :: v_dual_lshlrev_b32 v161, v161, v9
	v_and_b32_e32 v161, 7, v161
	s_delay_alu instid0(VALU_DEP_2) | instskip(NEXT) | instid1(VALU_DEP_2)
	v_lshl_add_u32 v160, v160, 23, 0x3b800000
	v_cndmask_b32_e32 v151, v151, v161, vcc_lo
	v_and_b32_e32 v161, 0x80000000, v163
	s_delay_alu instid0(VALU_DEP_2) | instskip(NEXT) | instid1(VALU_DEP_1)
	v_lshlrev_b32_e32 v151, 20, v151
	v_or3_b32 v151, v161, v160, v151
.LBB2_2093:                             ;   in Loop: Header=BB2_2021 Depth=3
	s_or_b32 exec_lo, exec_lo, s14
	s_delay_alu instid0(VALU_DEP_1) | instskip(NEXT) | instid1(VALU_DEP_1)
	v_add_f32_e32 v151, v12, v151
	v_and_b32_e32 v12, 0x7f800000, v151
	s_delay_alu instid0(VALU_DEP_1)
	v_cmp_ne_u32_e32 vcc_lo, 0x7f800000, v12
	v_mov_b32_e32 v12, 0x80
	s_and_saveexec_b32 s3, vcc_lo
	s_cbranch_execz .LBB2_2101
; %bb.2094:                             ;   in Loop: Header=BB2_2021 Depth=3
	v_mov_b32_e32 v12, 0
	s_mov_b32 s15, exec_lo
	v_cmpx_ne_u32_e32 0, v151
	s_cbranch_execz .LBB2_2100
; %bb.2095:                             ;   in Loop: Header=BB2_2021 Depth=3
	v_bfe_u32 v12, v151, 23, 8
	s_delay_alu instid0(VALU_DEP_1) | instskip(SKIP_1) | instid1(VALU_DEP_2)
	v_sub_nc_u32_e32 v161, 0x78, v12
	v_cmp_gt_u32_e32 vcc_lo, 0x79, v12
	v_dual_cndmask_b32 v161, 0, v161 :: v_dual_and_b32 v160, 0x7fffff, v151
	s_delay_alu instid0(VALU_DEP_1) | instskip(SKIP_2) | instid1(VALU_DEP_4)
	v_or_b32_e32 v162, 0x800000, v160
	v_cmp_eq_u32_e32 vcc_lo, 0, v12
	v_add_nc_u32_e32 v12, 0xffffff89, v12
	v_cndmask_b32_e64 v161, v161, 0x77, vcc_lo
	s_delay_alu instid0(VALU_DEP_4) | instskip(NEXT) | instid1(VALU_DEP_3)
	v_cndmask_b32_e32 v160, v162, v160, vcc_lo
	v_cndmask_b32_e64 v12, v12, 0xffffff8a, vcc_lo
	s_delay_alu instid0(VALU_DEP_3) | instskip(NEXT) | instid1(VALU_DEP_3)
	v_lshl_add_u32 v162, 0x100000, v161, -1
	v_lshrrev_b32_e32 v163, v161, v160
	v_lshlrev_b32_e64 v165, v161, 0x80000
	s_delay_alu instid0(VALU_DEP_4) | instskip(NEXT) | instid1(VALU_DEP_4)
	v_add_nc_u32_e32 v161, v161, v12
	v_and_b32_e32 v160, v162, v160
	s_delay_alu instid0(VALU_DEP_4) | instskip(NEXT) | instid1(VALU_DEP_2)
	v_bfe_u32 v164, v163, 20, 1
	v_cmp_eq_u32_e64 s14, v160, v165
	s_delay_alu instid0(VALU_DEP_2) | instskip(NEXT) | instid1(VALU_DEP_1)
	v_add_nc_u32_e32 v162, -1, v164
	v_cndmask_b32_e64 v160, 0, v162, s14
	v_lshrrev_b32_e32 v162, 23, v163
	s_mov_b32 s14, exec_lo
	s_delay_alu instid0(VALU_DEP_2) | instskip(NEXT) | instid1(VALU_DEP_2)
	v_add_nc_u32_e32 v160, v160, v163
	v_xor_b32_e32 v162, 1, v162
	s_delay_alu instid0(VALU_DEP_2) | instskip(NEXT) | instid1(VALU_DEP_1)
	v_and_b32_e32 v12, 0xfffff, v160
	v_add_nc_u32_e32 v160, v12, v163
                                        ; implicit-def: $vgpr12
	s_delay_alu instid0(VALU_DEP_3)
	v_cmpx_ne_u32_e64 v161, v162
	s_xor_b32 s14, exec_lo, s14
; %bb.2096:                             ;   in Loop: Header=BB2_2021 Depth=3
	s_delay_alu instid0(VALU_DEP_2) | instskip(SKIP_2) | instid1(VALU_DEP_2)
	v_cmp_lt_u32_e32 vcc_lo, 0xffffff, v160
	v_sub_nc_u32_e32 v12, v161, v162
	v_cndmask_b32_e64 v161, 0, 1, vcc_lo
	v_add_co_ci_u32_e32 v12, vcc_lo, 0, v12, vcc_lo
	s_delay_alu instid0(VALU_DEP_2)
	v_lshrrev_b32_e32 v160, v161, v160
; %bb.2097:                             ;   in Loop: Header=BB2_2021 Depth=3
	s_and_not1_saveexec_b32 s14, s14
; %bb.2098:                             ;   in Loop: Header=BB2_2021 Depth=3
	s_delay_alu instid0(VALU_DEP_1)
	v_bfe_u32 v12, v160, 23, 1
; %bb.2099:                             ;   in Loop: Header=BB2_2021 Depth=3
	s_or_b32 exec_lo, exec_lo, s14
	v_lshrrev_b32_e32 v160, 20, v160
	s_delay_alu instid0(VALU_DEP_2) | instskip(SKIP_2) | instid1(VALU_DEP_2)
	v_cmp_gt_i32_e32 vcc_lo, 16, v12
	v_lshrrev_b32_e32 v151, 24, v151
	v_min_i32_e32 v161, 15, v12
	v_dual_cndmask_b32 v160, 7, v160 :: v_dual_and_b32 v151, 0x80, v151
	s_delay_alu instid0(VALU_DEP_1) | instskip(SKIP_1) | instid1(VALU_DEP_2)
	v_or_b32_e32 v12, v12, v160
	v_and_b32_e32 v162, 7, v160
	v_cmp_ne_u32_e32 vcc_lo, 0, v12
	v_lshlrev_b32_e32 v161, 3, v161
	s_delay_alu instid0(VALU_DEP_1) | instskip(NEXT) | instid1(VALU_DEP_1)
	v_or3_b32 v151, v161, v151, v162
	v_cndmask_b32_e32 v12, 0, v151, vcc_lo
.LBB2_2100:                             ;   in Loop: Header=BB2_2021 Depth=3
	s_or_b32 exec_lo, exec_lo, s15
.LBB2_2101:                             ;   in Loop: Header=BB2_2021 Depth=3
	s_delay_alu instid0(SALU_CYCLE_1) | instskip(SKIP_3) | instid1(VALU_DEP_1)
	s_or_b32 exec_lo, exec_lo, s3
	v_lshrrev_b16 v160, 8, v13
	s_mov_b32 s3, 0
	s_mov_b32 s15, exec_lo
                                        ; implicit-def: $sgpr14
	v_cmpx_lt_i16_e64 0x7f, v160
	s_xor_b32 s15, exec_lo, s15
	s_cbranch_execnz .LBB2_2320
; %bb.2102:                             ;   in Loop: Header=BB2_2021 Depth=3
	s_or_saveexec_b32 s15, s15
	v_mov_b32_e32 v151, s14
	s_xor_b32 exec_lo, exec_lo, s15
	s_cbranch_execnz .LBB2_2323
.LBB2_2103:                             ;   in Loop: Header=BB2_2021 Depth=3
	s_or_b32 exec_lo, exec_lo, s15
	s_and_saveexec_b32 s14, s3
	s_cbranch_execz .LBB2_2105
.LBB2_2104:                             ;   in Loop: Header=BB2_2021 Depth=3
	v_and_b32_e32 v151, 0xffff, v160
	s_delay_alu instid0(VALU_DEP_1) | instskip(NEXT) | instid1(VALU_DEP_1)
	v_and_b32_e32 v161, 7, v151
	v_clz_i32_u32_e32 v162, v161
	s_delay_alu instid0(VALU_DEP_1) | instskip(NEXT) | instid1(VALU_DEP_1)
	v_min_u32_e32 v162, 32, v162
	v_subrev_nc_u32_e32 v163, 28, v162
	v_sub_nc_u32_e32 v162, 29, v162
	s_delay_alu instid0(VALU_DEP_2) | instskip(SKIP_1) | instid1(VALU_DEP_2)
	v_lshlrev_b32_e32 v163, v163, v151
	v_bfe_u32 v151, v151, 3, 4
	v_and_b32_e32 v163, 7, v163
	s_delay_alu instid0(VALU_DEP_2) | instskip(SKIP_1) | instid1(VALU_DEP_1)
	v_cmp_eq_u32_e32 vcc_lo, 0, v151
	v_dual_cndmask_b32 v151, v151, v162 :: v_dual_lshlrev_b32 v160, 24, v160
	v_dual_cndmask_b32 v161, v161, v163 :: v_dual_and_b32 v160, 0x80000000, v160
	s_delay_alu instid0(VALU_DEP_2) | instskip(NEXT) | instid1(VALU_DEP_2)
	v_lshl_add_u32 v151, v151, 23, 0x3b800000
	v_lshlrev_b32_e32 v161, 20, v161
	s_delay_alu instid0(VALU_DEP_1)
	v_or3_b32 v151, v160, v151, v161
.LBB2_2105:                             ;   in Loop: Header=BB2_2021 Depth=3
	s_or_b32 exec_lo, exec_lo, s14
	v_lshrrev_b16 v160, 8, v9
	s_mov_b32 s3, 0
	s_mov_b32 s15, exec_lo
                                        ; implicit-def: $sgpr14
	s_delay_alu instid0(VALU_DEP_1)
	v_cmpx_lt_i16_e64 0x7f, v160
	s_xor_b32 s15, exec_lo, s15
	s_cbranch_execnz .LBB2_2324
; %bb.2106:                             ;   in Loop: Header=BB2_2021 Depth=3
	s_or_saveexec_b32 s15, s15
	v_mov_b32_e32 v161, s14
	s_xor_b32 exec_lo, exec_lo, s15
	s_cbranch_execnz .LBB2_2327
.LBB2_2107:                             ;   in Loop: Header=BB2_2021 Depth=3
	s_or_b32 exec_lo, exec_lo, s15
	s_and_saveexec_b32 s14, s3
	s_cbranch_execz .LBB2_2109
.LBB2_2108:                             ;   in Loop: Header=BB2_2021 Depth=3
	v_and_b32_e32 v161, 0xffff, v160
	v_lshlrev_b32_e32 v160, 24, v160
	s_delay_alu instid0(VALU_DEP_2) | instskip(NEXT) | instid1(VALU_DEP_2)
	v_and_b32_e32 v162, 7, v161
	v_and_b32_e32 v160, 0x80000000, v160
	s_delay_alu instid0(VALU_DEP_2) | instskip(NEXT) | instid1(VALU_DEP_1)
	v_clz_i32_u32_e32 v163, v162
	v_min_u32_e32 v163, 32, v163
	s_delay_alu instid0(VALU_DEP_1) | instskip(SKIP_1) | instid1(VALU_DEP_2)
	v_subrev_nc_u32_e32 v164, 28, v163
	v_sub_nc_u32_e32 v163, 29, v163
	v_lshlrev_b32_e32 v164, v164, v161
	v_bfe_u32 v161, v161, 3, 4
	s_delay_alu instid0(VALU_DEP_2) | instskip(NEXT) | instid1(VALU_DEP_2)
	v_and_b32_e32 v164, 7, v164
	v_cmp_eq_u32_e32 vcc_lo, 0, v161
	s_delay_alu instid0(VALU_DEP_2) | instskip(NEXT) | instid1(VALU_DEP_1)
	v_dual_cndmask_b32 v161, v161, v163 :: v_dual_cndmask_b32 v162, v162, v164
	v_lshl_add_u32 v161, v161, 23, 0x3b800000
	s_delay_alu instid0(VALU_DEP_2) | instskip(NEXT) | instid1(VALU_DEP_1)
	v_lshlrev_b32_e32 v162, 20, v162
	v_or3_b32 v161, v160, v161, v162
.LBB2_2109:                             ;   in Loop: Header=BB2_2021 Depth=3
	s_or_b32 exec_lo, exec_lo, s14
	s_delay_alu instid0(VALU_DEP_1) | instskip(NEXT) | instid1(VALU_DEP_1)
	v_add_f32_e32 v160, v151, v161
	v_and_b32_e32 v151, 0x7f800000, v160
	s_delay_alu instid0(VALU_DEP_1)
	v_cmp_ne_u32_e32 vcc_lo, 0x7f800000, v151
	v_mov_b32_e32 v151, 0x8000
	s_and_saveexec_b32 s3, vcc_lo
	s_cbranch_execz .LBB2_2117
; %bb.2110:                             ;   in Loop: Header=BB2_2021 Depth=3
	v_mov_b32_e32 v151, 0
	s_mov_b32 s15, exec_lo
	v_cmpx_ne_u32_e32 0, v160
	s_cbranch_execz .LBB2_2116
; %bb.2111:                             ;   in Loop: Header=BB2_2021 Depth=3
	v_bfe_u32 v151, v160, 23, 8
	s_delay_alu instid0(VALU_DEP_1) | instskip(SKIP_1) | instid1(VALU_DEP_2)
	v_sub_nc_u32_e32 v162, 0x78, v151
	v_cmp_gt_u32_e32 vcc_lo, 0x79, v151
	v_dual_cndmask_b32 v162, 0, v162 :: v_dual_and_b32 v161, 0x7fffff, v160
	s_delay_alu instid0(VALU_DEP_1) | instskip(SKIP_2) | instid1(VALU_DEP_4)
	v_or_b32_e32 v163, 0x800000, v161
	v_cmp_eq_u32_e32 vcc_lo, 0, v151
	v_add_nc_u32_e32 v151, 0xffffff89, v151
	v_cndmask_b32_e64 v162, v162, 0x77, vcc_lo
	s_delay_alu instid0(VALU_DEP_2) | instskip(SKIP_1) | instid1(VALU_DEP_3)
	v_cndmask_b32_e64 v151, v151, 0xffffff8a, vcc_lo
	v_cndmask_b32_e32 v161, v163, v161, vcc_lo
	v_lshl_add_u32 v163, 0x100000, v162, -1
	v_lshlrev_b32_e64 v166, v162, 0x80000
	s_delay_alu instid0(VALU_DEP_3) | instskip(SKIP_1) | instid1(VALU_DEP_4)
	v_lshrrev_b32_e32 v164, v162, v161
	v_add_nc_u32_e32 v162, v162, v151
	v_and_b32_e32 v161, v163, v161
	s_delay_alu instid0(VALU_DEP_3) | instskip(NEXT) | instid1(VALU_DEP_2)
	v_bfe_u32 v165, v164, 20, 1
	v_cmp_eq_u32_e64 s14, v161, v166
	s_delay_alu instid0(VALU_DEP_2) | instskip(NEXT) | instid1(VALU_DEP_1)
	v_add_nc_u32_e32 v163, -1, v165
	v_cndmask_b32_e64 v161, 0, v163, s14
	v_lshrrev_b32_e32 v163, 23, v164
	s_mov_b32 s14, exec_lo
	s_delay_alu instid0(VALU_DEP_2) | instskip(NEXT) | instid1(VALU_DEP_2)
	v_add_nc_u32_e32 v161, v161, v164
	v_xor_b32_e32 v163, 1, v163
	s_delay_alu instid0(VALU_DEP_2) | instskip(NEXT) | instid1(VALU_DEP_1)
	v_and_b32_e32 v151, 0xfffff, v161
	v_add_nc_u32_e32 v161, v151, v164
                                        ; implicit-def: $vgpr151
	s_delay_alu instid0(VALU_DEP_3)
	v_cmpx_ne_u32_e64 v162, v163
	s_xor_b32 s14, exec_lo, s14
; %bb.2112:                             ;   in Loop: Header=BB2_2021 Depth=3
	s_delay_alu instid0(VALU_DEP_2) | instskip(SKIP_2) | instid1(VALU_DEP_2)
	v_cmp_lt_u32_e32 vcc_lo, 0xffffff, v161
	v_sub_nc_u32_e32 v151, v162, v163
	v_cndmask_b32_e64 v162, 0, 1, vcc_lo
	v_add_co_ci_u32_e32 v151, vcc_lo, 0, v151, vcc_lo
	s_delay_alu instid0(VALU_DEP_2)
	v_lshrrev_b32_e32 v161, v162, v161
; %bb.2113:                             ;   in Loop: Header=BB2_2021 Depth=3
	s_and_not1_saveexec_b32 s14, s14
; %bb.2114:                             ;   in Loop: Header=BB2_2021 Depth=3
	s_delay_alu instid0(VALU_DEP_1)
	v_bfe_u32 v151, v161, 23, 1
; %bb.2115:                             ;   in Loop: Header=BB2_2021 Depth=3
	s_or_b32 exec_lo, exec_lo, s14
	v_lshrrev_b32_e32 v161, 20, v161
	s_delay_alu instid0(VALU_DEP_2) | instskip(SKIP_2) | instid1(VALU_DEP_2)
	v_cmp_gt_i32_e32 vcc_lo, 16, v151
	v_min_i32_e32 v162, 15, v151
	v_lshrrev_b32_e32 v160, 24, v160
	v_dual_cndmask_b32 v161, 7, v161 :: v_dual_lshlrev_b32 v162, 3, v162
	s_delay_alu instid0(VALU_DEP_2) | instskip(NEXT) | instid1(VALU_DEP_2)
	v_and_b32_e32 v160, 0x80, v160
	v_or_b32_e32 v151, v151, v161
	v_and_b32_e32 v163, 7, v161
	s_delay_alu instid0(VALU_DEP_2) | instskip(SKIP_1) | instid1(VALU_DEP_1)
	v_cmp_ne_u32_e32 vcc_lo, 0, v151
	v_and_b32_e32 v162, 0xf8, v162
	v_or3_b32 v160, v160, v162, v163
	s_delay_alu instid0(VALU_DEP_1) | instskip(NEXT) | instid1(VALU_DEP_1)
	v_lshlrev_b32_e32 v160, 8, v160
	v_cndmask_b32_e32 v151, 0, v160, vcc_lo
.LBB2_2116:                             ;   in Loop: Header=BB2_2021 Depth=3
	s_or_b32 exec_lo, exec_lo, s15
.LBB2_2117:                             ;   in Loop: Header=BB2_2021 Depth=3
	s_delay_alu instid0(SALU_CYCLE_1) | instskip(SKIP_3) | instid1(VALU_DEP_1)
	s_or_b32 exec_lo, exec_lo, s3
	v_lshrrev_b32_e32 v161, 16, v13
	s_mov_b32 s3, 0
	s_mov_b32 s15, exec_lo
                                        ; implicit-def: $sgpr14
	v_and_b32_e32 v162, 0xff, v161
	s_delay_alu instid0(VALU_DEP_1)
	v_cmpx_lt_i16_e64 0x7f, v162
	s_xor_b32 s15, exec_lo, s15
	s_cbranch_execnz .LBB2_2328
; %bb.2118:                             ;   in Loop: Header=BB2_2021 Depth=3
	s_or_saveexec_b32 s15, s15
	v_mov_b32_e32 v160, s14
	s_xor_b32 exec_lo, exec_lo, s15
	s_cbranch_execnz .LBB2_2331
.LBB2_2119:                             ;   in Loop: Header=BB2_2021 Depth=3
	s_or_b32 exec_lo, exec_lo, s15
	s_and_saveexec_b32 s14, s3
	s_cbranch_execz .LBB2_2121
.LBB2_2120:                             ;   in Loop: Header=BB2_2021 Depth=3
	v_bfe_u32 v160, v13, 16, 3
	v_lshlrev_b32_e32 v164, 8, v13
	s_delay_alu instid0(VALU_DEP_2) | instskip(NEXT) | instid1(VALU_DEP_1)
	v_clz_i32_u32_e32 v162, v160
	v_min_u32_e32 v162, 32, v162
	s_delay_alu instid0(VALU_DEP_1) | instskip(SKIP_1) | instid1(VALU_DEP_2)
	v_subrev_nc_u32_e32 v163, 28, v162
	v_sub_nc_u32_e32 v162, 29, v162
	v_lshlrev_b32_e32 v161, v163, v161
	v_bfe_u32 v163, v13, 19, 4
	s_delay_alu instid0(VALU_DEP_1) | instskip(NEXT) | instid1(VALU_DEP_3)
	v_cmp_eq_u32_e32 vcc_lo, 0, v163
	v_dual_cndmask_b32 v162, v163, v162 :: v_dual_and_b32 v161, 7, v161
	s_delay_alu instid0(VALU_DEP_1) | instskip(NEXT) | instid1(VALU_DEP_2)
	v_dual_cndmask_b32 v160, v160, v161 :: v_dual_and_b32 v161, 0x80000000, v164
	v_lshl_add_u32 v162, v162, 23, 0x3b800000
	s_delay_alu instid0(VALU_DEP_2) | instskip(NEXT) | instid1(VALU_DEP_1)
	v_lshlrev_b32_e32 v160, 20, v160
	v_or3_b32 v160, v161, v162, v160
.LBB2_2121:                             ;   in Loop: Header=BB2_2021 Depth=3
	s_or_b32 exec_lo, exec_lo, s14
	v_lshrrev_b32_e32 v161, 16, v9
	s_mov_b32 s3, 0
	s_mov_b32 s15, exec_lo
                                        ; implicit-def: $sgpr14
	s_delay_alu instid0(VALU_DEP_1) | instskip(NEXT) | instid1(VALU_DEP_1)
	v_and_b32_e32 v163, 0xff, v161
	v_cmpx_lt_i16_e64 0x7f, v163
	s_xor_b32 s15, exec_lo, s15
	s_cbranch_execnz .LBB2_2332
; %bb.2122:                             ;   in Loop: Header=BB2_2021 Depth=3
	s_or_saveexec_b32 s15, s15
	v_mov_b32_e32 v162, s14
	s_xor_b32 exec_lo, exec_lo, s15
	s_cbranch_execnz .LBB2_2335
.LBB2_2123:                             ;   in Loop: Header=BB2_2021 Depth=3
	s_or_b32 exec_lo, exec_lo, s15
	s_and_saveexec_b32 s14, s3
	s_cbranch_execz .LBB2_2125
.LBB2_2124:                             ;   in Loop: Header=BB2_2021 Depth=3
	v_bfe_u32 v162, v9, 16, 3
	v_lshlrev_b32_e32 v165, 8, v9
	s_delay_alu instid0(VALU_DEP_2) | instskip(NEXT) | instid1(VALU_DEP_1)
	v_clz_i32_u32_e32 v163, v162
	v_min_u32_e32 v163, 32, v163
	s_delay_alu instid0(VALU_DEP_1) | instskip(SKIP_1) | instid1(VALU_DEP_2)
	v_subrev_nc_u32_e32 v164, 28, v163
	v_sub_nc_u32_e32 v163, 29, v163
	v_lshlrev_b32_e32 v161, v164, v161
	v_bfe_u32 v164, v9, 19, 4
	s_delay_alu instid0(VALU_DEP_2) | instskip(NEXT) | instid1(VALU_DEP_2)
	v_and_b32_e32 v161, 7, v161
	v_cmp_eq_u32_e32 vcc_lo, 0, v164
	v_cndmask_b32_e32 v163, v164, v163, vcc_lo
	s_delay_alu instid0(VALU_DEP_3) | instskip(SKIP_1) | instid1(VALU_DEP_3)
	v_cndmask_b32_e32 v161, v162, v161, vcc_lo
	v_and_b32_e32 v162, 0x80000000, v165
	v_lshl_add_u32 v163, v163, 23, 0x3b800000
	s_delay_alu instid0(VALU_DEP_3) | instskip(NEXT) | instid1(VALU_DEP_1)
	v_lshlrev_b32_e32 v161, 20, v161
	v_or3_b32 v162, v162, v163, v161
.LBB2_2125:                             ;   in Loop: Header=BB2_2021 Depth=3
	s_or_b32 exec_lo, exec_lo, s14
	s_delay_alu instid0(VALU_DEP_1) | instskip(NEXT) | instid1(VALU_DEP_1)
	v_add_f32_e32 v161, v160, v162
	v_and_b32_e32 v160, 0x7f800000, v161
	s_delay_alu instid0(VALU_DEP_1)
	v_cmp_ne_u32_e32 vcc_lo, 0x7f800000, v160
	v_mov_b32_e32 v160, 0x80
	s_and_saveexec_b32 s3, vcc_lo
	s_cbranch_execz .LBB2_2133
; %bb.2126:                             ;   in Loop: Header=BB2_2021 Depth=3
	v_mov_b32_e32 v160, 0
	s_mov_b32 s15, exec_lo
	v_cmpx_ne_u32_e32 0, v161
	s_cbranch_execz .LBB2_2132
; %bb.2127:                             ;   in Loop: Header=BB2_2021 Depth=3
	v_bfe_u32 v160, v161, 23, 8
	s_delay_alu instid0(VALU_DEP_1) | instskip(SKIP_1) | instid1(VALU_DEP_2)
	v_sub_nc_u32_e32 v163, 0x78, v160
	v_cmp_gt_u32_e32 vcc_lo, 0x79, v160
	v_dual_cndmask_b32 v163, 0, v163 :: v_dual_and_b32 v162, 0x7fffff, v161
	s_delay_alu instid0(VALU_DEP_1) | instskip(SKIP_2) | instid1(VALU_DEP_4)
	v_or_b32_e32 v164, 0x800000, v162
	v_cmp_eq_u32_e32 vcc_lo, 0, v160
	v_add_nc_u32_e32 v160, 0xffffff89, v160
	v_cndmask_b32_e64 v163, v163, 0x77, vcc_lo
	s_delay_alu instid0(VALU_DEP_2) | instskip(SKIP_1) | instid1(VALU_DEP_3)
	v_cndmask_b32_e64 v160, v160, 0xffffff8a, vcc_lo
	v_cndmask_b32_e32 v162, v164, v162, vcc_lo
	v_lshl_add_u32 v164, 0x100000, v163, -1
	v_lshlrev_b32_e64 v167, v163, 0x80000
	s_delay_alu instid0(VALU_DEP_3) | instskip(SKIP_1) | instid1(VALU_DEP_4)
	v_lshrrev_b32_e32 v165, v163, v162
	v_add_nc_u32_e32 v163, v163, v160
	v_and_b32_e32 v162, v164, v162
	s_delay_alu instid0(VALU_DEP_3) | instskip(NEXT) | instid1(VALU_DEP_2)
	v_bfe_u32 v166, v165, 20, 1
	v_cmp_eq_u32_e64 s14, v162, v167
	s_delay_alu instid0(VALU_DEP_2) | instskip(NEXT) | instid1(VALU_DEP_1)
	v_add_nc_u32_e32 v164, -1, v166
	v_cndmask_b32_e64 v162, 0, v164, s14
	v_lshrrev_b32_e32 v164, 23, v165
	s_mov_b32 s14, exec_lo
	s_delay_alu instid0(VALU_DEP_2) | instskip(NEXT) | instid1(VALU_DEP_2)
	v_add_nc_u32_e32 v162, v162, v165
	v_xor_b32_e32 v164, 1, v164
	s_delay_alu instid0(VALU_DEP_2) | instskip(NEXT) | instid1(VALU_DEP_1)
	v_and_b32_e32 v160, 0xfffff, v162
	v_add_nc_u32_e32 v162, v160, v165
                                        ; implicit-def: $vgpr160
	s_delay_alu instid0(VALU_DEP_3)
	v_cmpx_ne_u32_e64 v163, v164
	s_xor_b32 s14, exec_lo, s14
; %bb.2128:                             ;   in Loop: Header=BB2_2021 Depth=3
	s_delay_alu instid0(VALU_DEP_2) | instskip(SKIP_2) | instid1(VALU_DEP_2)
	v_cmp_lt_u32_e32 vcc_lo, 0xffffff, v162
	v_sub_nc_u32_e32 v160, v163, v164
	v_cndmask_b32_e64 v163, 0, 1, vcc_lo
	v_add_co_ci_u32_e32 v160, vcc_lo, 0, v160, vcc_lo
	s_delay_alu instid0(VALU_DEP_2)
	v_lshrrev_b32_e32 v162, v163, v162
; %bb.2129:                             ;   in Loop: Header=BB2_2021 Depth=3
	s_and_not1_saveexec_b32 s14, s14
; %bb.2130:                             ;   in Loop: Header=BB2_2021 Depth=3
	s_delay_alu instid0(VALU_DEP_1)
	v_bfe_u32 v160, v162, 23, 1
; %bb.2131:                             ;   in Loop: Header=BB2_2021 Depth=3
	s_or_b32 exec_lo, exec_lo, s14
	v_lshrrev_b32_e32 v162, 20, v162
	s_delay_alu instid0(VALU_DEP_2) | instskip(SKIP_2) | instid1(VALU_DEP_2)
	v_cmp_gt_i32_e32 vcc_lo, 16, v160
	v_min_i32_e32 v163, 15, v160
	v_lshrrev_b32_e32 v161, 24, v161
	v_dual_cndmask_b32 v162, 7, v162 :: v_dual_lshlrev_b32 v163, 3, v163
	s_delay_alu instid0(VALU_DEP_2) | instskip(NEXT) | instid1(VALU_DEP_2)
	v_and_b32_e32 v161, 0x80, v161
	v_or_b32_e32 v160, v160, v162
	v_and_b32_e32 v164, 7, v162
	s_delay_alu instid0(VALU_DEP_2) | instskip(SKIP_1) | instid1(VALU_DEP_1)
	v_cmp_ne_u32_e32 vcc_lo, 0, v160
	v_and_b32_e32 v163, 0xf8, v163
	v_or3_b32 v161, v163, v161, v164
	s_delay_alu instid0(VALU_DEP_1)
	v_cndmask_b32_e32 v160, 0, v161, vcc_lo
.LBB2_2132:                             ;   in Loop: Header=BB2_2021 Depth=3
	s_or_b32 exec_lo, exec_lo, s15
.LBB2_2133:                             ;   in Loop: Header=BB2_2021 Depth=3
	s_delay_alu instid0(SALU_CYCLE_1) | instskip(SKIP_3) | instid1(VALU_DEP_1)
	s_or_b32 exec_lo, exec_lo, s3
	v_lshrrev_b32_e32 v162, 24, v13
	s_mov_b32 s3, 0
	s_mov_b32 s15, exec_lo
                                        ; implicit-def: $sgpr14
	v_cmpx_lt_i16_e64 0x7f, v162
	s_xor_b32 s15, exec_lo, s15
	s_cbranch_execnz .LBB2_2336
; %bb.2134:                             ;   in Loop: Header=BB2_2021 Depth=3
	s_or_saveexec_b32 s15, s15
	v_mov_b32_e32 v161, s14
	s_xor_b32 exec_lo, exec_lo, s15
	s_cbranch_execnz .LBB2_2339
.LBB2_2135:                             ;   in Loop: Header=BB2_2021 Depth=3
	s_or_b32 exec_lo, exec_lo, s15
	s_and_saveexec_b32 s14, s3
	s_cbranch_execz .LBB2_2137
.LBB2_2136:                             ;   in Loop: Header=BB2_2021 Depth=3
	v_bfe_u32 v161, v13, 24, 3
	s_delay_alu instid0(VALU_DEP_1) | instskip(NEXT) | instid1(VALU_DEP_1)
	v_clz_i32_u32_e32 v163, v161
	v_min_u32_e32 v163, 32, v163
	s_delay_alu instid0(VALU_DEP_1) | instskip(SKIP_1) | instid1(VALU_DEP_2)
	v_subrev_nc_u32_e32 v164, 28, v163
	v_sub_nc_u32_e32 v163, 29, v163
	v_lshlrev_b32_e32 v162, v164, v162
	v_bfe_u32 v164, v13, 27, 4
	v_and_b32_e32 v13, 0x80000000, v13
	s_delay_alu instid0(VALU_DEP_2) | instskip(NEXT) | instid1(VALU_DEP_4)
	v_cmp_eq_u32_e32 vcc_lo, 0, v164
	v_dual_cndmask_b32 v163, v164, v163 :: v_dual_and_b32 v162, 7, v162
	s_delay_alu instid0(VALU_DEP_1) | instskip(NEXT) | instid1(VALU_DEP_2)
	v_cndmask_b32_e32 v161, v161, v162, vcc_lo
	v_lshl_add_u32 v162, v163, 23, 0x3b800000
	s_delay_alu instid0(VALU_DEP_2) | instskip(NEXT) | instid1(VALU_DEP_1)
	v_lshlrev_b32_e32 v161, 20, v161
	v_or3_b32 v161, v13, v162, v161
.LBB2_2137:                             ;   in Loop: Header=BB2_2021 Depth=3
	s_or_b32 exec_lo, exec_lo, s14
	v_lshrrev_b32_e32 v13, 24, v9
	s_mov_b32 s3, 0
	s_mov_b32 s15, exec_lo
                                        ; implicit-def: $sgpr14
	s_delay_alu instid0(VALU_DEP_1)
	v_cmpx_lt_i16_e32 0x7f, v13
	s_xor_b32 s15, exec_lo, s15
	s_cbranch_execnz .LBB2_2340
; %bb.2138:                             ;   in Loop: Header=BB2_2021 Depth=3
	s_or_saveexec_b32 s15, s15
	v_mov_b32_e32 v162, s14
	s_xor_b32 exec_lo, exec_lo, s15
	s_cbranch_execnz .LBB2_2343
.LBB2_2139:                             ;   in Loop: Header=BB2_2021 Depth=3
	s_or_b32 exec_lo, exec_lo, s15
	s_and_saveexec_b32 s14, s3
	s_cbranch_execz .LBB2_2141
.LBB2_2140:                             ;   in Loop: Header=BB2_2021 Depth=3
	v_bfe_u32 v162, v9, 24, 3
	s_delay_alu instid0(VALU_DEP_1) | instskip(NEXT) | instid1(VALU_DEP_1)
	v_clz_i32_u32_e32 v163, v162
	v_min_u32_e32 v163, 32, v163
	s_delay_alu instid0(VALU_DEP_1) | instskip(SKIP_1) | instid1(VALU_DEP_2)
	v_subrev_nc_u32_e32 v164, 28, v163
	v_sub_nc_u32_e32 v163, 29, v163
	v_lshlrev_b32_e32 v13, v164, v13
	v_bfe_u32 v164, v9, 27, 4
	v_and_b32_e32 v9, 0x80000000, v9
	s_delay_alu instid0(VALU_DEP_3) | instskip(NEXT) | instid1(VALU_DEP_3)
	v_and_b32_e32 v13, 7, v13
	v_cmp_eq_u32_e32 vcc_lo, 0, v164
	v_cndmask_b32_e32 v163, v164, v163, vcc_lo
	s_delay_alu instid0(VALU_DEP_3) | instskip(NEXT) | instid1(VALU_DEP_2)
	v_cndmask_b32_e32 v13, v162, v13, vcc_lo
	v_lshl_add_u32 v162, v163, 23, 0x3b800000
	s_delay_alu instid0(VALU_DEP_2) | instskip(NEXT) | instid1(VALU_DEP_1)
	v_lshlrev_b32_e32 v13, 20, v13
	v_or3_b32 v162, v9, v162, v13
.LBB2_2141:                             ;   in Loop: Header=BB2_2021 Depth=3
	s_or_b32 exec_lo, exec_lo, s14
	s_delay_alu instid0(VALU_DEP_1) | instskip(NEXT) | instid1(VALU_DEP_1)
	v_add_f32_e32 v13, v161, v162
	v_and_b32_e32 v9, 0x7f800000, v13
	s_delay_alu instid0(VALU_DEP_1)
	v_cmp_ne_u32_e32 vcc_lo, 0x7f800000, v9
	v_mov_b32_e32 v9, 0x8000
	s_and_saveexec_b32 s3, vcc_lo
	s_cbranch_execz .LBB2_2149
; %bb.2142:                             ;   in Loop: Header=BB2_2021 Depth=3
	v_mov_b32_e32 v9, 0
	s_mov_b32 s15, exec_lo
	v_cmpx_ne_u32_e32 0, v13
	s_cbranch_execz .LBB2_2148
; %bb.2143:                             ;   in Loop: Header=BB2_2021 Depth=3
	v_bfe_u32 v9, v13, 23, 8
	s_delay_alu instid0(VALU_DEP_1) | instskip(SKIP_1) | instid1(VALU_DEP_2)
	v_sub_nc_u32_e32 v162, 0x78, v9
	v_cmp_gt_u32_e32 vcc_lo, 0x79, v9
	v_dual_cndmask_b32 v162, 0, v162 :: v_dual_and_b32 v161, 0x7fffff, v13
	s_delay_alu instid0(VALU_DEP_1) | instskip(SKIP_2) | instid1(VALU_DEP_4)
	v_or_b32_e32 v163, 0x800000, v161
	v_cmp_eq_u32_e32 vcc_lo, 0, v9
	v_add_nc_u32_e32 v9, 0xffffff89, v9
	v_cndmask_b32_e64 v162, v162, 0x77, vcc_lo
	s_delay_alu instid0(VALU_DEP_4) | instskip(NEXT) | instid1(VALU_DEP_3)
	v_cndmask_b32_e32 v161, v163, v161, vcc_lo
	v_cndmask_b32_e64 v9, v9, 0xffffff8a, vcc_lo
	s_delay_alu instid0(VALU_DEP_3) | instskip(NEXT) | instid1(VALU_DEP_3)
	v_lshl_add_u32 v163, 0x100000, v162, -1
	v_lshrrev_b32_e32 v164, v162, v161
	v_lshlrev_b32_e64 v166, v162, 0x80000
	s_delay_alu instid0(VALU_DEP_4) | instskip(NEXT) | instid1(VALU_DEP_4)
	v_add_nc_u32_e32 v162, v162, v9
	v_and_b32_e32 v161, v163, v161
	s_delay_alu instid0(VALU_DEP_4) | instskip(NEXT) | instid1(VALU_DEP_2)
	v_bfe_u32 v165, v164, 20, 1
	v_cmp_eq_u32_e64 s14, v161, v166
	s_delay_alu instid0(VALU_DEP_2) | instskip(NEXT) | instid1(VALU_DEP_1)
	v_add_nc_u32_e32 v163, -1, v165
	v_cndmask_b32_e64 v161, 0, v163, s14
	v_lshrrev_b32_e32 v163, 23, v164
	s_mov_b32 s14, exec_lo
	s_delay_alu instid0(VALU_DEP_2) | instskip(NEXT) | instid1(VALU_DEP_2)
	v_add_nc_u32_e32 v161, v161, v164
	v_xor_b32_e32 v163, 1, v163
	s_delay_alu instid0(VALU_DEP_2) | instskip(NEXT) | instid1(VALU_DEP_1)
	v_and_b32_e32 v9, 0xfffff, v161
	v_add_nc_u32_e32 v161, v9, v164
                                        ; implicit-def: $vgpr9
	s_delay_alu instid0(VALU_DEP_3)
	v_cmpx_ne_u32_e64 v162, v163
	s_xor_b32 s14, exec_lo, s14
; %bb.2144:                             ;   in Loop: Header=BB2_2021 Depth=3
	s_delay_alu instid0(VALU_DEP_2) | instskip(SKIP_2) | instid1(VALU_DEP_2)
	v_cmp_lt_u32_e32 vcc_lo, 0xffffff, v161
	v_sub_nc_u32_e32 v9, v162, v163
	v_cndmask_b32_e64 v162, 0, 1, vcc_lo
	v_add_co_ci_u32_e32 v9, vcc_lo, 0, v9, vcc_lo
	s_delay_alu instid0(VALU_DEP_2)
	v_lshrrev_b32_e32 v161, v162, v161
; %bb.2145:                             ;   in Loop: Header=BB2_2021 Depth=3
	s_and_not1_saveexec_b32 s14, s14
; %bb.2146:                             ;   in Loop: Header=BB2_2021 Depth=3
	s_delay_alu instid0(VALU_DEP_1)
	v_bfe_u32 v9, v161, 23, 1
; %bb.2147:                             ;   in Loop: Header=BB2_2021 Depth=3
	s_or_b32 exec_lo, exec_lo, s14
	v_lshrrev_b32_e32 v161, 20, v161
	s_delay_alu instid0(VALU_DEP_2) | instskip(SKIP_2) | instid1(VALU_DEP_2)
	v_cmp_gt_i32_e32 vcc_lo, 16, v9
	v_min_i32_e32 v162, 15, v9
	v_lshrrev_b32_e32 v13, 24, v13
	v_dual_cndmask_b32 v161, 7, v161 :: v_dual_lshlrev_b32 v162, 3, v162
	s_delay_alu instid0(VALU_DEP_2) | instskip(NEXT) | instid1(VALU_DEP_2)
	v_and_b32_e32 v13, 0x80, v13
	v_or_b32_e32 v9, v9, v161
	v_and_b32_e32 v163, 7, v161
	s_delay_alu instid0(VALU_DEP_2) | instskip(SKIP_1) | instid1(VALU_DEP_1)
	v_cmp_ne_u32_e32 vcc_lo, 0, v9
	v_and_b32_e32 v162, 0xf8, v162
	v_or3_b32 v13, v13, v162, v163
	s_delay_alu instid0(VALU_DEP_1) | instskip(NEXT) | instid1(VALU_DEP_1)
	v_lshlrev_b32_e32 v13, 8, v13
	v_cndmask_b32_e32 v9, 0, v13, vcc_lo
.LBB2_2148:                             ;   in Loop: Header=BB2_2021 Depth=3
	s_or_b32 exec_lo, exec_lo, s15
.LBB2_2149:                             ;   in Loop: Header=BB2_2021 Depth=3
	s_delay_alu instid0(SALU_CYCLE_1) | instskip(SKIP_3) | instid1(VALU_DEP_1)
	s_or_b32 exec_lo, exec_lo, s3
	v_and_b32_e32 v161, 0xff, v14
	s_mov_b32 s3, 0
	s_mov_b32 s15, exec_lo
                                        ; implicit-def: $sgpr14
	v_cmpx_lt_i16_e64 0x7f, v161
	s_xor_b32 s15, exec_lo, s15
	s_cbranch_execnz .LBB2_2344
; %bb.2150:                             ;   in Loop: Header=BB2_2021 Depth=3
	s_or_saveexec_b32 s15, s15
	v_mov_b32_e32 v13, s14
	s_xor_b32 exec_lo, exec_lo, s15
	s_cbranch_execnz .LBB2_2347
.LBB2_2151:                             ;   in Loop: Header=BB2_2021 Depth=3
	s_or_b32 exec_lo, exec_lo, s15
	s_and_saveexec_b32 s14, s3
	s_cbranch_execz .LBB2_2153
.LBB2_2152:                             ;   in Loop: Header=BB2_2021 Depth=3
	v_and_b32_e32 v13, 7, v14
	v_bfe_u32 v163, v14, 3, 4
	v_lshlrev_b32_e32 v164, 24, v14
	s_delay_alu instid0(VALU_DEP_3) | instskip(NEXT) | instid1(VALU_DEP_3)
	v_clz_i32_u32_e32 v161, v13
	v_cmp_eq_u32_e32 vcc_lo, 0, v163
	s_delay_alu instid0(VALU_DEP_2) | instskip(NEXT) | instid1(VALU_DEP_1)
	v_min_u32_e32 v161, 32, v161
	v_subrev_nc_u32_e32 v162, 28, v161
	v_sub_nc_u32_e32 v161, 29, v161
	s_delay_alu instid0(VALU_DEP_1) | instskip(NEXT) | instid1(VALU_DEP_1)
	v_dual_cndmask_b32 v161, v163, v161 :: v_dual_lshlrev_b32 v162, v162, v14
	v_and_b32_e32 v162, 7, v162
	s_delay_alu instid0(VALU_DEP_2) | instskip(NEXT) | instid1(VALU_DEP_2)
	v_lshl_add_u32 v161, v161, 23, 0x3b800000
	v_dual_cndmask_b32 v13, v13, v162 :: v_dual_and_b32 v162, 0x80000000, v164
	s_delay_alu instid0(VALU_DEP_1) | instskip(NEXT) | instid1(VALU_DEP_1)
	v_lshlrev_b32_e32 v13, 20, v13
	v_or3_b32 v13, v162, v161, v13
.LBB2_2153:                             ;   in Loop: Header=BB2_2021 Depth=3
	s_or_b32 exec_lo, exec_lo, s14
	v_and_b32_e32 v162, 0xff, v10
	s_mov_b32 s3, 0
	s_mov_b32 s15, exec_lo
                                        ; implicit-def: $sgpr14
	s_delay_alu instid0(VALU_DEP_1)
	v_cmpx_lt_i16_e64 0x7f, v162
	s_xor_b32 s15, exec_lo, s15
	s_cbranch_execnz .LBB2_2348
; %bb.2154:                             ;   in Loop: Header=BB2_2021 Depth=3
	s_or_saveexec_b32 s15, s15
	v_mov_b32_e32 v161, s14
	s_xor_b32 exec_lo, exec_lo, s15
	s_cbranch_execnz .LBB2_2351
.LBB2_2155:                             ;   in Loop: Header=BB2_2021 Depth=3
	s_or_b32 exec_lo, exec_lo, s15
	s_and_saveexec_b32 s14, s3
	s_cbranch_execz .LBB2_2157
.LBB2_2156:                             ;   in Loop: Header=BB2_2021 Depth=3
	v_and_b32_e32 v161, 7, v10
	v_bfe_u32 v164, v10, 3, 4
	v_lshlrev_b32_e32 v165, 24, v10
	s_delay_alu instid0(VALU_DEP_3) | instskip(NEXT) | instid1(VALU_DEP_3)
	v_clz_i32_u32_e32 v162, v161
	v_cmp_eq_u32_e32 vcc_lo, 0, v164
	s_delay_alu instid0(VALU_DEP_2) | instskip(NEXT) | instid1(VALU_DEP_1)
	v_min_u32_e32 v162, 32, v162
	v_subrev_nc_u32_e32 v163, 28, v162
	v_sub_nc_u32_e32 v162, 29, v162
	s_delay_alu instid0(VALU_DEP_2) | instskip(NEXT) | instid1(VALU_DEP_1)
	v_lshlrev_b32_e32 v163, v163, v10
	v_dual_cndmask_b32 v162, v164, v162 :: v_dual_and_b32 v163, 7, v163
	s_delay_alu instid0(VALU_DEP_1) | instskip(NEXT) | instid1(VALU_DEP_2)
	v_lshl_add_u32 v162, v162, 23, 0x3b800000
	v_cndmask_b32_e32 v161, v161, v163, vcc_lo
	v_and_b32_e32 v163, 0x80000000, v165
	s_delay_alu instid0(VALU_DEP_2) | instskip(NEXT) | instid1(VALU_DEP_1)
	v_lshlrev_b32_e32 v161, 20, v161
	v_or3_b32 v161, v163, v162, v161
.LBB2_2157:                             ;   in Loop: Header=BB2_2021 Depth=3
	s_or_b32 exec_lo, exec_lo, s14
	s_delay_alu instid0(VALU_DEP_1) | instskip(NEXT) | instid1(VALU_DEP_1)
	v_add_f32_e32 v161, v13, v161
	v_and_b32_e32 v13, 0x7f800000, v161
	s_delay_alu instid0(VALU_DEP_1)
	v_cmp_ne_u32_e32 vcc_lo, 0x7f800000, v13
	v_mov_b32_e32 v13, 0x80
	s_and_saveexec_b32 s3, vcc_lo
	s_cbranch_execz .LBB2_2165
; %bb.2158:                             ;   in Loop: Header=BB2_2021 Depth=3
	v_mov_b32_e32 v13, 0
	s_mov_b32 s15, exec_lo
	v_cmpx_ne_u32_e32 0, v161
	s_cbranch_execz .LBB2_2164
; %bb.2159:                             ;   in Loop: Header=BB2_2021 Depth=3
	v_bfe_u32 v13, v161, 23, 8
	s_delay_alu instid0(VALU_DEP_1) | instskip(SKIP_1) | instid1(VALU_DEP_2)
	v_sub_nc_u32_e32 v163, 0x78, v13
	v_cmp_gt_u32_e32 vcc_lo, 0x79, v13
	v_dual_cndmask_b32 v163, 0, v163 :: v_dual_and_b32 v162, 0x7fffff, v161
	s_delay_alu instid0(VALU_DEP_1) | instskip(SKIP_2) | instid1(VALU_DEP_4)
	v_or_b32_e32 v164, 0x800000, v162
	v_cmp_eq_u32_e32 vcc_lo, 0, v13
	v_add_nc_u32_e32 v13, 0xffffff89, v13
	v_cndmask_b32_e64 v163, v163, 0x77, vcc_lo
	s_delay_alu instid0(VALU_DEP_4) | instskip(NEXT) | instid1(VALU_DEP_3)
	v_cndmask_b32_e32 v162, v164, v162, vcc_lo
	v_cndmask_b32_e64 v13, v13, 0xffffff8a, vcc_lo
	s_delay_alu instid0(VALU_DEP_3) | instskip(NEXT) | instid1(VALU_DEP_3)
	v_lshl_add_u32 v164, 0x100000, v163, -1
	v_lshrrev_b32_e32 v165, v163, v162
	v_lshlrev_b32_e64 v167, v163, 0x80000
	s_delay_alu instid0(VALU_DEP_4) | instskip(NEXT) | instid1(VALU_DEP_4)
	v_add_nc_u32_e32 v163, v163, v13
	v_and_b32_e32 v162, v164, v162
	s_delay_alu instid0(VALU_DEP_4) | instskip(NEXT) | instid1(VALU_DEP_2)
	v_bfe_u32 v166, v165, 20, 1
	v_cmp_eq_u32_e64 s14, v162, v167
	s_delay_alu instid0(VALU_DEP_2) | instskip(NEXT) | instid1(VALU_DEP_1)
	v_add_nc_u32_e32 v164, -1, v166
	v_cndmask_b32_e64 v162, 0, v164, s14
	v_lshrrev_b32_e32 v164, 23, v165
	s_mov_b32 s14, exec_lo
	s_delay_alu instid0(VALU_DEP_2) | instskip(NEXT) | instid1(VALU_DEP_2)
	v_add_nc_u32_e32 v162, v162, v165
	v_xor_b32_e32 v164, 1, v164
	s_delay_alu instid0(VALU_DEP_2) | instskip(NEXT) | instid1(VALU_DEP_1)
	v_and_b32_e32 v13, 0xfffff, v162
	v_add_nc_u32_e32 v162, v13, v165
                                        ; implicit-def: $vgpr13
	s_delay_alu instid0(VALU_DEP_3)
	v_cmpx_ne_u32_e64 v163, v164
	s_xor_b32 s14, exec_lo, s14
; %bb.2160:                             ;   in Loop: Header=BB2_2021 Depth=3
	s_delay_alu instid0(VALU_DEP_2) | instskip(SKIP_2) | instid1(VALU_DEP_2)
	v_cmp_lt_u32_e32 vcc_lo, 0xffffff, v162
	v_sub_nc_u32_e32 v13, v163, v164
	v_cndmask_b32_e64 v163, 0, 1, vcc_lo
	v_add_co_ci_u32_e32 v13, vcc_lo, 0, v13, vcc_lo
	s_delay_alu instid0(VALU_DEP_2)
	v_lshrrev_b32_e32 v162, v163, v162
; %bb.2161:                             ;   in Loop: Header=BB2_2021 Depth=3
	s_and_not1_saveexec_b32 s14, s14
; %bb.2162:                             ;   in Loop: Header=BB2_2021 Depth=3
	s_delay_alu instid0(VALU_DEP_1)
	v_bfe_u32 v13, v162, 23, 1
; %bb.2163:                             ;   in Loop: Header=BB2_2021 Depth=3
	s_or_b32 exec_lo, exec_lo, s14
	v_lshrrev_b32_e32 v162, 20, v162
	s_delay_alu instid0(VALU_DEP_2) | instskip(SKIP_2) | instid1(VALU_DEP_2)
	v_cmp_gt_i32_e32 vcc_lo, 16, v13
	v_lshrrev_b32_e32 v161, 24, v161
	v_min_i32_e32 v163, 15, v13
	v_dual_cndmask_b32 v162, 7, v162 :: v_dual_and_b32 v161, 0x80, v161
	s_delay_alu instid0(VALU_DEP_2) | instskip(NEXT) | instid1(VALU_DEP_2)
	v_lshlrev_b32_e32 v163, 3, v163
	v_or_b32_e32 v13, v13, v162
	s_delay_alu instid0(VALU_DEP_1) | instskip(SKIP_1) | instid1(VALU_DEP_1)
	v_cmp_ne_u32_e32 vcc_lo, 0, v13
	v_and_b32_e32 v164, 7, v162
	v_or3_b32 v161, v163, v161, v164
	s_delay_alu instid0(VALU_DEP_1)
	v_cndmask_b32_e32 v13, 0, v161, vcc_lo
.LBB2_2164:                             ;   in Loop: Header=BB2_2021 Depth=3
	s_or_b32 exec_lo, exec_lo, s15
.LBB2_2165:                             ;   in Loop: Header=BB2_2021 Depth=3
	s_delay_alu instid0(SALU_CYCLE_1) | instskip(SKIP_3) | instid1(VALU_DEP_1)
	s_or_b32 exec_lo, exec_lo, s3
	v_lshrrev_b16 v162, 8, v14
	s_mov_b32 s3, 0
	s_mov_b32 s15, exec_lo
                                        ; implicit-def: $sgpr14
	v_cmpx_lt_i16_e64 0x7f, v162
	s_xor_b32 s15, exec_lo, s15
	s_cbranch_execnz .LBB2_2352
; %bb.2166:                             ;   in Loop: Header=BB2_2021 Depth=3
	s_or_saveexec_b32 s15, s15
	v_mov_b32_e32 v161, s14
	s_xor_b32 exec_lo, exec_lo, s15
	s_cbranch_execnz .LBB2_2355
.LBB2_2167:                             ;   in Loop: Header=BB2_2021 Depth=3
	s_or_b32 exec_lo, exec_lo, s15
	s_and_saveexec_b32 s14, s3
	s_cbranch_execz .LBB2_2169
.LBB2_2168:                             ;   in Loop: Header=BB2_2021 Depth=3
	v_and_b32_e32 v161, 0xffff, v162
	s_delay_alu instid0(VALU_DEP_1) | instskip(NEXT) | instid1(VALU_DEP_1)
	v_and_b32_e32 v163, 7, v161
	v_clz_i32_u32_e32 v164, v163
	s_delay_alu instid0(VALU_DEP_1) | instskip(NEXT) | instid1(VALU_DEP_1)
	v_min_u32_e32 v164, 32, v164
	v_subrev_nc_u32_e32 v165, 28, v164
	v_sub_nc_u32_e32 v164, 29, v164
	s_delay_alu instid0(VALU_DEP_2) | instskip(SKIP_1) | instid1(VALU_DEP_2)
	v_lshlrev_b32_e32 v165, v165, v161
	v_bfe_u32 v161, v161, 3, 4
	v_and_b32_e32 v165, 7, v165
	s_delay_alu instid0(VALU_DEP_2) | instskip(SKIP_1) | instid1(VALU_DEP_1)
	v_cmp_eq_u32_e32 vcc_lo, 0, v161
	v_dual_cndmask_b32 v161, v161, v164 :: v_dual_lshlrev_b32 v162, 24, v162
	v_dual_cndmask_b32 v163, v163, v165 :: v_dual_and_b32 v162, 0x80000000, v162
	s_delay_alu instid0(VALU_DEP_2) | instskip(NEXT) | instid1(VALU_DEP_2)
	v_lshl_add_u32 v161, v161, 23, 0x3b800000
	v_lshlrev_b32_e32 v163, 20, v163
	s_delay_alu instid0(VALU_DEP_1)
	v_or3_b32 v161, v162, v161, v163
.LBB2_2169:                             ;   in Loop: Header=BB2_2021 Depth=3
	s_or_b32 exec_lo, exec_lo, s14
	v_lshrrev_b16 v162, 8, v10
	s_mov_b32 s3, 0
	s_mov_b32 s15, exec_lo
                                        ; implicit-def: $sgpr14
	s_delay_alu instid0(VALU_DEP_1)
	v_cmpx_lt_i16_e64 0x7f, v162
	s_xor_b32 s15, exec_lo, s15
	s_cbranch_execnz .LBB2_2356
; %bb.2170:                             ;   in Loop: Header=BB2_2021 Depth=3
	s_or_saveexec_b32 s15, s15
	v_mov_b32_e32 v163, s14
	s_xor_b32 exec_lo, exec_lo, s15
	s_cbranch_execnz .LBB2_2359
.LBB2_2171:                             ;   in Loop: Header=BB2_2021 Depth=3
	s_or_b32 exec_lo, exec_lo, s15
	s_and_saveexec_b32 s14, s3
	s_cbranch_execz .LBB2_2173
.LBB2_2172:                             ;   in Loop: Header=BB2_2021 Depth=3
	v_and_b32_e32 v163, 0xffff, v162
	v_lshlrev_b32_e32 v162, 24, v162
	s_delay_alu instid0(VALU_DEP_2) | instskip(NEXT) | instid1(VALU_DEP_2)
	v_and_b32_e32 v164, 7, v163
	v_and_b32_e32 v162, 0x80000000, v162
	s_delay_alu instid0(VALU_DEP_2) | instskip(NEXT) | instid1(VALU_DEP_1)
	v_clz_i32_u32_e32 v165, v164
	v_min_u32_e32 v165, 32, v165
	s_delay_alu instid0(VALU_DEP_1) | instskip(SKIP_1) | instid1(VALU_DEP_2)
	v_subrev_nc_u32_e32 v166, 28, v165
	v_sub_nc_u32_e32 v165, 29, v165
	v_lshlrev_b32_e32 v166, v166, v163
	v_bfe_u32 v163, v163, 3, 4
	s_delay_alu instid0(VALU_DEP_2) | instskip(NEXT) | instid1(VALU_DEP_2)
	v_and_b32_e32 v166, 7, v166
	v_cmp_eq_u32_e32 vcc_lo, 0, v163
	s_delay_alu instid0(VALU_DEP_2) | instskip(NEXT) | instid1(VALU_DEP_1)
	v_dual_cndmask_b32 v163, v163, v165 :: v_dual_cndmask_b32 v164, v164, v166
	v_lshl_add_u32 v163, v163, 23, 0x3b800000
	s_delay_alu instid0(VALU_DEP_2) | instskip(NEXT) | instid1(VALU_DEP_1)
	v_lshlrev_b32_e32 v164, 20, v164
	v_or3_b32 v163, v162, v163, v164
.LBB2_2173:                             ;   in Loop: Header=BB2_2021 Depth=3
	s_or_b32 exec_lo, exec_lo, s14
	s_delay_alu instid0(VALU_DEP_1) | instskip(NEXT) | instid1(VALU_DEP_1)
	v_add_f32_e32 v162, v161, v163
	v_and_b32_e32 v161, 0x7f800000, v162
	s_delay_alu instid0(VALU_DEP_1)
	v_cmp_ne_u32_e32 vcc_lo, 0x7f800000, v161
	v_mov_b32_e32 v161, 0x80
	s_and_saveexec_b32 s3, vcc_lo
	s_cbranch_execz .LBB2_2181
; %bb.2174:                             ;   in Loop: Header=BB2_2021 Depth=3
	v_mov_b32_e32 v161, 0
	s_mov_b32 s15, exec_lo
	v_cmpx_ne_u32_e32 0, v162
	s_cbranch_execz .LBB2_2180
; %bb.2175:                             ;   in Loop: Header=BB2_2021 Depth=3
	v_bfe_u32 v161, v162, 23, 8
	s_delay_alu instid0(VALU_DEP_1) | instskip(SKIP_1) | instid1(VALU_DEP_2)
	v_sub_nc_u32_e32 v164, 0x78, v161
	v_cmp_gt_u32_e32 vcc_lo, 0x79, v161
	v_dual_cndmask_b32 v164, 0, v164 :: v_dual_and_b32 v163, 0x7fffff, v162
	s_delay_alu instid0(VALU_DEP_1) | instskip(SKIP_2) | instid1(VALU_DEP_4)
	v_or_b32_e32 v165, 0x800000, v163
	v_cmp_eq_u32_e32 vcc_lo, 0, v161
	v_add_nc_u32_e32 v161, 0xffffff89, v161
	v_cndmask_b32_e64 v164, v164, 0x77, vcc_lo
	s_delay_alu instid0(VALU_DEP_2) | instskip(SKIP_1) | instid1(VALU_DEP_3)
	v_cndmask_b32_e64 v161, v161, 0xffffff8a, vcc_lo
	v_cndmask_b32_e32 v163, v165, v163, vcc_lo
	v_lshl_add_u32 v165, 0x100000, v164, -1
	v_lshlrev_b32_e64 v176, v164, 0x80000
	s_delay_alu instid0(VALU_DEP_3) | instskip(SKIP_1) | instid1(VALU_DEP_4)
	v_lshrrev_b32_e32 v166, v164, v163
	v_add_nc_u32_e32 v164, v164, v161
	v_and_b32_e32 v163, v165, v163
	s_delay_alu instid0(VALU_DEP_3) | instskip(NEXT) | instid1(VALU_DEP_2)
	v_bfe_u32 v167, v166, 20, 1
	v_cmp_eq_u32_e64 s14, v163, v176
	s_delay_alu instid0(VALU_DEP_2) | instskip(NEXT) | instid1(VALU_DEP_1)
	v_add_nc_u32_e32 v165, -1, v167
	v_cndmask_b32_e64 v163, 0, v165, s14
	v_lshrrev_b32_e32 v165, 23, v166
	s_mov_b32 s14, exec_lo
	s_delay_alu instid0(VALU_DEP_2) | instskip(NEXT) | instid1(VALU_DEP_2)
	v_add_nc_u32_e32 v163, v163, v166
	v_xor_b32_e32 v165, 1, v165
	s_delay_alu instid0(VALU_DEP_2) | instskip(NEXT) | instid1(VALU_DEP_1)
	v_and_b32_e32 v161, 0xfffff, v163
	v_add_nc_u32_e32 v163, v161, v166
                                        ; implicit-def: $vgpr161
	s_delay_alu instid0(VALU_DEP_3)
	v_cmpx_ne_u32_e64 v164, v165
	s_xor_b32 s14, exec_lo, s14
; %bb.2176:                             ;   in Loop: Header=BB2_2021 Depth=3
	s_delay_alu instid0(VALU_DEP_2) | instskip(SKIP_2) | instid1(VALU_DEP_2)
	v_cmp_lt_u32_e32 vcc_lo, 0xffffff, v163
	v_sub_nc_u32_e32 v161, v164, v165
	v_cndmask_b32_e64 v164, 0, 1, vcc_lo
	v_add_co_ci_u32_e32 v161, vcc_lo, 0, v161, vcc_lo
	s_delay_alu instid0(VALU_DEP_2)
	v_lshrrev_b32_e32 v163, v164, v163
; %bb.2177:                             ;   in Loop: Header=BB2_2021 Depth=3
	s_and_not1_saveexec_b32 s14, s14
; %bb.2178:                             ;   in Loop: Header=BB2_2021 Depth=3
	s_delay_alu instid0(VALU_DEP_1)
	v_bfe_u32 v161, v163, 23, 1
; %bb.2179:                             ;   in Loop: Header=BB2_2021 Depth=3
	s_or_b32 exec_lo, exec_lo, s14
	v_lshrrev_b32_e32 v163, 20, v163
	s_delay_alu instid0(VALU_DEP_2) | instskip(SKIP_2) | instid1(VALU_DEP_2)
	v_cmp_gt_i32_e32 vcc_lo, 16, v161
	v_lshrrev_b32_e32 v162, 24, v162
	v_min_i32_e32 v164, 15, v161
	v_dual_cndmask_b32 v163, 7, v163 :: v_dual_and_b32 v162, 0x80, v162
	s_delay_alu instid0(VALU_DEP_1) | instskip(SKIP_1) | instid1(VALU_DEP_2)
	v_or_b32_e32 v161, v161, v163
	v_and_b32_e32 v165, 7, v163
	v_cmp_ne_u32_e32 vcc_lo, 0, v161
	v_lshlrev_b32_e32 v164, 3, v164
	s_delay_alu instid0(VALU_DEP_1) | instskip(NEXT) | instid1(VALU_DEP_1)
	v_or3_b32 v162, v164, v162, v165
	v_cndmask_b32_e32 v161, 0, v162, vcc_lo
.LBB2_2180:                             ;   in Loop: Header=BB2_2021 Depth=3
	s_or_b32 exec_lo, exec_lo, s15
.LBB2_2181:                             ;   in Loop: Header=BB2_2021 Depth=3
	s_delay_alu instid0(SALU_CYCLE_1) | instskip(SKIP_3) | instid1(VALU_DEP_1)
	s_or_b32 exec_lo, exec_lo, s3
	v_lshrrev_b32_e32 v163, 16, v14
	s_mov_b32 s3, 0
	s_mov_b32 s15, exec_lo
                                        ; implicit-def: $sgpr14
	v_and_b32_e32 v164, 0xff, v163
	s_delay_alu instid0(VALU_DEP_1)
	v_cmpx_lt_i16_e64 0x7f, v164
	s_xor_b32 s15, exec_lo, s15
	s_cbranch_execnz .LBB2_2360
; %bb.2182:                             ;   in Loop: Header=BB2_2021 Depth=3
	s_or_saveexec_b32 s15, s15
	v_mov_b32_e32 v162, s14
	s_xor_b32 exec_lo, exec_lo, s15
	s_cbranch_execnz .LBB2_2363
.LBB2_2183:                             ;   in Loop: Header=BB2_2021 Depth=3
	s_or_b32 exec_lo, exec_lo, s15
	s_and_saveexec_b32 s14, s3
	s_cbranch_execz .LBB2_2185
.LBB2_2184:                             ;   in Loop: Header=BB2_2021 Depth=3
	v_bfe_u32 v162, v14, 16, 3
	v_lshlrev_b32_e32 v166, 8, v14
	s_delay_alu instid0(VALU_DEP_2) | instskip(NEXT) | instid1(VALU_DEP_1)
	v_clz_i32_u32_e32 v164, v162
	v_min_u32_e32 v164, 32, v164
	s_delay_alu instid0(VALU_DEP_1) | instskip(SKIP_1) | instid1(VALU_DEP_2)
	v_subrev_nc_u32_e32 v165, 28, v164
	v_sub_nc_u32_e32 v164, 29, v164
	v_lshlrev_b32_e32 v163, v165, v163
	v_bfe_u32 v165, v14, 19, 4
	s_delay_alu instid0(VALU_DEP_1) | instskip(NEXT) | instid1(VALU_DEP_3)
	v_cmp_eq_u32_e32 vcc_lo, 0, v165
	v_dual_cndmask_b32 v164, v165, v164 :: v_dual_and_b32 v163, 7, v163
	s_delay_alu instid0(VALU_DEP_1) | instskip(NEXT) | instid1(VALU_DEP_2)
	v_dual_cndmask_b32 v162, v162, v163 :: v_dual_and_b32 v163, 0x80000000, v166
	v_lshl_add_u32 v164, v164, 23, 0x3b800000
	s_delay_alu instid0(VALU_DEP_2) | instskip(NEXT) | instid1(VALU_DEP_1)
	v_lshlrev_b32_e32 v162, 20, v162
	v_or3_b32 v162, v163, v164, v162
.LBB2_2185:                             ;   in Loop: Header=BB2_2021 Depth=3
	s_or_b32 exec_lo, exec_lo, s14
	v_lshrrev_b32_e32 v163, 16, v10
	s_mov_b32 s3, 0
	s_mov_b32 s15, exec_lo
                                        ; implicit-def: $sgpr14
	s_delay_alu instid0(VALU_DEP_1) | instskip(NEXT) | instid1(VALU_DEP_1)
	v_and_b32_e32 v165, 0xff, v163
	v_cmpx_lt_i16_e64 0x7f, v165
	s_xor_b32 s15, exec_lo, s15
	s_cbranch_execnz .LBB2_2364
; %bb.2186:                             ;   in Loop: Header=BB2_2021 Depth=3
	s_or_saveexec_b32 s15, s15
	v_mov_b32_e32 v164, s14
	s_xor_b32 exec_lo, exec_lo, s15
	s_cbranch_execnz .LBB2_2367
.LBB2_2187:                             ;   in Loop: Header=BB2_2021 Depth=3
	s_or_b32 exec_lo, exec_lo, s15
	s_and_saveexec_b32 s14, s3
	s_cbranch_execz .LBB2_2189
.LBB2_2188:                             ;   in Loop: Header=BB2_2021 Depth=3
	v_bfe_u32 v164, v10, 16, 3
	v_lshlrev_b32_e32 v167, 8, v10
	s_delay_alu instid0(VALU_DEP_2) | instskip(NEXT) | instid1(VALU_DEP_1)
	v_clz_i32_u32_e32 v165, v164
	v_min_u32_e32 v165, 32, v165
	s_delay_alu instid0(VALU_DEP_1) | instskip(SKIP_1) | instid1(VALU_DEP_2)
	v_subrev_nc_u32_e32 v166, 28, v165
	v_sub_nc_u32_e32 v165, 29, v165
	v_lshlrev_b32_e32 v163, v166, v163
	v_bfe_u32 v166, v10, 19, 4
	s_delay_alu instid0(VALU_DEP_2) | instskip(NEXT) | instid1(VALU_DEP_2)
	v_and_b32_e32 v163, 7, v163
	v_cmp_eq_u32_e32 vcc_lo, 0, v166
	v_cndmask_b32_e32 v165, v166, v165, vcc_lo
	s_delay_alu instid0(VALU_DEP_3) | instskip(SKIP_1) | instid1(VALU_DEP_3)
	v_cndmask_b32_e32 v163, v164, v163, vcc_lo
	v_and_b32_e32 v164, 0x80000000, v167
	v_lshl_add_u32 v165, v165, 23, 0x3b800000
	s_delay_alu instid0(VALU_DEP_3) | instskip(NEXT) | instid1(VALU_DEP_1)
	v_lshlrev_b32_e32 v163, 20, v163
	v_or3_b32 v164, v164, v165, v163
.LBB2_2189:                             ;   in Loop: Header=BB2_2021 Depth=3
	s_or_b32 exec_lo, exec_lo, s14
	s_delay_alu instid0(VALU_DEP_1) | instskip(NEXT) | instid1(VALU_DEP_1)
	v_add_f32_e32 v163, v162, v164
	v_and_b32_e32 v162, 0x7f800000, v163
	s_delay_alu instid0(VALU_DEP_1)
	v_cmp_ne_u32_e32 vcc_lo, 0x7f800000, v162
	v_mov_b32_e32 v162, 0x80
	s_and_saveexec_b32 s3, vcc_lo
	s_cbranch_execz .LBB2_2197
; %bb.2190:                             ;   in Loop: Header=BB2_2021 Depth=3
	v_mov_b32_e32 v162, 0
	s_mov_b32 s15, exec_lo
	v_cmpx_ne_u32_e32 0, v163
	s_cbranch_execz .LBB2_2196
; %bb.2191:                             ;   in Loop: Header=BB2_2021 Depth=3
	v_bfe_u32 v162, v163, 23, 8
	s_delay_alu instid0(VALU_DEP_1) | instskip(SKIP_1) | instid1(VALU_DEP_2)
	v_sub_nc_u32_e32 v165, 0x78, v162
	v_cmp_gt_u32_e32 vcc_lo, 0x79, v162
	v_dual_cndmask_b32 v165, 0, v165 :: v_dual_and_b32 v164, 0x7fffff, v163
	s_delay_alu instid0(VALU_DEP_1) | instskip(SKIP_2) | instid1(VALU_DEP_4)
	v_or_b32_e32 v166, 0x800000, v164
	v_cmp_eq_u32_e32 vcc_lo, 0, v162
	v_add_nc_u32_e32 v162, 0xffffff89, v162
	v_cndmask_b32_e64 v165, v165, 0x77, vcc_lo
	s_delay_alu instid0(VALU_DEP_2) | instskip(SKIP_1) | instid1(VALU_DEP_3)
	v_cndmask_b32_e64 v162, v162, 0xffffff8a, vcc_lo
	v_cndmask_b32_e32 v164, v166, v164, vcc_lo
	v_lshl_add_u32 v166, 0x100000, v165, -1
	v_lshlrev_b32_e64 v177, v165, 0x80000
	s_delay_alu instid0(VALU_DEP_3) | instskip(SKIP_1) | instid1(VALU_DEP_4)
	v_lshrrev_b32_e32 v167, v165, v164
	v_add_nc_u32_e32 v165, v165, v162
	v_and_b32_e32 v164, v166, v164
	s_delay_alu instid0(VALU_DEP_3) | instskip(NEXT) | instid1(VALU_DEP_2)
	v_bfe_u32 v176, v167, 20, 1
	v_cmp_eq_u32_e64 s14, v164, v177
	s_delay_alu instid0(VALU_DEP_2) | instskip(NEXT) | instid1(VALU_DEP_1)
	v_add_nc_u32_e32 v166, -1, v176
	v_cndmask_b32_e64 v164, 0, v166, s14
	v_lshrrev_b32_e32 v166, 23, v167
	s_mov_b32 s14, exec_lo
	s_delay_alu instid0(VALU_DEP_2) | instskip(NEXT) | instid1(VALU_DEP_2)
	v_add_nc_u32_e32 v164, v164, v167
	v_xor_b32_e32 v166, 1, v166
	s_delay_alu instid0(VALU_DEP_2) | instskip(NEXT) | instid1(VALU_DEP_1)
	v_and_b32_e32 v162, 0xfffff, v164
	v_add_nc_u32_e32 v164, v162, v167
                                        ; implicit-def: $vgpr162
	s_delay_alu instid0(VALU_DEP_3)
	v_cmpx_ne_u32_e64 v165, v166
	s_xor_b32 s14, exec_lo, s14
; %bb.2192:                             ;   in Loop: Header=BB2_2021 Depth=3
	s_delay_alu instid0(VALU_DEP_2) | instskip(SKIP_2) | instid1(VALU_DEP_2)
	v_cmp_lt_u32_e32 vcc_lo, 0xffffff, v164
	v_sub_nc_u32_e32 v162, v165, v166
	v_cndmask_b32_e64 v165, 0, 1, vcc_lo
	v_add_co_ci_u32_e32 v162, vcc_lo, 0, v162, vcc_lo
	s_delay_alu instid0(VALU_DEP_2)
	v_lshrrev_b32_e32 v164, v165, v164
; %bb.2193:                             ;   in Loop: Header=BB2_2021 Depth=3
	s_and_not1_saveexec_b32 s14, s14
; %bb.2194:                             ;   in Loop: Header=BB2_2021 Depth=3
	s_delay_alu instid0(VALU_DEP_1)
	v_bfe_u32 v162, v164, 23, 1
; %bb.2195:                             ;   in Loop: Header=BB2_2021 Depth=3
	s_or_b32 exec_lo, exec_lo, s14
	v_lshrrev_b32_e32 v164, 20, v164
	s_delay_alu instid0(VALU_DEP_2) | instskip(SKIP_2) | instid1(VALU_DEP_2)
	v_cmp_gt_i32_e32 vcc_lo, 16, v162
	v_lshrrev_b32_e32 v163, 24, v163
	v_min_i32_e32 v165, 15, v162
	v_dual_cndmask_b32 v164, 7, v164 :: v_dual_and_b32 v163, 0x80, v163
	s_delay_alu instid0(VALU_DEP_1) | instskip(SKIP_1) | instid1(VALU_DEP_2)
	v_or_b32_e32 v162, v162, v164
	v_and_b32_e32 v166, 7, v164
	v_cmp_ne_u32_e32 vcc_lo, 0, v162
	v_lshlrev_b32_e32 v165, 3, v165
	s_delay_alu instid0(VALU_DEP_1) | instskip(NEXT) | instid1(VALU_DEP_1)
	v_or3_b32 v163, v165, v163, v166
	v_cndmask_b32_e32 v162, 0, v163, vcc_lo
.LBB2_2196:                             ;   in Loop: Header=BB2_2021 Depth=3
	s_or_b32 exec_lo, exec_lo, s15
.LBB2_2197:                             ;   in Loop: Header=BB2_2021 Depth=3
	s_delay_alu instid0(SALU_CYCLE_1) | instskip(SKIP_3) | instid1(VALU_DEP_1)
	s_or_b32 exec_lo, exec_lo, s3
	v_lshrrev_b32_e32 v164, 24, v14
	s_mov_b32 s3, 0
	s_mov_b32 s15, exec_lo
                                        ; implicit-def: $sgpr14
	v_cmpx_lt_i16_e64 0x7f, v164
	s_xor_b32 s15, exec_lo, s15
	s_cbranch_execnz .LBB2_2368
; %bb.2198:                             ;   in Loop: Header=BB2_2021 Depth=3
	s_or_saveexec_b32 s15, s15
	v_mov_b32_e32 v163, s14
	s_xor_b32 exec_lo, exec_lo, s15
	s_cbranch_execnz .LBB2_2371
.LBB2_2199:                             ;   in Loop: Header=BB2_2021 Depth=3
	s_or_b32 exec_lo, exec_lo, s15
	s_and_saveexec_b32 s14, s3
	s_cbranch_execz .LBB2_2201
.LBB2_2200:                             ;   in Loop: Header=BB2_2021 Depth=3
	v_bfe_u32 v163, v14, 24, 3
	s_delay_alu instid0(VALU_DEP_1) | instskip(NEXT) | instid1(VALU_DEP_1)
	v_clz_i32_u32_e32 v165, v163
	v_min_u32_e32 v165, 32, v165
	s_delay_alu instid0(VALU_DEP_1) | instskip(SKIP_1) | instid1(VALU_DEP_2)
	v_subrev_nc_u32_e32 v166, 28, v165
	v_sub_nc_u32_e32 v165, 29, v165
	v_lshlrev_b32_e32 v164, v166, v164
	v_bfe_u32 v166, v14, 27, 4
	v_and_b32_e32 v14, 0x80000000, v14
	s_delay_alu instid0(VALU_DEP_2) | instskip(NEXT) | instid1(VALU_DEP_4)
	v_cmp_eq_u32_e32 vcc_lo, 0, v166
	v_dual_cndmask_b32 v165, v166, v165 :: v_dual_and_b32 v164, 7, v164
	s_delay_alu instid0(VALU_DEP_1) | instskip(NEXT) | instid1(VALU_DEP_2)
	v_cndmask_b32_e32 v163, v163, v164, vcc_lo
	v_lshl_add_u32 v164, v165, 23, 0x3b800000
	s_delay_alu instid0(VALU_DEP_2) | instskip(NEXT) | instid1(VALU_DEP_1)
	v_lshlrev_b32_e32 v163, 20, v163
	v_or3_b32 v163, v14, v164, v163
.LBB2_2201:                             ;   in Loop: Header=BB2_2021 Depth=3
	s_or_b32 exec_lo, exec_lo, s14
	v_lshrrev_b32_e32 v14, 24, v10
	s_mov_b32 s3, 0
	s_mov_b32 s15, exec_lo
                                        ; implicit-def: $sgpr14
	s_delay_alu instid0(VALU_DEP_1)
	v_cmpx_lt_i16_e32 0x7f, v14
	s_xor_b32 s15, exec_lo, s15
	s_cbranch_execnz .LBB2_2372
; %bb.2202:                             ;   in Loop: Header=BB2_2021 Depth=3
	s_or_saveexec_b32 s15, s15
	v_mov_b32_e32 v164, s14
	s_xor_b32 exec_lo, exec_lo, s15
	s_cbranch_execnz .LBB2_2375
.LBB2_2203:                             ;   in Loop: Header=BB2_2021 Depth=3
	s_or_b32 exec_lo, exec_lo, s15
	s_and_saveexec_b32 s14, s3
	s_cbranch_execz .LBB2_2205
.LBB2_2204:                             ;   in Loop: Header=BB2_2021 Depth=3
	v_bfe_u32 v164, v10, 24, 3
	s_delay_alu instid0(VALU_DEP_1) | instskip(NEXT) | instid1(VALU_DEP_1)
	v_clz_i32_u32_e32 v165, v164
	v_min_u32_e32 v165, 32, v165
	s_delay_alu instid0(VALU_DEP_1) | instskip(SKIP_1) | instid1(VALU_DEP_2)
	v_subrev_nc_u32_e32 v166, 28, v165
	v_sub_nc_u32_e32 v165, 29, v165
	v_lshlrev_b32_e32 v14, v166, v14
	v_bfe_u32 v166, v10, 27, 4
	v_and_b32_e32 v10, 0x80000000, v10
	s_delay_alu instid0(VALU_DEP_2) | instskip(NEXT) | instid1(VALU_DEP_4)
	v_cmp_eq_u32_e32 vcc_lo, 0, v166
	v_dual_cndmask_b32 v165, v166, v165 :: v_dual_and_b32 v14, 7, v14
	s_delay_alu instid0(VALU_DEP_1) | instskip(NEXT) | instid1(VALU_DEP_2)
	v_cndmask_b32_e32 v14, v164, v14, vcc_lo
	v_lshl_add_u32 v164, v165, 23, 0x3b800000
	s_delay_alu instid0(VALU_DEP_2) | instskip(NEXT) | instid1(VALU_DEP_1)
	v_lshlrev_b32_e32 v14, 20, v14
	v_or3_b32 v164, v10, v164, v14
.LBB2_2205:                             ;   in Loop: Header=BB2_2021 Depth=3
	s_or_b32 exec_lo, exec_lo, s14
	s_delay_alu instid0(VALU_DEP_1) | instskip(NEXT) | instid1(VALU_DEP_1)
	v_add_f32_e32 v14, v163, v164
	v_and_b32_e32 v10, 0x7f800000, v14
	s_delay_alu instid0(VALU_DEP_1)
	v_cmp_ne_u32_e32 vcc_lo, 0x7f800000, v10
	v_mov_b32_e32 v10, 0x80
	s_and_saveexec_b32 s3, vcc_lo
	s_cbranch_execz .LBB2_2213
; %bb.2206:                             ;   in Loop: Header=BB2_2021 Depth=3
	v_mov_b32_e32 v10, 0
	s_mov_b32 s15, exec_lo
	v_cmpx_ne_u32_e32 0, v14
	s_cbranch_execz .LBB2_2212
; %bb.2207:                             ;   in Loop: Header=BB2_2021 Depth=3
	v_bfe_u32 v10, v14, 23, 8
	s_delay_alu instid0(VALU_DEP_1) | instskip(SKIP_1) | instid1(VALU_DEP_2)
	v_sub_nc_u32_e32 v164, 0x78, v10
	v_cmp_gt_u32_e32 vcc_lo, 0x79, v10
	v_dual_cndmask_b32 v164, 0, v164 :: v_dual_and_b32 v163, 0x7fffff, v14
	s_delay_alu instid0(VALU_DEP_1) | instskip(SKIP_2) | instid1(VALU_DEP_4)
	v_or_b32_e32 v165, 0x800000, v163
	v_cmp_eq_u32_e32 vcc_lo, 0, v10
	v_add_nc_u32_e32 v10, 0xffffff89, v10
	v_cndmask_b32_e64 v164, v164, 0x77, vcc_lo
	s_delay_alu instid0(VALU_DEP_4) | instskip(NEXT) | instid1(VALU_DEP_3)
	v_cndmask_b32_e32 v163, v165, v163, vcc_lo
	v_cndmask_b32_e64 v10, v10, 0xffffff8a, vcc_lo
	s_delay_alu instid0(VALU_DEP_3) | instskip(NEXT) | instid1(VALU_DEP_3)
	v_lshl_add_u32 v165, 0x100000, v164, -1
	v_lshrrev_b32_e32 v166, v164, v163
	v_lshlrev_b32_e64 v176, v164, 0x80000
	s_delay_alu instid0(VALU_DEP_4) | instskip(NEXT) | instid1(VALU_DEP_4)
	v_add_nc_u32_e32 v164, v164, v10
	v_and_b32_e32 v163, v165, v163
	s_delay_alu instid0(VALU_DEP_4) | instskip(NEXT) | instid1(VALU_DEP_2)
	v_bfe_u32 v167, v166, 20, 1
	v_cmp_eq_u32_e64 s14, v163, v176
	s_delay_alu instid0(VALU_DEP_2) | instskip(NEXT) | instid1(VALU_DEP_1)
	v_add_nc_u32_e32 v165, -1, v167
	v_cndmask_b32_e64 v163, 0, v165, s14
	v_lshrrev_b32_e32 v165, 23, v166
	s_mov_b32 s14, exec_lo
	s_delay_alu instid0(VALU_DEP_2) | instskip(NEXT) | instid1(VALU_DEP_2)
	v_add_nc_u32_e32 v163, v163, v166
	v_xor_b32_e32 v165, 1, v165
	s_delay_alu instid0(VALU_DEP_2) | instskip(NEXT) | instid1(VALU_DEP_1)
	v_and_b32_e32 v10, 0xfffff, v163
	v_add_nc_u32_e32 v163, v10, v166
                                        ; implicit-def: $vgpr10
	s_delay_alu instid0(VALU_DEP_3)
	v_cmpx_ne_u32_e64 v164, v165
	s_xor_b32 s14, exec_lo, s14
; %bb.2208:                             ;   in Loop: Header=BB2_2021 Depth=3
	s_delay_alu instid0(VALU_DEP_2) | instskip(SKIP_2) | instid1(VALU_DEP_2)
	v_cmp_lt_u32_e32 vcc_lo, 0xffffff, v163
	v_sub_nc_u32_e32 v10, v164, v165
	v_cndmask_b32_e64 v164, 0, 1, vcc_lo
	v_add_co_ci_u32_e32 v10, vcc_lo, 0, v10, vcc_lo
	s_delay_alu instid0(VALU_DEP_2)
	v_lshrrev_b32_e32 v163, v164, v163
; %bb.2209:                             ;   in Loop: Header=BB2_2021 Depth=3
	s_and_not1_saveexec_b32 s14, s14
; %bb.2210:                             ;   in Loop: Header=BB2_2021 Depth=3
	s_delay_alu instid0(VALU_DEP_1)
	v_bfe_u32 v10, v163, 23, 1
; %bb.2211:                             ;   in Loop: Header=BB2_2021 Depth=3
	s_or_b32 exec_lo, exec_lo, s14
	v_lshrrev_b32_e32 v163, 20, v163
	s_delay_alu instid0(VALU_DEP_2) | instskip(SKIP_2) | instid1(VALU_DEP_2)
	v_cmp_gt_i32_e32 vcc_lo, 16, v10
	v_lshrrev_b32_e32 v14, 24, v14
	v_min_i32_e32 v164, 15, v10
	v_dual_cndmask_b32 v163, 7, v163 :: v_dual_and_b32 v14, 0x80, v14
	s_delay_alu instid0(VALU_DEP_2) | instskip(NEXT) | instid1(VALU_DEP_2)
	v_lshlrev_b32_e32 v164, 3, v164
	v_or_b32_e32 v10, v10, v163
	s_delay_alu instid0(VALU_DEP_1) | instskip(SKIP_1) | instid1(VALU_DEP_1)
	v_cmp_ne_u32_e32 vcc_lo, 0, v10
	v_and_b32_e32 v165, 7, v163
	v_or3_b32 v14, v164, v14, v165
	s_delay_alu instid0(VALU_DEP_1)
	v_cndmask_b32_e32 v10, 0, v14, vcc_lo
.LBB2_2212:                             ;   in Loop: Header=BB2_2021 Depth=3
	s_or_b32 exec_lo, exec_lo, s15
.LBB2_2213:                             ;   in Loop: Header=BB2_2021 Depth=3
	s_delay_alu instid0(SALU_CYCLE_1) | instskip(SKIP_3) | instid1(VALU_DEP_1)
	s_or_b32 exec_lo, exec_lo, s3
	v_and_b32_e32 v163, 0xff, v15
	s_mov_b32 s3, 0
	s_mov_b32 s15, exec_lo
                                        ; implicit-def: $sgpr14
	v_cmpx_lt_i16_e64 0x7f, v163
	s_xor_b32 s15, exec_lo, s15
	s_cbranch_execnz .LBB2_2376
; %bb.2214:                             ;   in Loop: Header=BB2_2021 Depth=3
	s_or_saveexec_b32 s15, s15
	v_mov_b32_e32 v14, s14
	s_xor_b32 exec_lo, exec_lo, s15
	s_cbranch_execnz .LBB2_2379
.LBB2_2215:                             ;   in Loop: Header=BB2_2021 Depth=3
	s_or_b32 exec_lo, exec_lo, s15
	s_and_saveexec_b32 s14, s3
	s_cbranch_execz .LBB2_2217
.LBB2_2216:                             ;   in Loop: Header=BB2_2021 Depth=3
	v_and_b32_e32 v14, 7, v15
	v_bfe_u32 v165, v15, 3, 4
	v_lshlrev_b32_e32 v166, 24, v15
	s_delay_alu instid0(VALU_DEP_3) | instskip(NEXT) | instid1(VALU_DEP_3)
	v_clz_i32_u32_e32 v163, v14
	v_cmp_eq_u32_e32 vcc_lo, 0, v165
	s_delay_alu instid0(VALU_DEP_2) | instskip(NEXT) | instid1(VALU_DEP_1)
	v_min_u32_e32 v163, 32, v163
	v_subrev_nc_u32_e32 v164, 28, v163
	v_sub_nc_u32_e32 v163, 29, v163
	s_delay_alu instid0(VALU_DEP_2) | instskip(NEXT) | instid1(VALU_DEP_1)
	v_lshlrev_b32_e32 v164, v164, v15
	v_dual_cndmask_b32 v163, v165, v163 :: v_dual_and_b32 v164, 7, v164
	s_delay_alu instid0(VALU_DEP_1) | instskip(NEXT) | instid1(VALU_DEP_2)
	v_lshl_add_u32 v163, v163, 23, 0x3b800000
	v_cndmask_b32_e32 v14, v14, v164, vcc_lo
	v_and_b32_e32 v164, 0x80000000, v166
	s_delay_alu instid0(VALU_DEP_2) | instskip(NEXT) | instid1(VALU_DEP_1)
	v_lshlrev_b32_e32 v14, 20, v14
	v_or3_b32 v14, v164, v163, v14
.LBB2_2217:                             ;   in Loop: Header=BB2_2021 Depth=3
	s_or_b32 exec_lo, exec_lo, s14
	v_and_b32_e32 v164, 0xff, v11
	s_mov_b32 s3, 0
	s_mov_b32 s15, exec_lo
                                        ; implicit-def: $sgpr14
	s_delay_alu instid0(VALU_DEP_1)
	v_cmpx_lt_i16_e64 0x7f, v164
	s_xor_b32 s15, exec_lo, s15
	s_cbranch_execnz .LBB2_2380
; %bb.2218:                             ;   in Loop: Header=BB2_2021 Depth=3
	s_or_saveexec_b32 s15, s15
	v_mov_b32_e32 v163, s14
	s_xor_b32 exec_lo, exec_lo, s15
	s_cbranch_execnz .LBB2_2383
.LBB2_2219:                             ;   in Loop: Header=BB2_2021 Depth=3
	s_or_b32 exec_lo, exec_lo, s15
	s_and_saveexec_b32 s14, s3
	s_cbranch_execz .LBB2_2221
.LBB2_2220:                             ;   in Loop: Header=BB2_2021 Depth=3
	v_bfe_u32 v166, v11, 3, 4
	v_lshlrev_b32_e32 v167, 24, v11
	s_delay_alu instid0(VALU_DEP_2) | instskip(SKIP_1) | instid1(VALU_DEP_1)
	v_cmp_eq_u32_e32 vcc_lo, 0, v166
	v_and_b32_e32 v163, 7, v11
	v_clz_i32_u32_e32 v164, v163
	s_delay_alu instid0(VALU_DEP_1) | instskip(NEXT) | instid1(VALU_DEP_1)
	v_min_u32_e32 v164, 32, v164
	v_subrev_nc_u32_e32 v165, 28, v164
	v_sub_nc_u32_e32 v164, 29, v164
	s_delay_alu instid0(VALU_DEP_1) | instskip(NEXT) | instid1(VALU_DEP_1)
	v_dual_cndmask_b32 v164, v166, v164 :: v_dual_lshlrev_b32 v165, v165, v11
	v_and_b32_e32 v165, 7, v165
	s_delay_alu instid0(VALU_DEP_2) | instskip(NEXT) | instid1(VALU_DEP_2)
	v_lshl_add_u32 v164, v164, 23, 0x3b800000
	v_cndmask_b32_e32 v163, v163, v165, vcc_lo
	v_and_b32_e32 v165, 0x80000000, v167
	s_delay_alu instid0(VALU_DEP_2) | instskip(NEXT) | instid1(VALU_DEP_1)
	v_lshlrev_b32_e32 v163, 20, v163
	v_or3_b32 v163, v165, v164, v163
.LBB2_2221:                             ;   in Loop: Header=BB2_2021 Depth=3
	s_or_b32 exec_lo, exec_lo, s14
	s_delay_alu instid0(VALU_DEP_1) | instskip(NEXT) | instid1(VALU_DEP_1)
	v_add_f32_e32 v163, v14, v163
	v_and_b32_e32 v14, 0x7f800000, v163
	s_delay_alu instid0(VALU_DEP_1)
	v_cmp_ne_u32_e32 vcc_lo, 0x7f800000, v14
	v_mov_b32_e32 v14, 0x80
	s_and_saveexec_b32 s3, vcc_lo
	s_cbranch_execz .LBB2_2229
; %bb.2222:                             ;   in Loop: Header=BB2_2021 Depth=3
	v_mov_b32_e32 v14, 0
	s_mov_b32 s15, exec_lo
	v_cmpx_ne_u32_e32 0, v163
	s_cbranch_execz .LBB2_2228
; %bb.2223:                             ;   in Loop: Header=BB2_2021 Depth=3
	v_bfe_u32 v14, v163, 23, 8
	s_delay_alu instid0(VALU_DEP_1) | instskip(SKIP_1) | instid1(VALU_DEP_2)
	v_sub_nc_u32_e32 v165, 0x78, v14
	v_cmp_gt_u32_e32 vcc_lo, 0x79, v14
	v_dual_cndmask_b32 v165, 0, v165 :: v_dual_and_b32 v164, 0x7fffff, v163
	s_delay_alu instid0(VALU_DEP_1) | instskip(SKIP_2) | instid1(VALU_DEP_4)
	v_or_b32_e32 v166, 0x800000, v164
	v_cmp_eq_u32_e32 vcc_lo, 0, v14
	v_add_nc_u32_e32 v14, 0xffffff89, v14
	v_cndmask_b32_e64 v165, v165, 0x77, vcc_lo
	s_delay_alu instid0(VALU_DEP_2) | instskip(SKIP_1) | instid1(VALU_DEP_3)
	v_cndmask_b32_e64 v14, v14, 0xffffff8a, vcc_lo
	v_cndmask_b32_e32 v164, v166, v164, vcc_lo
	v_lshl_add_u32 v166, 0x100000, v165, -1
	v_lshlrev_b32_e64 v177, v165, 0x80000
	s_delay_alu instid0(VALU_DEP_3) | instskip(SKIP_1) | instid1(VALU_DEP_4)
	v_lshrrev_b32_e32 v167, v165, v164
	v_add_nc_u32_e32 v165, v165, v14
	v_and_b32_e32 v164, v166, v164
	s_delay_alu instid0(VALU_DEP_3) | instskip(NEXT) | instid1(VALU_DEP_2)
	v_bfe_u32 v176, v167, 20, 1
	v_cmp_eq_u32_e64 s14, v164, v177
	s_delay_alu instid0(VALU_DEP_2) | instskip(NEXT) | instid1(VALU_DEP_1)
	v_add_nc_u32_e32 v166, -1, v176
	v_cndmask_b32_e64 v164, 0, v166, s14
	v_lshrrev_b32_e32 v166, 23, v167
	s_mov_b32 s14, exec_lo
	s_delay_alu instid0(VALU_DEP_2) | instskip(NEXT) | instid1(VALU_DEP_2)
	v_add_nc_u32_e32 v164, v164, v167
	v_xor_b32_e32 v166, 1, v166
	s_delay_alu instid0(VALU_DEP_2) | instskip(NEXT) | instid1(VALU_DEP_1)
	v_and_b32_e32 v14, 0xfffff, v164
	v_add_nc_u32_e32 v164, v14, v167
                                        ; implicit-def: $vgpr14
	s_delay_alu instid0(VALU_DEP_3)
	v_cmpx_ne_u32_e64 v165, v166
	s_xor_b32 s14, exec_lo, s14
; %bb.2224:                             ;   in Loop: Header=BB2_2021 Depth=3
	s_delay_alu instid0(VALU_DEP_2) | instskip(SKIP_2) | instid1(VALU_DEP_2)
	v_cmp_lt_u32_e32 vcc_lo, 0xffffff, v164
	v_sub_nc_u32_e32 v14, v165, v166
	v_cndmask_b32_e64 v165, 0, 1, vcc_lo
	v_add_co_ci_u32_e32 v14, vcc_lo, 0, v14, vcc_lo
	s_delay_alu instid0(VALU_DEP_2)
	v_lshrrev_b32_e32 v164, v165, v164
; %bb.2225:                             ;   in Loop: Header=BB2_2021 Depth=3
	s_and_not1_saveexec_b32 s14, s14
; %bb.2226:                             ;   in Loop: Header=BB2_2021 Depth=3
	s_delay_alu instid0(VALU_DEP_1)
	v_bfe_u32 v14, v164, 23, 1
; %bb.2227:                             ;   in Loop: Header=BB2_2021 Depth=3
	s_or_b32 exec_lo, exec_lo, s14
	v_lshrrev_b32_e32 v164, 20, v164
	s_delay_alu instid0(VALU_DEP_2) | instskip(SKIP_2) | instid1(VALU_DEP_2)
	v_cmp_gt_i32_e32 vcc_lo, 16, v14
	v_lshrrev_b32_e32 v163, 24, v163
	v_min_i32_e32 v165, 15, v14
	v_dual_cndmask_b32 v164, 7, v164 :: v_dual_and_b32 v163, 0x80, v163
	s_delay_alu instid0(VALU_DEP_1) | instskip(SKIP_1) | instid1(VALU_DEP_2)
	v_or_b32_e32 v14, v14, v164
	v_and_b32_e32 v166, 7, v164
	v_cmp_ne_u32_e32 vcc_lo, 0, v14
	v_lshlrev_b32_e32 v165, 3, v165
	s_delay_alu instid0(VALU_DEP_1) | instskip(NEXT) | instid1(VALU_DEP_1)
	v_or3_b32 v163, v165, v163, v166
	v_cndmask_b32_e32 v14, 0, v163, vcc_lo
.LBB2_2228:                             ;   in Loop: Header=BB2_2021 Depth=3
	s_or_b32 exec_lo, exec_lo, s15
.LBB2_2229:                             ;   in Loop: Header=BB2_2021 Depth=3
	s_delay_alu instid0(SALU_CYCLE_1) | instskip(SKIP_3) | instid1(VALU_DEP_1)
	s_or_b32 exec_lo, exec_lo, s3
	v_lshrrev_b16 v164, 8, v15
	s_mov_b32 s3, 0
	s_mov_b32 s15, exec_lo
                                        ; implicit-def: $sgpr14
	v_cmpx_lt_i16_e64 0x7f, v164
	s_xor_b32 s15, exec_lo, s15
	s_cbranch_execnz .LBB2_2384
; %bb.2230:                             ;   in Loop: Header=BB2_2021 Depth=3
	s_or_saveexec_b32 s15, s15
	v_mov_b32_e32 v163, s14
	s_xor_b32 exec_lo, exec_lo, s15
	s_cbranch_execnz .LBB2_2387
.LBB2_2231:                             ;   in Loop: Header=BB2_2021 Depth=3
	s_or_b32 exec_lo, exec_lo, s15
	s_and_saveexec_b32 s14, s3
	s_cbranch_execz .LBB2_2233
.LBB2_2232:                             ;   in Loop: Header=BB2_2021 Depth=3
	v_and_b32_e32 v163, 0xffff, v164
	s_delay_alu instid0(VALU_DEP_1) | instskip(NEXT) | instid1(VALU_DEP_1)
	v_and_b32_e32 v165, 7, v163
	v_clz_i32_u32_e32 v166, v165
	s_delay_alu instid0(VALU_DEP_1) | instskip(NEXT) | instid1(VALU_DEP_1)
	v_min_u32_e32 v166, 32, v166
	v_subrev_nc_u32_e32 v167, 28, v166
	v_sub_nc_u32_e32 v166, 29, v166
	s_delay_alu instid0(VALU_DEP_2) | instskip(SKIP_1) | instid1(VALU_DEP_2)
	v_lshlrev_b32_e32 v167, v167, v163
	v_bfe_u32 v163, v163, 3, 4
	v_and_b32_e32 v167, 7, v167
	s_delay_alu instid0(VALU_DEP_2) | instskip(SKIP_1) | instid1(VALU_DEP_1)
	v_cmp_eq_u32_e32 vcc_lo, 0, v163
	v_dual_cndmask_b32 v163, v163, v166 :: v_dual_lshlrev_b32 v164, 24, v164
	v_dual_cndmask_b32 v165, v165, v167 :: v_dual_and_b32 v164, 0x80000000, v164
	s_delay_alu instid0(VALU_DEP_2) | instskip(NEXT) | instid1(VALU_DEP_2)
	v_lshl_add_u32 v163, v163, 23, 0x3b800000
	v_lshlrev_b32_e32 v165, 20, v165
	s_delay_alu instid0(VALU_DEP_1)
	v_or3_b32 v163, v164, v163, v165
.LBB2_2233:                             ;   in Loop: Header=BB2_2021 Depth=3
	s_or_b32 exec_lo, exec_lo, s14
	v_lshrrev_b16 v164, 8, v11
	s_mov_b32 s3, 0
	s_mov_b32 s15, exec_lo
                                        ; implicit-def: $sgpr14
	s_delay_alu instid0(VALU_DEP_1)
	v_cmpx_lt_i16_e64 0x7f, v164
	s_xor_b32 s15, exec_lo, s15
	s_cbranch_execnz .LBB2_2388
; %bb.2234:                             ;   in Loop: Header=BB2_2021 Depth=3
	s_or_saveexec_b32 s15, s15
	v_mov_b32_e32 v165, s14
	s_xor_b32 exec_lo, exec_lo, s15
	s_cbranch_execnz .LBB2_2391
.LBB2_2235:                             ;   in Loop: Header=BB2_2021 Depth=3
	s_or_b32 exec_lo, exec_lo, s15
	s_and_saveexec_b32 s14, s3
	s_cbranch_execz .LBB2_2237
.LBB2_2236:                             ;   in Loop: Header=BB2_2021 Depth=3
	v_and_b32_e32 v165, 0xffff, v164
	v_lshlrev_b32_e32 v164, 24, v164
	s_delay_alu instid0(VALU_DEP_2) | instskip(NEXT) | instid1(VALU_DEP_2)
	v_and_b32_e32 v166, 7, v165
	v_and_b32_e32 v164, 0x80000000, v164
	s_delay_alu instid0(VALU_DEP_2) | instskip(NEXT) | instid1(VALU_DEP_1)
	v_clz_i32_u32_e32 v167, v166
	v_min_u32_e32 v167, 32, v167
	s_delay_alu instid0(VALU_DEP_1) | instskip(SKIP_1) | instid1(VALU_DEP_2)
	v_subrev_nc_u32_e32 v176, 28, v167
	v_sub_nc_u32_e32 v167, 29, v167
	v_lshlrev_b32_e32 v176, v176, v165
	v_bfe_u32 v165, v165, 3, 4
	s_delay_alu instid0(VALU_DEP_2) | instskip(NEXT) | instid1(VALU_DEP_2)
	v_and_b32_e32 v176, 7, v176
	v_cmp_eq_u32_e32 vcc_lo, 0, v165
	s_delay_alu instid0(VALU_DEP_2) | instskip(NEXT) | instid1(VALU_DEP_1)
	v_dual_cndmask_b32 v165, v165, v167 :: v_dual_cndmask_b32 v166, v166, v176
	v_lshl_add_u32 v165, v165, 23, 0x3b800000
	s_delay_alu instid0(VALU_DEP_2) | instskip(NEXT) | instid1(VALU_DEP_1)
	v_lshlrev_b32_e32 v166, 20, v166
	v_or3_b32 v165, v164, v165, v166
.LBB2_2237:                             ;   in Loop: Header=BB2_2021 Depth=3
	s_or_b32 exec_lo, exec_lo, s14
	s_delay_alu instid0(VALU_DEP_1) | instskip(NEXT) | instid1(VALU_DEP_1)
	v_add_f32_e32 v164, v163, v165
	v_and_b32_e32 v163, 0x7f800000, v164
	s_delay_alu instid0(VALU_DEP_1)
	v_cmp_ne_u32_e32 vcc_lo, 0x7f800000, v163
	v_mov_b32_e32 v163, 0x8000
	s_and_saveexec_b32 s3, vcc_lo
	s_cbranch_execz .LBB2_2245
; %bb.2238:                             ;   in Loop: Header=BB2_2021 Depth=3
	v_mov_b32_e32 v163, 0
	s_mov_b32 s15, exec_lo
	v_cmpx_ne_u32_e32 0, v164
	s_cbranch_execz .LBB2_2244
; %bb.2239:                             ;   in Loop: Header=BB2_2021 Depth=3
	v_bfe_u32 v163, v164, 23, 8
	s_delay_alu instid0(VALU_DEP_1) | instskip(SKIP_1) | instid1(VALU_DEP_2)
	v_sub_nc_u32_e32 v166, 0x78, v163
	v_cmp_gt_u32_e32 vcc_lo, 0x79, v163
	v_dual_cndmask_b32 v166, 0, v166 :: v_dual_and_b32 v165, 0x7fffff, v164
	s_delay_alu instid0(VALU_DEP_1) | instskip(SKIP_2) | instid1(VALU_DEP_4)
	v_or_b32_e32 v167, 0x800000, v165
	v_cmp_eq_u32_e32 vcc_lo, 0, v163
	v_add_nc_u32_e32 v163, 0xffffff89, v163
	v_cndmask_b32_e64 v166, v166, 0x77, vcc_lo
	s_delay_alu instid0(VALU_DEP_2) | instskip(SKIP_1) | instid1(VALU_DEP_3)
	v_cndmask_b32_e64 v163, v163, 0xffffff8a, vcc_lo
	v_cndmask_b32_e32 v165, v167, v165, vcc_lo
	v_lshl_add_u32 v167, 0x100000, v166, -1
	v_lshlrev_b32_e64 v178, v166, 0x80000
	s_delay_alu instid0(VALU_DEP_3) | instskip(SKIP_1) | instid1(VALU_DEP_4)
	v_lshrrev_b32_e32 v176, v166, v165
	v_add_nc_u32_e32 v166, v166, v163
	v_and_b32_e32 v165, v167, v165
	s_delay_alu instid0(VALU_DEP_3) | instskip(NEXT) | instid1(VALU_DEP_2)
	v_bfe_u32 v177, v176, 20, 1
	v_cmp_eq_u32_e64 s14, v165, v178
	s_delay_alu instid0(VALU_DEP_2) | instskip(NEXT) | instid1(VALU_DEP_1)
	v_add_nc_u32_e32 v167, -1, v177
	v_cndmask_b32_e64 v165, 0, v167, s14
	v_lshrrev_b32_e32 v167, 23, v176
	s_mov_b32 s14, exec_lo
	s_delay_alu instid0(VALU_DEP_2) | instskip(NEXT) | instid1(VALU_DEP_2)
	v_add_nc_u32_e32 v165, v165, v176
	v_xor_b32_e32 v167, 1, v167
	s_delay_alu instid0(VALU_DEP_2) | instskip(NEXT) | instid1(VALU_DEP_1)
	v_and_b32_e32 v163, 0xfffff, v165
	v_add_nc_u32_e32 v165, v163, v176
                                        ; implicit-def: $vgpr163
	s_delay_alu instid0(VALU_DEP_3)
	v_cmpx_ne_u32_e64 v166, v167
	s_xor_b32 s14, exec_lo, s14
; %bb.2240:                             ;   in Loop: Header=BB2_2021 Depth=3
	s_delay_alu instid0(VALU_DEP_2) | instskip(SKIP_2) | instid1(VALU_DEP_2)
	v_cmp_lt_u32_e32 vcc_lo, 0xffffff, v165
	v_sub_nc_u32_e32 v163, v166, v167
	v_cndmask_b32_e64 v166, 0, 1, vcc_lo
	v_add_co_ci_u32_e32 v163, vcc_lo, 0, v163, vcc_lo
	s_delay_alu instid0(VALU_DEP_2)
	v_lshrrev_b32_e32 v165, v166, v165
; %bb.2241:                             ;   in Loop: Header=BB2_2021 Depth=3
	s_and_not1_saveexec_b32 s14, s14
; %bb.2242:                             ;   in Loop: Header=BB2_2021 Depth=3
	s_delay_alu instid0(VALU_DEP_1)
	v_bfe_u32 v163, v165, 23, 1
; %bb.2243:                             ;   in Loop: Header=BB2_2021 Depth=3
	s_or_b32 exec_lo, exec_lo, s14
	v_lshrrev_b32_e32 v165, 20, v165
	s_delay_alu instid0(VALU_DEP_2) | instskip(SKIP_2) | instid1(VALU_DEP_2)
	v_cmp_gt_i32_e32 vcc_lo, 16, v163
	v_min_i32_e32 v166, 15, v163
	v_lshrrev_b32_e32 v164, 24, v164
	v_dual_cndmask_b32 v165, 7, v165 :: v_dual_lshlrev_b32 v166, 3, v166
	s_delay_alu instid0(VALU_DEP_2) | instskip(NEXT) | instid1(VALU_DEP_2)
	v_and_b32_e32 v164, 0x80, v164
	v_or_b32_e32 v163, v163, v165
	v_and_b32_e32 v167, 7, v165
	s_delay_alu instid0(VALU_DEP_2) | instskip(SKIP_1) | instid1(VALU_DEP_1)
	v_cmp_ne_u32_e32 vcc_lo, 0, v163
	v_and_b32_e32 v166, 0xf8, v166
	v_or3_b32 v164, v164, v166, v167
	s_delay_alu instid0(VALU_DEP_1) | instskip(NEXT) | instid1(VALU_DEP_1)
	v_lshlrev_b32_e32 v164, 8, v164
	v_cndmask_b32_e32 v163, 0, v164, vcc_lo
.LBB2_2244:                             ;   in Loop: Header=BB2_2021 Depth=3
	s_or_b32 exec_lo, exec_lo, s15
.LBB2_2245:                             ;   in Loop: Header=BB2_2021 Depth=3
	s_delay_alu instid0(SALU_CYCLE_1) | instskip(SKIP_3) | instid1(VALU_DEP_1)
	s_or_b32 exec_lo, exec_lo, s3
	v_lshrrev_b32_e32 v165, 16, v15
	s_mov_b32 s3, 0
	s_mov_b32 s15, exec_lo
                                        ; implicit-def: $sgpr14
	v_and_b32_e32 v166, 0xff, v165
	s_delay_alu instid0(VALU_DEP_1)
	v_cmpx_lt_i16_e64 0x7f, v166
	s_xor_b32 s15, exec_lo, s15
	s_cbranch_execnz .LBB2_2392
; %bb.2246:                             ;   in Loop: Header=BB2_2021 Depth=3
	s_or_saveexec_b32 s15, s15
	v_mov_b32_e32 v164, s14
	s_xor_b32 exec_lo, exec_lo, s15
	s_cbranch_execnz .LBB2_2395
.LBB2_2247:                             ;   in Loop: Header=BB2_2021 Depth=3
	s_or_b32 exec_lo, exec_lo, s15
	s_and_saveexec_b32 s14, s3
	s_cbranch_execz .LBB2_2249
.LBB2_2248:                             ;   in Loop: Header=BB2_2021 Depth=3
	v_bfe_u32 v164, v15, 16, 3
	v_lshlrev_b32_e32 v176, 8, v15
	s_delay_alu instid0(VALU_DEP_2) | instskip(NEXT) | instid1(VALU_DEP_1)
	v_clz_i32_u32_e32 v166, v164
	v_min_u32_e32 v166, 32, v166
	s_delay_alu instid0(VALU_DEP_1) | instskip(SKIP_1) | instid1(VALU_DEP_2)
	v_subrev_nc_u32_e32 v167, 28, v166
	v_sub_nc_u32_e32 v166, 29, v166
	v_lshlrev_b32_e32 v165, v167, v165
	v_bfe_u32 v167, v15, 19, 4
	s_delay_alu instid0(VALU_DEP_1) | instskip(NEXT) | instid1(VALU_DEP_3)
	v_cmp_eq_u32_e32 vcc_lo, 0, v167
	v_dual_cndmask_b32 v166, v167, v166 :: v_dual_and_b32 v165, 7, v165
	s_delay_alu instid0(VALU_DEP_1) | instskip(NEXT) | instid1(VALU_DEP_2)
	v_dual_cndmask_b32 v164, v164, v165 :: v_dual_and_b32 v165, 0x80000000, v176
	v_lshl_add_u32 v166, v166, 23, 0x3b800000
	s_delay_alu instid0(VALU_DEP_2) | instskip(NEXT) | instid1(VALU_DEP_1)
	v_lshlrev_b32_e32 v164, 20, v164
	v_or3_b32 v164, v165, v166, v164
.LBB2_2249:                             ;   in Loop: Header=BB2_2021 Depth=3
	s_or_b32 exec_lo, exec_lo, s14
	v_lshrrev_b32_e32 v165, 16, v11
	s_mov_b32 s3, 0
	s_mov_b32 s15, exec_lo
                                        ; implicit-def: $sgpr14
	s_delay_alu instid0(VALU_DEP_1) | instskip(NEXT) | instid1(VALU_DEP_1)
	v_and_b32_e32 v167, 0xff, v165
	v_cmpx_lt_i16_e64 0x7f, v167
	s_xor_b32 s15, exec_lo, s15
	s_cbranch_execnz .LBB2_2396
; %bb.2250:                             ;   in Loop: Header=BB2_2021 Depth=3
	s_or_saveexec_b32 s15, s15
	v_mov_b32_e32 v166, s14
	s_xor_b32 exec_lo, exec_lo, s15
	s_cbranch_execnz .LBB2_2399
.LBB2_2251:                             ;   in Loop: Header=BB2_2021 Depth=3
	s_or_b32 exec_lo, exec_lo, s15
	s_and_saveexec_b32 s14, s3
	s_cbranch_execz .LBB2_2253
.LBB2_2252:                             ;   in Loop: Header=BB2_2021 Depth=3
	v_bfe_u32 v166, v11, 16, 3
	v_lshlrev_b32_e32 v177, 8, v11
	s_delay_alu instid0(VALU_DEP_2) | instskip(NEXT) | instid1(VALU_DEP_1)
	v_clz_i32_u32_e32 v167, v166
	v_min_u32_e32 v167, 32, v167
	s_delay_alu instid0(VALU_DEP_1) | instskip(SKIP_1) | instid1(VALU_DEP_2)
	v_subrev_nc_u32_e32 v176, 28, v167
	v_sub_nc_u32_e32 v167, 29, v167
	v_lshlrev_b32_e32 v165, v176, v165
	v_bfe_u32 v176, v11, 19, 4
	s_delay_alu instid0(VALU_DEP_2) | instskip(NEXT) | instid1(VALU_DEP_2)
	v_and_b32_e32 v165, 7, v165
	v_cmp_eq_u32_e32 vcc_lo, 0, v176
	v_cndmask_b32_e32 v167, v176, v167, vcc_lo
	s_delay_alu instid0(VALU_DEP_3) | instskip(SKIP_1) | instid1(VALU_DEP_3)
	v_cndmask_b32_e32 v165, v166, v165, vcc_lo
	v_and_b32_e32 v166, 0x80000000, v177
	v_lshl_add_u32 v167, v167, 23, 0x3b800000
	s_delay_alu instid0(VALU_DEP_3) | instskip(NEXT) | instid1(VALU_DEP_1)
	v_lshlrev_b32_e32 v165, 20, v165
	v_or3_b32 v166, v166, v167, v165
.LBB2_2253:                             ;   in Loop: Header=BB2_2021 Depth=3
	s_or_b32 exec_lo, exec_lo, s14
	s_delay_alu instid0(VALU_DEP_1) | instskip(NEXT) | instid1(VALU_DEP_1)
	v_add_f32_e32 v165, v164, v166
	v_and_b32_e32 v164, 0x7f800000, v165
	s_delay_alu instid0(VALU_DEP_1)
	v_cmp_ne_u32_e32 vcc_lo, 0x7f800000, v164
	v_mov_b32_e32 v164, 0x80
	s_and_saveexec_b32 s3, vcc_lo
	s_cbranch_execz .LBB2_2261
; %bb.2254:                             ;   in Loop: Header=BB2_2021 Depth=3
	v_mov_b32_e32 v164, 0
	s_mov_b32 s15, exec_lo
	v_cmpx_ne_u32_e32 0, v165
	s_cbranch_execz .LBB2_2260
; %bb.2255:                             ;   in Loop: Header=BB2_2021 Depth=3
	v_bfe_u32 v164, v165, 23, 8
	s_delay_alu instid0(VALU_DEP_1) | instskip(SKIP_1) | instid1(VALU_DEP_2)
	v_sub_nc_u32_e32 v167, 0x78, v164
	v_cmp_gt_u32_e32 vcc_lo, 0x79, v164
	v_dual_cndmask_b32 v167, 0, v167 :: v_dual_and_b32 v166, 0x7fffff, v165
	s_delay_alu instid0(VALU_DEP_1) | instskip(SKIP_2) | instid1(VALU_DEP_4)
	v_or_b32_e32 v176, 0x800000, v166
	v_cmp_eq_u32_e32 vcc_lo, 0, v164
	v_add_nc_u32_e32 v164, 0xffffff89, v164
	v_cndmask_b32_e64 v167, v167, 0x77, vcc_lo
	s_delay_alu instid0(VALU_DEP_2) | instskip(SKIP_1) | instid1(VALU_DEP_3)
	v_cndmask_b32_e64 v164, v164, 0xffffff8a, vcc_lo
	v_cndmask_b32_e32 v166, v176, v166, vcc_lo
	v_lshl_add_u32 v176, 0x100000, v167, -1
	v_lshlrev_b32_e64 v179, v167, 0x80000
	s_delay_alu instid0(VALU_DEP_3) | instskip(SKIP_1) | instid1(VALU_DEP_4)
	v_lshrrev_b32_e32 v177, v167, v166
	v_add_nc_u32_e32 v167, v167, v164
	v_and_b32_e32 v166, v176, v166
	s_delay_alu instid0(VALU_DEP_3) | instskip(NEXT) | instid1(VALU_DEP_2)
	v_bfe_u32 v178, v177, 20, 1
	v_cmp_eq_u32_e64 s14, v166, v179
	s_delay_alu instid0(VALU_DEP_2) | instskip(NEXT) | instid1(VALU_DEP_1)
	v_add_nc_u32_e32 v176, -1, v178
	v_cndmask_b32_e64 v166, 0, v176, s14
	v_lshrrev_b32_e32 v176, 23, v177
	s_mov_b32 s14, exec_lo
	s_delay_alu instid0(VALU_DEP_2) | instskip(NEXT) | instid1(VALU_DEP_2)
	v_add_nc_u32_e32 v166, v166, v177
	v_xor_b32_e32 v176, 1, v176
	s_delay_alu instid0(VALU_DEP_2) | instskip(NEXT) | instid1(VALU_DEP_1)
	v_and_b32_e32 v164, 0xfffff, v166
	v_add_nc_u32_e32 v166, v164, v177
                                        ; implicit-def: $vgpr164
	s_delay_alu instid0(VALU_DEP_3)
	v_cmpx_ne_u32_e64 v167, v176
	s_xor_b32 s14, exec_lo, s14
; %bb.2256:                             ;   in Loop: Header=BB2_2021 Depth=3
	s_delay_alu instid0(VALU_DEP_2) | instskip(SKIP_2) | instid1(VALU_DEP_2)
	v_cmp_lt_u32_e32 vcc_lo, 0xffffff, v166
	v_sub_nc_u32_e32 v164, v167, v176
	v_cndmask_b32_e64 v167, 0, 1, vcc_lo
	v_add_co_ci_u32_e32 v164, vcc_lo, 0, v164, vcc_lo
	s_delay_alu instid0(VALU_DEP_2)
	v_lshrrev_b32_e32 v166, v167, v166
; %bb.2257:                             ;   in Loop: Header=BB2_2021 Depth=3
	s_and_not1_saveexec_b32 s14, s14
; %bb.2258:                             ;   in Loop: Header=BB2_2021 Depth=3
	s_delay_alu instid0(VALU_DEP_1)
	v_bfe_u32 v164, v166, 23, 1
; %bb.2259:                             ;   in Loop: Header=BB2_2021 Depth=3
	s_or_b32 exec_lo, exec_lo, s14
	v_lshrrev_b32_e32 v166, 20, v166
	s_delay_alu instid0(VALU_DEP_2) | instskip(SKIP_2) | instid1(VALU_DEP_2)
	v_cmp_gt_i32_e32 vcc_lo, 16, v164
	v_min_i32_e32 v167, 15, v164
	v_lshrrev_b32_e32 v165, 24, v165
	v_dual_cndmask_b32 v166, 7, v166 :: v_dual_lshlrev_b32 v167, 3, v167
	s_delay_alu instid0(VALU_DEP_2) | instskip(NEXT) | instid1(VALU_DEP_2)
	v_and_b32_e32 v165, 0x80, v165
	v_or_b32_e32 v164, v164, v166
	v_and_b32_e32 v176, 7, v166
	s_delay_alu instid0(VALU_DEP_2) | instskip(SKIP_1) | instid1(VALU_DEP_1)
	v_cmp_ne_u32_e32 vcc_lo, 0, v164
	v_and_b32_e32 v167, 0xf8, v167
	v_or3_b32 v165, v167, v165, v176
	s_delay_alu instid0(VALU_DEP_1)
	v_cndmask_b32_e32 v164, 0, v165, vcc_lo
.LBB2_2260:                             ;   in Loop: Header=BB2_2021 Depth=3
	s_or_b32 exec_lo, exec_lo, s15
.LBB2_2261:                             ;   in Loop: Header=BB2_2021 Depth=3
	s_delay_alu instid0(SALU_CYCLE_1) | instskip(SKIP_3) | instid1(VALU_DEP_1)
	s_or_b32 exec_lo, exec_lo, s3
	v_lshrrev_b32_e32 v166, 24, v15
	s_mov_b32 s3, 0
	s_mov_b32 s15, exec_lo
                                        ; implicit-def: $sgpr14
	v_cmpx_lt_i16_e64 0x7f, v166
	s_xor_b32 s15, exec_lo, s15
	s_cbranch_execnz .LBB2_2400
; %bb.2262:                             ;   in Loop: Header=BB2_2021 Depth=3
	s_or_saveexec_b32 s15, s15
	v_mov_b32_e32 v165, s14
	s_xor_b32 exec_lo, exec_lo, s15
	s_cbranch_execnz .LBB2_2403
.LBB2_2263:                             ;   in Loop: Header=BB2_2021 Depth=3
	s_or_b32 exec_lo, exec_lo, s15
	s_and_saveexec_b32 s14, s3
	s_cbranch_execz .LBB2_2265
.LBB2_2264:                             ;   in Loop: Header=BB2_2021 Depth=3
	v_bfe_u32 v165, v15, 24, 3
	s_delay_alu instid0(VALU_DEP_1) | instskip(NEXT) | instid1(VALU_DEP_1)
	v_clz_i32_u32_e32 v167, v165
	v_min_u32_e32 v167, 32, v167
	s_delay_alu instid0(VALU_DEP_1) | instskip(SKIP_1) | instid1(VALU_DEP_2)
	v_subrev_nc_u32_e32 v176, 28, v167
	v_sub_nc_u32_e32 v167, 29, v167
	v_lshlrev_b32_e32 v166, v176, v166
	v_bfe_u32 v176, v15, 27, 4
	v_and_b32_e32 v15, 0x80000000, v15
	s_delay_alu instid0(VALU_DEP_2) | instskip(NEXT) | instid1(VALU_DEP_4)
	v_cmp_eq_u32_e32 vcc_lo, 0, v176
	v_dual_cndmask_b32 v167, v176, v167 :: v_dual_and_b32 v166, 7, v166
	s_delay_alu instid0(VALU_DEP_1) | instskip(NEXT) | instid1(VALU_DEP_2)
	v_cndmask_b32_e32 v165, v165, v166, vcc_lo
	v_lshl_add_u32 v166, v167, 23, 0x3b800000
	s_delay_alu instid0(VALU_DEP_2) | instskip(NEXT) | instid1(VALU_DEP_1)
	v_lshlrev_b32_e32 v165, 20, v165
	v_or3_b32 v165, v15, v166, v165
.LBB2_2265:                             ;   in Loop: Header=BB2_2021 Depth=3
	s_or_b32 exec_lo, exec_lo, s14
	v_lshrrev_b32_e32 v15, 24, v11
	s_mov_b32 s3, 0
	s_mov_b32 s15, exec_lo
                                        ; implicit-def: $sgpr14
	s_delay_alu instid0(VALU_DEP_1)
	v_cmpx_lt_i16_e32 0x7f, v15
	s_xor_b32 s15, exec_lo, s15
	s_cbranch_execnz .LBB2_2404
; %bb.2266:                             ;   in Loop: Header=BB2_2021 Depth=3
	s_or_saveexec_b32 s15, s15
	v_mov_b32_e32 v166, s14
	s_xor_b32 exec_lo, exec_lo, s15
	s_cbranch_execnz .LBB2_2407
.LBB2_2267:                             ;   in Loop: Header=BB2_2021 Depth=3
	s_or_b32 exec_lo, exec_lo, s15
	s_and_saveexec_b32 s14, s3
	s_cbranch_execz .LBB2_2269
.LBB2_2268:                             ;   in Loop: Header=BB2_2021 Depth=3
	v_bfe_u32 v166, v11, 24, 3
	s_delay_alu instid0(VALU_DEP_1) | instskip(NEXT) | instid1(VALU_DEP_1)
	v_clz_i32_u32_e32 v167, v166
	v_min_u32_e32 v167, 32, v167
	s_delay_alu instid0(VALU_DEP_1) | instskip(SKIP_1) | instid1(VALU_DEP_2)
	v_subrev_nc_u32_e32 v176, 28, v167
	v_sub_nc_u32_e32 v167, 29, v167
	v_lshlrev_b32_e32 v15, v176, v15
	v_bfe_u32 v176, v11, 27, 4
	v_and_b32_e32 v11, 0x80000000, v11
	s_delay_alu instid0(VALU_DEP_3) | instskip(NEXT) | instid1(VALU_DEP_3)
	v_and_b32_e32 v15, 7, v15
	v_cmp_eq_u32_e32 vcc_lo, 0, v176
	v_cndmask_b32_e32 v167, v176, v167, vcc_lo
	s_delay_alu instid0(VALU_DEP_3) | instskip(NEXT) | instid1(VALU_DEP_2)
	v_cndmask_b32_e32 v15, v166, v15, vcc_lo
	v_lshl_add_u32 v166, v167, 23, 0x3b800000
	s_delay_alu instid0(VALU_DEP_2) | instskip(NEXT) | instid1(VALU_DEP_1)
	v_lshlrev_b32_e32 v15, 20, v15
	v_or3_b32 v166, v11, v166, v15
.LBB2_2269:                             ;   in Loop: Header=BB2_2021 Depth=3
	s_or_b32 exec_lo, exec_lo, s14
	s_delay_alu instid0(VALU_DEP_1) | instskip(NEXT) | instid1(VALU_DEP_1)
	v_add_f32_e32 v11, v165, v166
	v_and_b32_e32 v15, 0x7f800000, v11
	s_delay_alu instid0(VALU_DEP_1)
	v_cmp_ne_u32_e32 vcc_lo, 0x7f800000, v15
	v_mov_b32_e32 v15, 0x8000
	s_and_saveexec_b32 s3, vcc_lo
	s_cbranch_execz .LBB2_2277
; %bb.2270:                             ;   in Loop: Header=BB2_2021 Depth=3
	v_mov_b32_e32 v15, 0
	s_mov_b32 s15, exec_lo
	v_cmpx_ne_u32_e32 0, v11
	s_cbranch_execz .LBB2_2276
; %bb.2271:                             ;   in Loop: Header=BB2_2021 Depth=3
	v_bfe_u32 v15, v11, 23, 8
	s_delay_alu instid0(VALU_DEP_1) | instskip(SKIP_1) | instid1(VALU_DEP_2)
	v_sub_nc_u32_e32 v166, 0x78, v15
	v_cmp_gt_u32_e32 vcc_lo, 0x79, v15
	v_dual_cndmask_b32 v166, 0, v166 :: v_dual_and_b32 v165, 0x7fffff, v11
	s_delay_alu instid0(VALU_DEP_1) | instskip(SKIP_2) | instid1(VALU_DEP_4)
	v_or_b32_e32 v167, 0x800000, v165
	v_cmp_eq_u32_e32 vcc_lo, 0, v15
	v_add_nc_u32_e32 v15, 0xffffff89, v15
	v_cndmask_b32_e64 v166, v166, 0x77, vcc_lo
	s_delay_alu instid0(VALU_DEP_2) | instskip(SKIP_1) | instid1(VALU_DEP_3)
	v_cndmask_b32_e64 v15, v15, 0xffffff8a, vcc_lo
	v_cndmask_b32_e32 v165, v167, v165, vcc_lo
	v_lshl_add_u32 v167, 0x100000, v166, -1
	v_lshlrev_b32_e64 v178, v166, 0x80000
	s_delay_alu instid0(VALU_DEP_3) | instskip(SKIP_1) | instid1(VALU_DEP_4)
	v_lshrrev_b32_e32 v176, v166, v165
	v_add_nc_u32_e32 v166, v166, v15
	v_and_b32_e32 v165, v167, v165
	s_delay_alu instid0(VALU_DEP_3) | instskip(NEXT) | instid1(VALU_DEP_2)
	v_bfe_u32 v177, v176, 20, 1
	v_cmp_eq_u32_e64 s14, v165, v178
	s_delay_alu instid0(VALU_DEP_2) | instskip(NEXT) | instid1(VALU_DEP_1)
	v_add_nc_u32_e32 v167, -1, v177
	v_cndmask_b32_e64 v165, 0, v167, s14
	v_lshrrev_b32_e32 v167, 23, v176
	s_mov_b32 s14, exec_lo
	s_delay_alu instid0(VALU_DEP_2) | instskip(NEXT) | instid1(VALU_DEP_2)
	v_add_nc_u32_e32 v165, v165, v176
	v_xor_b32_e32 v167, 1, v167
	s_delay_alu instid0(VALU_DEP_2) | instskip(NEXT) | instid1(VALU_DEP_1)
	v_and_b32_e32 v15, 0xfffff, v165
	v_add_nc_u32_e32 v165, v15, v176
                                        ; implicit-def: $vgpr15
	s_delay_alu instid0(VALU_DEP_3)
	v_cmpx_ne_u32_e64 v166, v167
	s_xor_b32 s14, exec_lo, s14
; %bb.2272:                             ;   in Loop: Header=BB2_2021 Depth=3
	s_delay_alu instid0(VALU_DEP_2) | instskip(SKIP_2) | instid1(VALU_DEP_2)
	v_cmp_lt_u32_e32 vcc_lo, 0xffffff, v165
	v_sub_nc_u32_e32 v15, v166, v167
	v_cndmask_b32_e64 v166, 0, 1, vcc_lo
	v_add_co_ci_u32_e32 v15, vcc_lo, 0, v15, vcc_lo
	s_delay_alu instid0(VALU_DEP_2)
	v_lshrrev_b32_e32 v165, v166, v165
; %bb.2273:                             ;   in Loop: Header=BB2_2021 Depth=3
	s_and_not1_saveexec_b32 s14, s14
; %bb.2274:                             ;   in Loop: Header=BB2_2021 Depth=3
	s_delay_alu instid0(VALU_DEP_1)
	v_bfe_u32 v15, v165, 23, 1
; %bb.2275:                             ;   in Loop: Header=BB2_2021 Depth=3
	s_or_b32 exec_lo, exec_lo, s14
	v_lshrrev_b32_e32 v165, 20, v165
	s_delay_alu instid0(VALU_DEP_2) | instskip(SKIP_2) | instid1(VALU_DEP_2)
	v_cmp_gt_i32_e32 vcc_lo, 16, v15
	v_min_i32_e32 v166, 15, v15
	v_lshrrev_b32_e32 v11, 24, v11
	v_dual_cndmask_b32 v165, 7, v165 :: v_dual_lshlrev_b32 v166, 3, v166
	s_delay_alu instid0(VALU_DEP_2) | instskip(NEXT) | instid1(VALU_DEP_2)
	v_and_b32_e32 v11, 0x80, v11
	v_or_b32_e32 v15, v15, v165
	v_and_b32_e32 v167, 7, v165
	s_delay_alu instid0(VALU_DEP_2) | instskip(SKIP_1) | instid1(VALU_DEP_1)
	v_cmp_ne_u32_e32 vcc_lo, 0, v15
	v_and_b32_e32 v166, 0xf8, v166
	v_or3_b32 v11, v11, v166, v167
	s_delay_alu instid0(VALU_DEP_1) | instskip(NEXT) | instid1(VALU_DEP_1)
	v_lshlrev_b32_e32 v11, 8, v11
	v_cndmask_b32_e32 v15, 0, v11, vcc_lo
.LBB2_2276:                             ;   in Loop: Header=BB2_2021 Depth=3
	s_or_b32 exec_lo, exec_lo, s15
.LBB2_2277:                             ;   in Loop: Header=BB2_2021 Depth=3
	s_delay_alu instid0(SALU_CYCLE_1)
	s_or_b32 exec_lo, exec_lo, s3
	v_or_b32_e32 v9, v9, v160
	v_and_b32_e32 v11, 0xff, v150
	v_lshlrev_b32_e32 v149, 8, v149
	v_and_b32_e32 v150, 0xff, v162
	v_lshlrev_b32_e32 v160, 8, v161
	v_or_b32_e32 v15, v15, v164
	v_and_b32_e32 v12, 0xff, v12
	v_lshlrev_b32_e32 v8, 24, v8
	v_lshlrev_b32_e32 v9, 16, v9
	;; [unrolled: 1-line block ×3, first 2 shown]
	v_perm_b32 v148, v149, v148, 0xc0c0500
	v_lshlrev_b32_e32 v10, 24, v10
	v_lshlrev_b32_e32 v149, 16, v150
	v_perm_b32 v13, v160, v13, 0xc0c0500
	v_and_b32_e32 v14, 0xff, v14
	v_lshlrev_b32_e32 v15, 16, v15
	v_or3_b32 v9, v151, v12, v9
	v_or3_b32 v8, v8, v11, v148
	;; [unrolled: 1-line block ×3, first 2 shown]
	s_mov_b64 s[14:15], 0
	v_or3_b32 v11, v163, v14, v15
	s_mov_b32 s3, -1
.LBB2_2278:                             ;   Parent Loop BB2_51 Depth=1
                                        ;     Parent Loop BB2_1542 Depth=2
                                        ;       Parent Loop BB2_2021 Depth=3
                                        ; =>      This Inner Loop Header: Depth=4
	s_cmp_eq_u32 s14, 0
	v_cndmask_b32_e64 v14, 0, 1, s3
	s_cselect_b32 vcc_lo, -1, 0
	s_cmp_eq_u32 s14, 1
	s_mov_b32 s3, 0
	s_cselect_b32 s14, -1, 0
	s_delay_alu instid0(SALU_CYCLE_1) | instskip(SKIP_1) | instid1(VALU_DEP_2)
	v_cndmask_b32_e64 v12, v64, v66, s14
	v_cndmask_b32_e64 v13, v65, v67, s14
	v_add_co_u32 v15, s15, 0x200, v12
	s_delay_alu instid0(VALU_DEP_1) | instskip(SKIP_1) | instid1(VALU_DEP_3)
	v_add_co_ci_u32_e64 v148, s15, 0, v13, s15
	v_cmp_ne_u32_e64 s15, 1, v14
	v_cndmask_b32_e64 v66, v66, v15, s14
	v_cndmask_b32_e32 v64, v64, v15, vcc_lo
	s_delay_alu instid0(VALU_DEP_4)
	v_cndmask_b32_e64 v67, v67, v148, s14
	v_cndmask_b32_e32 v65, v65, v148, vcc_lo
	s_and_b32 vcc_lo, exec_lo, s15
	s_mov_b64 s[14:15], 1
	global_store_b128 v[12:13], v[8:11], off glc slc dlc
	s_cbranch_vccz .LBB2_2278
; %bb.2279:                             ;   in Loop: Header=BB2_2021 Depth=3
	v_add_co_u32 v68, vcc_lo, v68, v100
	v_add_co_ci_u32_e32 v69, vcc_lo, v69, v101, vcc_lo
	v_add_co_u32 v70, vcc_lo, v70, v100
	v_sub_nc_u32_e32 v147, v147, v86
	v_add_co_ci_u32_e32 v71, vcc_lo, v71, v101, vcc_lo
	v_add_co_u32 v64, vcc_lo, v64, v87
	v_add_co_ci_u32_e32 v65, vcc_lo, v65, v98, vcc_lo
	s_delay_alu instid0(VALU_DEP_4) | instskip(SKIP_1) | instid1(VALU_DEP_1)
	v_cmp_gt_i32_e32 vcc_lo, 16, v147
	v_add_co_u32 v66, s14, v66, v87
	v_add_co_ci_u32_e64 v67, s14, v67, v98, s14
	v_sub_nc_u32_e32 v146, v146, v83
	s_or_b32 s30, vcc_lo, s30
	s_delay_alu instid0(SALU_CYCLE_1)
	s_and_not1_b32 exec_lo, exec_lo, s30
	s_cbranch_execnz .LBB2_2021
	s_branch .LBB2_2408
.LBB2_2280:                             ;   in Loop: Header=BB2_2021 Depth=3
	s_mov_b32 s3, -1
	s_mov_b32 s24, exec_lo
                                        ; implicit-def: $sgpr14
	v_cmpx_eq_u16_e64 0x80, v149
; %bb.2281:                             ;   in Loop: Header=BB2_2021 Depth=3
	s_mov_b32 s14, 0x7f800001
	s_xor_b32 s3, exec_lo, -1
; %bb.2282:                             ;   in Loop: Header=BB2_2021 Depth=3
	s_or_b32 exec_lo, exec_lo, s24
	s_delay_alu instid0(SALU_CYCLE_1)
	s_and_b32 s3, s3, exec_lo
                                        ; implicit-def: $vgpr149
	s_or_saveexec_b32 s15, s15
	v_mov_b32_e32 v148, s14
	s_xor_b32 exec_lo, exec_lo, s15
	s_cbranch_execz .LBB2_2023
.LBB2_2283:                             ;   in Loop: Header=BB2_2021 Depth=3
	v_cmp_ne_u16_e64 vcc_lo, 0, v149
	v_mov_b32_e32 v148, 0
	s_and_not1_b32 s3, s3, exec_lo
	s_delay_alu instid0(VALU_DEP_2) | instskip(NEXT) | instid1(SALU_CYCLE_1)
	s_and_b32 s14, vcc_lo, exec_lo
	s_or_b32 s3, s3, s14
	s_or_b32 exec_lo, exec_lo, s15
	s_and_saveexec_b32 s14, s3
	s_cbranch_execnz .LBB2_2024
	s_branch .LBB2_2025
.LBB2_2284:                             ;   in Loop: Header=BB2_2021 Depth=3
	s_mov_b32 s3, -1
	s_mov_b32 s24, exec_lo
                                        ; implicit-def: $sgpr14
	v_cmpx_eq_u16_e64 0x80, v150
; %bb.2285:                             ;   in Loop: Header=BB2_2021 Depth=3
	s_mov_b32 s14, 0x7f800001
	s_xor_b32 s3, exec_lo, -1
; %bb.2286:                             ;   in Loop: Header=BB2_2021 Depth=3
	s_or_b32 exec_lo, exec_lo, s24
	s_delay_alu instid0(SALU_CYCLE_1)
	s_and_b32 s3, s3, exec_lo
                                        ; implicit-def: $vgpr150
	s_or_saveexec_b32 s15, s15
	v_mov_b32_e32 v149, s14
	s_xor_b32 exec_lo, exec_lo, s15
	s_cbranch_execz .LBB2_2027
.LBB2_2287:                             ;   in Loop: Header=BB2_2021 Depth=3
	v_cmp_ne_u16_e64 vcc_lo, 0, v150
	v_mov_b32_e32 v149, 0
	s_and_not1_b32 s3, s3, exec_lo
	s_delay_alu instid0(VALU_DEP_2) | instskip(NEXT) | instid1(SALU_CYCLE_1)
	s_and_b32 s14, vcc_lo, exec_lo
	s_or_b32 s3, s3, s14
	s_or_b32 exec_lo, exec_lo, s15
	s_and_saveexec_b32 s14, s3
	s_cbranch_execnz .LBB2_2028
	s_branch .LBB2_2029
.LBB2_2288:                             ;   in Loop: Header=BB2_2021 Depth=3
	s_mov_b32 s3, -1
	s_mov_b32 s24, exec_lo
                                        ; implicit-def: $sgpr14
	v_cmpx_eq_u16_e64 0x80, v150
; %bb.2289:                             ;   in Loop: Header=BB2_2021 Depth=3
	s_mov_b32 s14, 0x7f800001
	s_xor_b32 s3, exec_lo, -1
; %bb.2290:                             ;   in Loop: Header=BB2_2021 Depth=3
	s_or_b32 exec_lo, exec_lo, s24
	s_delay_alu instid0(SALU_CYCLE_1)
	s_and_b32 s3, s3, exec_lo
	s_or_saveexec_b32 s15, s15
	v_mov_b32_e32 v149, s14
	s_xor_b32 exec_lo, exec_lo, s15
	s_cbranch_execz .LBB2_2039
.LBB2_2291:                             ;   in Loop: Header=BB2_2021 Depth=3
	v_cmp_ne_u16_e64 vcc_lo, 0, v150
	v_mov_b32_e32 v149, 0
	s_and_not1_b32 s3, s3, exec_lo
	s_delay_alu instid0(VALU_DEP_2) | instskip(NEXT) | instid1(SALU_CYCLE_1)
	s_and_b32 s14, vcc_lo, exec_lo
	s_or_b32 s3, s3, s14
	s_or_b32 exec_lo, exec_lo, s15
	s_and_saveexec_b32 s14, s3
	s_cbranch_execnz .LBB2_2040
	s_branch .LBB2_2041
.LBB2_2292:                             ;   in Loop: Header=BB2_2021 Depth=3
	s_mov_b32 s3, -1
	s_mov_b32 s24, exec_lo
                                        ; implicit-def: $sgpr14
	v_cmpx_eq_u16_e64 0x80, v150
; %bb.2293:                             ;   in Loop: Header=BB2_2021 Depth=3
	s_mov_b32 s14, 0x7f800001
	s_xor_b32 s3, exec_lo, -1
; %bb.2294:                             ;   in Loop: Header=BB2_2021 Depth=3
	s_or_b32 exec_lo, exec_lo, s24
	s_delay_alu instid0(SALU_CYCLE_1)
	s_and_b32 s3, s3, exec_lo
	s_or_saveexec_b32 s15, s15
	v_mov_b32_e32 v151, s14
	s_xor_b32 exec_lo, exec_lo, s15
	s_cbranch_execz .LBB2_2043
.LBB2_2295:                             ;   in Loop: Header=BB2_2021 Depth=3
	v_cmp_ne_u16_e64 vcc_lo, 0, v150
	v_mov_b32_e32 v151, 0
	s_and_not1_b32 s3, s3, exec_lo
	s_delay_alu instid0(VALU_DEP_2) | instskip(NEXT) | instid1(SALU_CYCLE_1)
	s_and_b32 s14, vcc_lo, exec_lo
	s_or_b32 s3, s3, s14
	s_or_b32 exec_lo, exec_lo, s15
	s_and_saveexec_b32 s14, s3
	s_cbranch_execnz .LBB2_2044
	s_branch .LBB2_2045
.LBB2_2296:                             ;   in Loop: Header=BB2_2021 Depth=3
	s_mov_b32 s3, -1
	s_mov_b32 s24, exec_lo
                                        ; implicit-def: $sgpr14
	v_cmpx_eq_u16_e64 0x80, v160
; %bb.2297:                             ;   in Loop: Header=BB2_2021 Depth=3
	s_mov_b32 s14, 0x7f800001
	s_xor_b32 s3, exec_lo, -1
; %bb.2298:                             ;   in Loop: Header=BB2_2021 Depth=3
	s_or_b32 exec_lo, exec_lo, s24
	s_delay_alu instid0(SALU_CYCLE_1)
	s_and_b32 s3, s3, exec_lo
                                        ; implicit-def: $vgpr160
	s_or_saveexec_b32 s15, s15
	v_mov_b32_e32 v150, s14
	s_xor_b32 exec_lo, exec_lo, s15
	s_cbranch_execz .LBB2_2055
.LBB2_2299:                             ;   in Loop: Header=BB2_2021 Depth=3
	v_cmp_ne_u16_e64 vcc_lo, 0, v160
	v_mov_b32_e32 v150, 0
	s_and_not1_b32 s3, s3, exec_lo
	s_delay_alu instid0(VALU_DEP_2) | instskip(NEXT) | instid1(SALU_CYCLE_1)
	s_and_b32 s14, vcc_lo, exec_lo
	s_or_b32 s3, s3, s14
	s_or_b32 exec_lo, exec_lo, s15
	s_and_saveexec_b32 s14, s3
	s_cbranch_execnz .LBB2_2056
	s_branch .LBB2_2057
.LBB2_2300:                             ;   in Loop: Header=BB2_2021 Depth=3
	s_mov_b32 s3, -1
	s_mov_b32 s24, exec_lo
                                        ; implicit-def: $sgpr14
	v_cmpx_eq_u16_e64 0x80, v161
; %bb.2301:                             ;   in Loop: Header=BB2_2021 Depth=3
	s_mov_b32 s14, 0x7f800001
	s_xor_b32 s3, exec_lo, -1
; %bb.2302:                             ;   in Loop: Header=BB2_2021 Depth=3
	s_or_b32 exec_lo, exec_lo, s24
	s_delay_alu instid0(SALU_CYCLE_1)
	s_and_b32 s3, s3, exec_lo
                                        ; implicit-def: $vgpr161
	s_or_saveexec_b32 s15, s15
	v_mov_b32_e32 v160, s14
	s_xor_b32 exec_lo, exec_lo, s15
	s_cbranch_execz .LBB2_2059
.LBB2_2303:                             ;   in Loop: Header=BB2_2021 Depth=3
	v_cmp_ne_u16_e64 vcc_lo, 0, v161
	v_mov_b32_e32 v160, 0
	s_and_not1_b32 s3, s3, exec_lo
	s_delay_alu instid0(VALU_DEP_2) | instskip(NEXT) | instid1(SALU_CYCLE_1)
	s_and_b32 s14, vcc_lo, exec_lo
	s_or_b32 s3, s3, s14
	s_or_b32 exec_lo, exec_lo, s15
	s_and_saveexec_b32 s14, s3
	s_cbranch_execnz .LBB2_2060
	s_branch .LBB2_2061
.LBB2_2304:                             ;   in Loop: Header=BB2_2021 Depth=3
	s_mov_b32 s3, -1
	s_mov_b32 s24, exec_lo
                                        ; implicit-def: $sgpr14
	v_cmpx_eq_u16_e64 0x80, v160
; %bb.2305:                             ;   in Loop: Header=BB2_2021 Depth=3
	s_mov_b32 s14, 0x7f800001
	s_xor_b32 s3, exec_lo, -1
; %bb.2306:                             ;   in Loop: Header=BB2_2021 Depth=3
	s_or_b32 exec_lo, exec_lo, s24
	s_delay_alu instid0(SALU_CYCLE_1)
	s_and_b32 s3, s3, exec_lo
	s_or_saveexec_b32 s15, s15
	v_mov_b32_e32 v151, s14
	s_xor_b32 exec_lo, exec_lo, s15
	s_cbranch_execz .LBB2_2071
.LBB2_2307:                             ;   in Loop: Header=BB2_2021 Depth=3
	v_cmp_ne_u16_e64 vcc_lo, 0, v160
	v_mov_b32_e32 v151, 0
	s_and_not1_b32 s3, s3, exec_lo
	s_delay_alu instid0(VALU_DEP_2) | instskip(NEXT) | instid1(SALU_CYCLE_1)
	s_and_b32 s14, vcc_lo, exec_lo
	s_or_b32 s3, s3, s14
	s_or_b32 exec_lo, exec_lo, s15
	s_and_saveexec_b32 s14, s3
	s_cbranch_execnz .LBB2_2072
	s_branch .LBB2_2073
.LBB2_2308:                             ;   in Loop: Header=BB2_2021 Depth=3
	s_mov_b32 s3, -1
	s_mov_b32 s24, exec_lo
                                        ; implicit-def: $sgpr14
	v_cmpx_eq_u16_e32 0x80, v12
; %bb.2309:                             ;   in Loop: Header=BB2_2021 Depth=3
	s_mov_b32 s14, 0x7f800001
	s_xor_b32 s3, exec_lo, -1
; %bb.2310:                             ;   in Loop: Header=BB2_2021 Depth=3
	s_or_b32 exec_lo, exec_lo, s24
	s_delay_alu instid0(SALU_CYCLE_1)
	s_and_b32 s3, s3, exec_lo
	s_or_saveexec_b32 s15, s15
	v_mov_b32_e32 v160, s14
	s_xor_b32 exec_lo, exec_lo, s15
	s_cbranch_execz .LBB2_2075
.LBB2_2311:                             ;   in Loop: Header=BB2_2021 Depth=3
	v_cmp_ne_u16_e32 vcc_lo, 0, v12
	v_mov_b32_e32 v160, 0
	s_and_not1_b32 s3, s3, exec_lo
	s_and_b32 s14, vcc_lo, exec_lo
	s_delay_alu instid0(SALU_CYCLE_1)
	s_or_b32 s3, s3, s14
	s_or_b32 exec_lo, exec_lo, s15
	s_and_saveexec_b32 s14, s3
	s_cbranch_execnz .LBB2_2076
	s_branch .LBB2_2077
.LBB2_2312:                             ;   in Loop: Header=BB2_2021 Depth=3
	s_mov_b32 s3, -1
	s_mov_b32 s24, exec_lo
                                        ; implicit-def: $sgpr14
	v_cmpx_eq_u16_e64 0x80, v151
; %bb.2313:                             ;   in Loop: Header=BB2_2021 Depth=3
	s_mov_b32 s14, 0x7f800001
	s_xor_b32 s3, exec_lo, -1
; %bb.2314:                             ;   in Loop: Header=BB2_2021 Depth=3
	s_or_b32 exec_lo, exec_lo, s24
	s_delay_alu instid0(SALU_CYCLE_1)
	s_and_b32 s3, s3, exec_lo
                                        ; implicit-def: $vgpr151
	s_or_saveexec_b32 s15, s15
	v_mov_b32_e32 v12, s14
	s_xor_b32 exec_lo, exec_lo, s15
	s_cbranch_execz .LBB2_2087
.LBB2_2315:                             ;   in Loop: Header=BB2_2021 Depth=3
	v_cmp_ne_u16_e64 vcc_lo, 0, v151
	v_mov_b32_e32 v12, 0
	s_and_not1_b32 s3, s3, exec_lo
	s_delay_alu instid0(VALU_DEP_2) | instskip(NEXT) | instid1(SALU_CYCLE_1)
	s_and_b32 s14, vcc_lo, exec_lo
	s_or_b32 s3, s3, s14
	s_or_b32 exec_lo, exec_lo, s15
	s_and_saveexec_b32 s14, s3
	s_cbranch_execnz .LBB2_2088
	s_branch .LBB2_2089
.LBB2_2316:                             ;   in Loop: Header=BB2_2021 Depth=3
	s_mov_b32 s3, -1
	s_mov_b32 s24, exec_lo
                                        ; implicit-def: $sgpr14
	v_cmpx_eq_u16_e64 0x80, v160
; %bb.2317:                             ;   in Loop: Header=BB2_2021 Depth=3
	s_mov_b32 s14, 0x7f800001
	s_xor_b32 s3, exec_lo, -1
; %bb.2318:                             ;   in Loop: Header=BB2_2021 Depth=3
	s_or_b32 exec_lo, exec_lo, s24
	s_delay_alu instid0(SALU_CYCLE_1)
	s_and_b32 s3, s3, exec_lo
                                        ; implicit-def: $vgpr160
	s_or_saveexec_b32 s15, s15
	v_mov_b32_e32 v151, s14
	s_xor_b32 exec_lo, exec_lo, s15
	s_cbranch_execz .LBB2_2091
.LBB2_2319:                             ;   in Loop: Header=BB2_2021 Depth=3
	v_cmp_ne_u16_e64 vcc_lo, 0, v160
	v_mov_b32_e32 v151, 0
	s_and_not1_b32 s3, s3, exec_lo
	s_delay_alu instid0(VALU_DEP_2) | instskip(NEXT) | instid1(SALU_CYCLE_1)
	s_and_b32 s14, vcc_lo, exec_lo
	s_or_b32 s3, s3, s14
	s_or_b32 exec_lo, exec_lo, s15
	s_and_saveexec_b32 s14, s3
	s_cbranch_execnz .LBB2_2092
	s_branch .LBB2_2093
.LBB2_2320:                             ;   in Loop: Header=BB2_2021 Depth=3
	s_mov_b32 s3, -1
	s_mov_b32 s24, exec_lo
                                        ; implicit-def: $sgpr14
	v_cmpx_eq_u16_e64 0x80, v160
; %bb.2321:                             ;   in Loop: Header=BB2_2021 Depth=3
	s_mov_b32 s14, 0x7f800001
	s_xor_b32 s3, exec_lo, -1
; %bb.2322:                             ;   in Loop: Header=BB2_2021 Depth=3
	s_or_b32 exec_lo, exec_lo, s24
	s_delay_alu instid0(SALU_CYCLE_1)
	s_and_b32 s3, s3, exec_lo
	s_or_saveexec_b32 s15, s15
	v_mov_b32_e32 v151, s14
	s_xor_b32 exec_lo, exec_lo, s15
	s_cbranch_execz .LBB2_2103
.LBB2_2323:                             ;   in Loop: Header=BB2_2021 Depth=3
	v_cmp_ne_u16_e64 vcc_lo, 0, v160
	v_mov_b32_e32 v151, 0
	s_and_not1_b32 s3, s3, exec_lo
	s_delay_alu instid0(VALU_DEP_2) | instskip(NEXT) | instid1(SALU_CYCLE_1)
	s_and_b32 s14, vcc_lo, exec_lo
	s_or_b32 s3, s3, s14
	s_or_b32 exec_lo, exec_lo, s15
	s_and_saveexec_b32 s14, s3
	s_cbranch_execnz .LBB2_2104
	s_branch .LBB2_2105
.LBB2_2324:                             ;   in Loop: Header=BB2_2021 Depth=3
	s_mov_b32 s3, -1
	s_mov_b32 s24, exec_lo
                                        ; implicit-def: $sgpr14
	v_cmpx_eq_u16_e64 0x80, v160
; %bb.2325:                             ;   in Loop: Header=BB2_2021 Depth=3
	s_mov_b32 s14, 0x7f800001
	s_xor_b32 s3, exec_lo, -1
; %bb.2326:                             ;   in Loop: Header=BB2_2021 Depth=3
	s_or_b32 exec_lo, exec_lo, s24
	s_delay_alu instid0(SALU_CYCLE_1)
	s_and_b32 s3, s3, exec_lo
	s_or_saveexec_b32 s15, s15
	v_mov_b32_e32 v161, s14
	s_xor_b32 exec_lo, exec_lo, s15
	s_cbranch_execz .LBB2_2107
.LBB2_2327:                             ;   in Loop: Header=BB2_2021 Depth=3
	v_cmp_ne_u16_e64 vcc_lo, 0, v160
	v_mov_b32_e32 v161, 0
	s_and_not1_b32 s3, s3, exec_lo
	s_delay_alu instid0(VALU_DEP_2) | instskip(NEXT) | instid1(SALU_CYCLE_1)
	s_and_b32 s14, vcc_lo, exec_lo
	s_or_b32 s3, s3, s14
	s_or_b32 exec_lo, exec_lo, s15
	s_and_saveexec_b32 s14, s3
	s_cbranch_execnz .LBB2_2108
	s_branch .LBB2_2109
.LBB2_2328:                             ;   in Loop: Header=BB2_2021 Depth=3
	s_mov_b32 s3, -1
	s_mov_b32 s24, exec_lo
                                        ; implicit-def: $sgpr14
	v_cmpx_eq_u16_e64 0x80, v162
; %bb.2329:                             ;   in Loop: Header=BB2_2021 Depth=3
	s_mov_b32 s14, 0x7f800001
	s_xor_b32 s3, exec_lo, -1
; %bb.2330:                             ;   in Loop: Header=BB2_2021 Depth=3
	s_or_b32 exec_lo, exec_lo, s24
	s_delay_alu instid0(SALU_CYCLE_1)
	s_and_b32 s3, s3, exec_lo
                                        ; implicit-def: $vgpr162
	s_or_saveexec_b32 s15, s15
	v_mov_b32_e32 v160, s14
	s_xor_b32 exec_lo, exec_lo, s15
	s_cbranch_execz .LBB2_2119
.LBB2_2331:                             ;   in Loop: Header=BB2_2021 Depth=3
	v_cmp_ne_u16_e64 vcc_lo, 0, v162
	v_mov_b32_e32 v160, 0
	s_and_not1_b32 s3, s3, exec_lo
	s_delay_alu instid0(VALU_DEP_2) | instskip(NEXT) | instid1(SALU_CYCLE_1)
	s_and_b32 s14, vcc_lo, exec_lo
	s_or_b32 s3, s3, s14
	s_or_b32 exec_lo, exec_lo, s15
	s_and_saveexec_b32 s14, s3
	s_cbranch_execnz .LBB2_2120
	s_branch .LBB2_2121
.LBB2_2332:                             ;   in Loop: Header=BB2_2021 Depth=3
	s_mov_b32 s3, -1
	s_mov_b32 s24, exec_lo
                                        ; implicit-def: $sgpr14
	v_cmpx_eq_u16_e64 0x80, v163
; %bb.2333:                             ;   in Loop: Header=BB2_2021 Depth=3
	s_mov_b32 s14, 0x7f800001
	s_xor_b32 s3, exec_lo, -1
; %bb.2334:                             ;   in Loop: Header=BB2_2021 Depth=3
	s_or_b32 exec_lo, exec_lo, s24
	s_delay_alu instid0(SALU_CYCLE_1)
	s_and_b32 s3, s3, exec_lo
                                        ; implicit-def: $vgpr163
	s_or_saveexec_b32 s15, s15
	v_mov_b32_e32 v162, s14
	s_xor_b32 exec_lo, exec_lo, s15
	s_cbranch_execz .LBB2_2123
.LBB2_2335:                             ;   in Loop: Header=BB2_2021 Depth=3
	v_cmp_ne_u16_e64 vcc_lo, 0, v163
	v_mov_b32_e32 v162, 0
	s_and_not1_b32 s3, s3, exec_lo
	s_delay_alu instid0(VALU_DEP_2) | instskip(NEXT) | instid1(SALU_CYCLE_1)
	s_and_b32 s14, vcc_lo, exec_lo
	s_or_b32 s3, s3, s14
	s_or_b32 exec_lo, exec_lo, s15
	s_and_saveexec_b32 s14, s3
	s_cbranch_execnz .LBB2_2124
	s_branch .LBB2_2125
.LBB2_2336:                             ;   in Loop: Header=BB2_2021 Depth=3
	s_mov_b32 s3, -1
	s_mov_b32 s24, exec_lo
                                        ; implicit-def: $sgpr14
	v_cmpx_eq_u16_e64 0x80, v162
; %bb.2337:                             ;   in Loop: Header=BB2_2021 Depth=3
	s_mov_b32 s14, 0x7f800001
	s_xor_b32 s3, exec_lo, -1
; %bb.2338:                             ;   in Loop: Header=BB2_2021 Depth=3
	s_or_b32 exec_lo, exec_lo, s24
	s_delay_alu instid0(SALU_CYCLE_1)
	s_and_b32 s3, s3, exec_lo
	s_or_saveexec_b32 s15, s15
	v_mov_b32_e32 v161, s14
	s_xor_b32 exec_lo, exec_lo, s15
	s_cbranch_execz .LBB2_2135
.LBB2_2339:                             ;   in Loop: Header=BB2_2021 Depth=3
	v_cmp_ne_u16_e64 vcc_lo, 0, v162
	v_mov_b32_e32 v161, 0
	s_and_not1_b32 s3, s3, exec_lo
	s_delay_alu instid0(VALU_DEP_2) | instskip(NEXT) | instid1(SALU_CYCLE_1)
	s_and_b32 s14, vcc_lo, exec_lo
	s_or_b32 s3, s3, s14
	s_or_b32 exec_lo, exec_lo, s15
	s_and_saveexec_b32 s14, s3
	s_cbranch_execnz .LBB2_2136
	s_branch .LBB2_2137
.LBB2_2340:                             ;   in Loop: Header=BB2_2021 Depth=3
	s_mov_b32 s3, -1
	s_mov_b32 s24, exec_lo
                                        ; implicit-def: $sgpr14
	v_cmpx_eq_u16_e32 0x80, v13
; %bb.2341:                             ;   in Loop: Header=BB2_2021 Depth=3
	s_mov_b32 s14, 0x7f800001
	s_xor_b32 s3, exec_lo, -1
; %bb.2342:                             ;   in Loop: Header=BB2_2021 Depth=3
	s_or_b32 exec_lo, exec_lo, s24
	s_delay_alu instid0(SALU_CYCLE_1)
	s_and_b32 s3, s3, exec_lo
	s_or_saveexec_b32 s15, s15
	v_mov_b32_e32 v162, s14
	s_xor_b32 exec_lo, exec_lo, s15
	s_cbranch_execz .LBB2_2139
.LBB2_2343:                             ;   in Loop: Header=BB2_2021 Depth=3
	v_cmp_ne_u16_e32 vcc_lo, 0, v13
	v_mov_b32_e32 v162, 0
	s_and_not1_b32 s3, s3, exec_lo
	s_and_b32 s14, vcc_lo, exec_lo
	s_delay_alu instid0(SALU_CYCLE_1)
	s_or_b32 s3, s3, s14
	s_or_b32 exec_lo, exec_lo, s15
	s_and_saveexec_b32 s14, s3
	s_cbranch_execnz .LBB2_2140
	s_branch .LBB2_2141
.LBB2_2344:                             ;   in Loop: Header=BB2_2021 Depth=3
	s_mov_b32 s3, -1
	s_mov_b32 s24, exec_lo
                                        ; implicit-def: $sgpr14
	v_cmpx_eq_u16_e64 0x80, v161
; %bb.2345:                             ;   in Loop: Header=BB2_2021 Depth=3
	s_mov_b32 s14, 0x7f800001
	s_xor_b32 s3, exec_lo, -1
; %bb.2346:                             ;   in Loop: Header=BB2_2021 Depth=3
	s_or_b32 exec_lo, exec_lo, s24
	s_delay_alu instid0(SALU_CYCLE_1)
	s_and_b32 s3, s3, exec_lo
                                        ; implicit-def: $vgpr161
	s_or_saveexec_b32 s15, s15
	v_mov_b32_e32 v13, s14
	s_xor_b32 exec_lo, exec_lo, s15
	s_cbranch_execz .LBB2_2151
.LBB2_2347:                             ;   in Loop: Header=BB2_2021 Depth=3
	v_cmp_ne_u16_e64 vcc_lo, 0, v161
	v_mov_b32_e32 v13, 0
	s_and_not1_b32 s3, s3, exec_lo
	s_delay_alu instid0(VALU_DEP_2) | instskip(NEXT) | instid1(SALU_CYCLE_1)
	s_and_b32 s14, vcc_lo, exec_lo
	s_or_b32 s3, s3, s14
	s_or_b32 exec_lo, exec_lo, s15
	s_and_saveexec_b32 s14, s3
	s_cbranch_execnz .LBB2_2152
	s_branch .LBB2_2153
.LBB2_2348:                             ;   in Loop: Header=BB2_2021 Depth=3
	s_mov_b32 s3, -1
	s_mov_b32 s24, exec_lo
                                        ; implicit-def: $sgpr14
	v_cmpx_eq_u16_e64 0x80, v162
; %bb.2349:                             ;   in Loop: Header=BB2_2021 Depth=3
	s_mov_b32 s14, 0x7f800001
	s_xor_b32 s3, exec_lo, -1
; %bb.2350:                             ;   in Loop: Header=BB2_2021 Depth=3
	s_or_b32 exec_lo, exec_lo, s24
	s_delay_alu instid0(SALU_CYCLE_1)
	s_and_b32 s3, s3, exec_lo
                                        ; implicit-def: $vgpr162
	s_or_saveexec_b32 s15, s15
	v_mov_b32_e32 v161, s14
	s_xor_b32 exec_lo, exec_lo, s15
	s_cbranch_execz .LBB2_2155
.LBB2_2351:                             ;   in Loop: Header=BB2_2021 Depth=3
	v_cmp_ne_u16_e64 vcc_lo, 0, v162
	v_mov_b32_e32 v161, 0
	s_and_not1_b32 s3, s3, exec_lo
	s_delay_alu instid0(VALU_DEP_2) | instskip(NEXT) | instid1(SALU_CYCLE_1)
	s_and_b32 s14, vcc_lo, exec_lo
	s_or_b32 s3, s3, s14
	s_or_b32 exec_lo, exec_lo, s15
	s_and_saveexec_b32 s14, s3
	s_cbranch_execnz .LBB2_2156
	s_branch .LBB2_2157
.LBB2_2352:                             ;   in Loop: Header=BB2_2021 Depth=3
	s_mov_b32 s3, -1
	s_mov_b32 s24, exec_lo
                                        ; implicit-def: $sgpr14
	v_cmpx_eq_u16_e64 0x80, v162
; %bb.2353:                             ;   in Loop: Header=BB2_2021 Depth=3
	s_mov_b32 s14, 0x7f800001
	s_xor_b32 s3, exec_lo, -1
; %bb.2354:                             ;   in Loop: Header=BB2_2021 Depth=3
	s_or_b32 exec_lo, exec_lo, s24
	s_delay_alu instid0(SALU_CYCLE_1)
	s_and_b32 s3, s3, exec_lo
	s_or_saveexec_b32 s15, s15
	v_mov_b32_e32 v161, s14
	s_xor_b32 exec_lo, exec_lo, s15
	s_cbranch_execz .LBB2_2167
.LBB2_2355:                             ;   in Loop: Header=BB2_2021 Depth=3
	v_cmp_ne_u16_e64 vcc_lo, 0, v162
	v_mov_b32_e32 v161, 0
	s_and_not1_b32 s3, s3, exec_lo
	s_delay_alu instid0(VALU_DEP_2) | instskip(NEXT) | instid1(SALU_CYCLE_1)
	s_and_b32 s14, vcc_lo, exec_lo
	s_or_b32 s3, s3, s14
	s_or_b32 exec_lo, exec_lo, s15
	s_and_saveexec_b32 s14, s3
	s_cbranch_execnz .LBB2_2168
	s_branch .LBB2_2169
.LBB2_2356:                             ;   in Loop: Header=BB2_2021 Depth=3
	s_mov_b32 s3, -1
	s_mov_b32 s24, exec_lo
                                        ; implicit-def: $sgpr14
	v_cmpx_eq_u16_e64 0x80, v162
; %bb.2357:                             ;   in Loop: Header=BB2_2021 Depth=3
	s_mov_b32 s14, 0x7f800001
	s_xor_b32 s3, exec_lo, -1
; %bb.2358:                             ;   in Loop: Header=BB2_2021 Depth=3
	s_or_b32 exec_lo, exec_lo, s24
	s_delay_alu instid0(SALU_CYCLE_1)
	s_and_b32 s3, s3, exec_lo
	s_or_saveexec_b32 s15, s15
	v_mov_b32_e32 v163, s14
	s_xor_b32 exec_lo, exec_lo, s15
	s_cbranch_execz .LBB2_2171
.LBB2_2359:                             ;   in Loop: Header=BB2_2021 Depth=3
	v_cmp_ne_u16_e64 vcc_lo, 0, v162
	v_mov_b32_e32 v163, 0
	s_and_not1_b32 s3, s3, exec_lo
	s_delay_alu instid0(VALU_DEP_2) | instskip(NEXT) | instid1(SALU_CYCLE_1)
	s_and_b32 s14, vcc_lo, exec_lo
	s_or_b32 s3, s3, s14
	s_or_b32 exec_lo, exec_lo, s15
	s_and_saveexec_b32 s14, s3
	s_cbranch_execnz .LBB2_2172
	s_branch .LBB2_2173
.LBB2_2360:                             ;   in Loop: Header=BB2_2021 Depth=3
	s_mov_b32 s3, -1
	s_mov_b32 s24, exec_lo
                                        ; implicit-def: $sgpr14
	v_cmpx_eq_u16_e64 0x80, v164
; %bb.2361:                             ;   in Loop: Header=BB2_2021 Depth=3
	s_mov_b32 s14, 0x7f800001
	s_xor_b32 s3, exec_lo, -1
; %bb.2362:                             ;   in Loop: Header=BB2_2021 Depth=3
	s_or_b32 exec_lo, exec_lo, s24
	s_delay_alu instid0(SALU_CYCLE_1)
	s_and_b32 s3, s3, exec_lo
                                        ; implicit-def: $vgpr164
	s_or_saveexec_b32 s15, s15
	v_mov_b32_e32 v162, s14
	s_xor_b32 exec_lo, exec_lo, s15
	s_cbranch_execz .LBB2_2183
.LBB2_2363:                             ;   in Loop: Header=BB2_2021 Depth=3
	v_cmp_ne_u16_e64 vcc_lo, 0, v164
	v_mov_b32_e32 v162, 0
	s_and_not1_b32 s3, s3, exec_lo
	s_delay_alu instid0(VALU_DEP_2) | instskip(NEXT) | instid1(SALU_CYCLE_1)
	s_and_b32 s14, vcc_lo, exec_lo
	s_or_b32 s3, s3, s14
	s_or_b32 exec_lo, exec_lo, s15
	s_and_saveexec_b32 s14, s3
	s_cbranch_execnz .LBB2_2184
	s_branch .LBB2_2185
.LBB2_2364:                             ;   in Loop: Header=BB2_2021 Depth=3
	s_mov_b32 s3, -1
	s_mov_b32 s24, exec_lo
                                        ; implicit-def: $sgpr14
	v_cmpx_eq_u16_e64 0x80, v165
; %bb.2365:                             ;   in Loop: Header=BB2_2021 Depth=3
	s_mov_b32 s14, 0x7f800001
	s_xor_b32 s3, exec_lo, -1
; %bb.2366:                             ;   in Loop: Header=BB2_2021 Depth=3
	s_or_b32 exec_lo, exec_lo, s24
	s_delay_alu instid0(SALU_CYCLE_1)
	s_and_b32 s3, s3, exec_lo
                                        ; implicit-def: $vgpr165
	s_or_saveexec_b32 s15, s15
	v_mov_b32_e32 v164, s14
	s_xor_b32 exec_lo, exec_lo, s15
	s_cbranch_execz .LBB2_2187
.LBB2_2367:                             ;   in Loop: Header=BB2_2021 Depth=3
	v_cmp_ne_u16_e64 vcc_lo, 0, v165
	v_mov_b32_e32 v164, 0
	s_and_not1_b32 s3, s3, exec_lo
	s_delay_alu instid0(VALU_DEP_2) | instskip(NEXT) | instid1(SALU_CYCLE_1)
	s_and_b32 s14, vcc_lo, exec_lo
	s_or_b32 s3, s3, s14
	s_or_b32 exec_lo, exec_lo, s15
	s_and_saveexec_b32 s14, s3
	s_cbranch_execnz .LBB2_2188
	s_branch .LBB2_2189
.LBB2_2368:                             ;   in Loop: Header=BB2_2021 Depth=3
	s_mov_b32 s3, -1
	s_mov_b32 s24, exec_lo
                                        ; implicit-def: $sgpr14
	v_cmpx_eq_u16_e64 0x80, v164
; %bb.2369:                             ;   in Loop: Header=BB2_2021 Depth=3
	s_mov_b32 s14, 0x7f800001
	s_xor_b32 s3, exec_lo, -1
; %bb.2370:                             ;   in Loop: Header=BB2_2021 Depth=3
	s_or_b32 exec_lo, exec_lo, s24
	s_delay_alu instid0(SALU_CYCLE_1)
	s_and_b32 s3, s3, exec_lo
	s_or_saveexec_b32 s15, s15
	v_mov_b32_e32 v163, s14
	s_xor_b32 exec_lo, exec_lo, s15
	s_cbranch_execz .LBB2_2199
.LBB2_2371:                             ;   in Loop: Header=BB2_2021 Depth=3
	v_cmp_ne_u16_e64 vcc_lo, 0, v164
	v_mov_b32_e32 v163, 0
	s_and_not1_b32 s3, s3, exec_lo
	s_delay_alu instid0(VALU_DEP_2) | instskip(NEXT) | instid1(SALU_CYCLE_1)
	s_and_b32 s14, vcc_lo, exec_lo
	s_or_b32 s3, s3, s14
	s_or_b32 exec_lo, exec_lo, s15
	s_and_saveexec_b32 s14, s3
	s_cbranch_execnz .LBB2_2200
	s_branch .LBB2_2201
.LBB2_2372:                             ;   in Loop: Header=BB2_2021 Depth=3
	s_mov_b32 s3, -1
	s_mov_b32 s24, exec_lo
                                        ; implicit-def: $sgpr14
	v_cmpx_eq_u16_e32 0x80, v14
; %bb.2373:                             ;   in Loop: Header=BB2_2021 Depth=3
	s_mov_b32 s14, 0x7f800001
	s_xor_b32 s3, exec_lo, -1
; %bb.2374:                             ;   in Loop: Header=BB2_2021 Depth=3
	s_or_b32 exec_lo, exec_lo, s24
	s_delay_alu instid0(SALU_CYCLE_1)
	s_and_b32 s3, s3, exec_lo
	s_or_saveexec_b32 s15, s15
	v_mov_b32_e32 v164, s14
	s_xor_b32 exec_lo, exec_lo, s15
	s_cbranch_execz .LBB2_2203
.LBB2_2375:                             ;   in Loop: Header=BB2_2021 Depth=3
	v_cmp_ne_u16_e32 vcc_lo, 0, v14
	v_mov_b32_e32 v164, 0
	s_and_not1_b32 s3, s3, exec_lo
	s_and_b32 s14, vcc_lo, exec_lo
	s_delay_alu instid0(SALU_CYCLE_1)
	s_or_b32 s3, s3, s14
	s_or_b32 exec_lo, exec_lo, s15
	s_and_saveexec_b32 s14, s3
	s_cbranch_execnz .LBB2_2204
	s_branch .LBB2_2205
.LBB2_2376:                             ;   in Loop: Header=BB2_2021 Depth=3
	s_mov_b32 s3, -1
	s_mov_b32 s24, exec_lo
                                        ; implicit-def: $sgpr14
	v_cmpx_eq_u16_e64 0x80, v163
; %bb.2377:                             ;   in Loop: Header=BB2_2021 Depth=3
	s_mov_b32 s14, 0x7f800001
	s_xor_b32 s3, exec_lo, -1
; %bb.2378:                             ;   in Loop: Header=BB2_2021 Depth=3
	s_or_b32 exec_lo, exec_lo, s24
	s_delay_alu instid0(SALU_CYCLE_1)
	s_and_b32 s3, s3, exec_lo
                                        ; implicit-def: $vgpr163
	s_or_saveexec_b32 s15, s15
	v_mov_b32_e32 v14, s14
	s_xor_b32 exec_lo, exec_lo, s15
	s_cbranch_execz .LBB2_2215
.LBB2_2379:                             ;   in Loop: Header=BB2_2021 Depth=3
	v_cmp_ne_u16_e64 vcc_lo, 0, v163
	v_mov_b32_e32 v14, 0
	s_and_not1_b32 s3, s3, exec_lo
	s_delay_alu instid0(VALU_DEP_2) | instskip(NEXT) | instid1(SALU_CYCLE_1)
	s_and_b32 s14, vcc_lo, exec_lo
	s_or_b32 s3, s3, s14
	s_or_b32 exec_lo, exec_lo, s15
	s_and_saveexec_b32 s14, s3
	s_cbranch_execnz .LBB2_2216
	s_branch .LBB2_2217
.LBB2_2380:                             ;   in Loop: Header=BB2_2021 Depth=3
	s_mov_b32 s3, -1
	s_mov_b32 s24, exec_lo
                                        ; implicit-def: $sgpr14
	v_cmpx_eq_u16_e64 0x80, v164
; %bb.2381:                             ;   in Loop: Header=BB2_2021 Depth=3
	s_mov_b32 s14, 0x7f800001
	s_xor_b32 s3, exec_lo, -1
; %bb.2382:                             ;   in Loop: Header=BB2_2021 Depth=3
	s_or_b32 exec_lo, exec_lo, s24
	s_delay_alu instid0(SALU_CYCLE_1)
	s_and_b32 s3, s3, exec_lo
                                        ; implicit-def: $vgpr164
	s_or_saveexec_b32 s15, s15
	v_mov_b32_e32 v163, s14
	s_xor_b32 exec_lo, exec_lo, s15
	s_cbranch_execz .LBB2_2219
.LBB2_2383:                             ;   in Loop: Header=BB2_2021 Depth=3
	v_cmp_ne_u16_e64 vcc_lo, 0, v164
	v_mov_b32_e32 v163, 0
	s_and_not1_b32 s3, s3, exec_lo
	s_delay_alu instid0(VALU_DEP_2) | instskip(NEXT) | instid1(SALU_CYCLE_1)
	s_and_b32 s14, vcc_lo, exec_lo
	s_or_b32 s3, s3, s14
	s_or_b32 exec_lo, exec_lo, s15
	s_and_saveexec_b32 s14, s3
	s_cbranch_execnz .LBB2_2220
	s_branch .LBB2_2221
.LBB2_2384:                             ;   in Loop: Header=BB2_2021 Depth=3
	s_mov_b32 s3, -1
	s_mov_b32 s24, exec_lo
                                        ; implicit-def: $sgpr14
	v_cmpx_eq_u16_e64 0x80, v164
; %bb.2385:                             ;   in Loop: Header=BB2_2021 Depth=3
	s_mov_b32 s14, 0x7f800001
	s_xor_b32 s3, exec_lo, -1
; %bb.2386:                             ;   in Loop: Header=BB2_2021 Depth=3
	s_or_b32 exec_lo, exec_lo, s24
	s_delay_alu instid0(SALU_CYCLE_1)
	s_and_b32 s3, s3, exec_lo
	s_or_saveexec_b32 s15, s15
	v_mov_b32_e32 v163, s14
	s_xor_b32 exec_lo, exec_lo, s15
	s_cbranch_execz .LBB2_2231
.LBB2_2387:                             ;   in Loop: Header=BB2_2021 Depth=3
	v_cmp_ne_u16_e64 vcc_lo, 0, v164
	v_mov_b32_e32 v163, 0
	s_and_not1_b32 s3, s3, exec_lo
	s_delay_alu instid0(VALU_DEP_2) | instskip(NEXT) | instid1(SALU_CYCLE_1)
	s_and_b32 s14, vcc_lo, exec_lo
	s_or_b32 s3, s3, s14
	s_or_b32 exec_lo, exec_lo, s15
	s_and_saveexec_b32 s14, s3
	s_cbranch_execnz .LBB2_2232
	s_branch .LBB2_2233
.LBB2_2388:                             ;   in Loop: Header=BB2_2021 Depth=3
	s_mov_b32 s3, -1
	s_mov_b32 s24, exec_lo
                                        ; implicit-def: $sgpr14
	v_cmpx_eq_u16_e64 0x80, v164
; %bb.2389:                             ;   in Loop: Header=BB2_2021 Depth=3
	s_mov_b32 s14, 0x7f800001
	s_xor_b32 s3, exec_lo, -1
; %bb.2390:                             ;   in Loop: Header=BB2_2021 Depth=3
	s_or_b32 exec_lo, exec_lo, s24
	s_delay_alu instid0(SALU_CYCLE_1)
	s_and_b32 s3, s3, exec_lo
	s_or_saveexec_b32 s15, s15
	v_mov_b32_e32 v165, s14
	s_xor_b32 exec_lo, exec_lo, s15
	s_cbranch_execz .LBB2_2235
.LBB2_2391:                             ;   in Loop: Header=BB2_2021 Depth=3
	v_cmp_ne_u16_e64 vcc_lo, 0, v164
	v_mov_b32_e32 v165, 0
	s_and_not1_b32 s3, s3, exec_lo
	s_delay_alu instid0(VALU_DEP_2) | instskip(NEXT) | instid1(SALU_CYCLE_1)
	s_and_b32 s14, vcc_lo, exec_lo
	s_or_b32 s3, s3, s14
	s_or_b32 exec_lo, exec_lo, s15
	s_and_saveexec_b32 s14, s3
	s_cbranch_execnz .LBB2_2236
	s_branch .LBB2_2237
.LBB2_2392:                             ;   in Loop: Header=BB2_2021 Depth=3
	s_mov_b32 s3, -1
	s_mov_b32 s24, exec_lo
                                        ; implicit-def: $sgpr14
	v_cmpx_eq_u16_e64 0x80, v166
; %bb.2393:                             ;   in Loop: Header=BB2_2021 Depth=3
	s_mov_b32 s14, 0x7f800001
	s_xor_b32 s3, exec_lo, -1
; %bb.2394:                             ;   in Loop: Header=BB2_2021 Depth=3
	s_or_b32 exec_lo, exec_lo, s24
	s_delay_alu instid0(SALU_CYCLE_1)
	s_and_b32 s3, s3, exec_lo
                                        ; implicit-def: $vgpr166
	s_or_saveexec_b32 s15, s15
	v_mov_b32_e32 v164, s14
	s_xor_b32 exec_lo, exec_lo, s15
	s_cbranch_execz .LBB2_2247
.LBB2_2395:                             ;   in Loop: Header=BB2_2021 Depth=3
	v_cmp_ne_u16_e64 vcc_lo, 0, v166
	v_mov_b32_e32 v164, 0
	s_and_not1_b32 s3, s3, exec_lo
	s_delay_alu instid0(VALU_DEP_2) | instskip(NEXT) | instid1(SALU_CYCLE_1)
	s_and_b32 s14, vcc_lo, exec_lo
	s_or_b32 s3, s3, s14
	s_or_b32 exec_lo, exec_lo, s15
	s_and_saveexec_b32 s14, s3
	s_cbranch_execnz .LBB2_2248
	s_branch .LBB2_2249
.LBB2_2396:                             ;   in Loop: Header=BB2_2021 Depth=3
	s_mov_b32 s3, -1
	s_mov_b32 s24, exec_lo
                                        ; implicit-def: $sgpr14
	v_cmpx_eq_u16_e64 0x80, v167
; %bb.2397:                             ;   in Loop: Header=BB2_2021 Depth=3
	s_mov_b32 s14, 0x7f800001
	s_xor_b32 s3, exec_lo, -1
; %bb.2398:                             ;   in Loop: Header=BB2_2021 Depth=3
	s_or_b32 exec_lo, exec_lo, s24
	s_delay_alu instid0(SALU_CYCLE_1)
	s_and_b32 s3, s3, exec_lo
                                        ; implicit-def: $vgpr167
	s_or_saveexec_b32 s15, s15
	v_mov_b32_e32 v166, s14
	s_xor_b32 exec_lo, exec_lo, s15
	s_cbranch_execz .LBB2_2251
.LBB2_2399:                             ;   in Loop: Header=BB2_2021 Depth=3
	v_cmp_ne_u16_e64 vcc_lo, 0, v167
	v_mov_b32_e32 v166, 0
	s_and_not1_b32 s3, s3, exec_lo
	s_delay_alu instid0(VALU_DEP_2) | instskip(NEXT) | instid1(SALU_CYCLE_1)
	s_and_b32 s14, vcc_lo, exec_lo
	s_or_b32 s3, s3, s14
	s_or_b32 exec_lo, exec_lo, s15
	s_and_saveexec_b32 s14, s3
	s_cbranch_execnz .LBB2_2252
	s_branch .LBB2_2253
.LBB2_2400:                             ;   in Loop: Header=BB2_2021 Depth=3
	s_mov_b32 s3, -1
	s_mov_b32 s24, exec_lo
                                        ; implicit-def: $sgpr14
	v_cmpx_eq_u16_e64 0x80, v166
; %bb.2401:                             ;   in Loop: Header=BB2_2021 Depth=3
	s_mov_b32 s14, 0x7f800001
	s_xor_b32 s3, exec_lo, -1
; %bb.2402:                             ;   in Loop: Header=BB2_2021 Depth=3
	s_or_b32 exec_lo, exec_lo, s24
	s_delay_alu instid0(SALU_CYCLE_1)
	s_and_b32 s3, s3, exec_lo
	s_or_saveexec_b32 s15, s15
	v_mov_b32_e32 v165, s14
	s_xor_b32 exec_lo, exec_lo, s15
	s_cbranch_execz .LBB2_2263
.LBB2_2403:                             ;   in Loop: Header=BB2_2021 Depth=3
	v_cmp_ne_u16_e64 vcc_lo, 0, v166
	v_mov_b32_e32 v165, 0
	s_and_not1_b32 s3, s3, exec_lo
	s_delay_alu instid0(VALU_DEP_2) | instskip(NEXT) | instid1(SALU_CYCLE_1)
	s_and_b32 s14, vcc_lo, exec_lo
	s_or_b32 s3, s3, s14
	s_or_b32 exec_lo, exec_lo, s15
	s_and_saveexec_b32 s14, s3
	s_cbranch_execnz .LBB2_2264
	s_branch .LBB2_2265
.LBB2_2404:                             ;   in Loop: Header=BB2_2021 Depth=3
	s_mov_b32 s3, -1
	s_mov_b32 s24, exec_lo
                                        ; implicit-def: $sgpr14
	v_cmpx_eq_u16_e32 0x80, v15
; %bb.2405:                             ;   in Loop: Header=BB2_2021 Depth=3
	s_mov_b32 s14, 0x7f800001
	s_xor_b32 s3, exec_lo, -1
; %bb.2406:                             ;   in Loop: Header=BB2_2021 Depth=3
	s_or_b32 exec_lo, exec_lo, s24
	s_delay_alu instid0(SALU_CYCLE_1)
	s_and_b32 s3, s3, exec_lo
	s_or_saveexec_b32 s15, s15
	v_mov_b32_e32 v166, s14
	s_xor_b32 exec_lo, exec_lo, s15
	s_cbranch_execz .LBB2_2267
.LBB2_2407:                             ;   in Loop: Header=BB2_2021 Depth=3
	v_cmp_ne_u16_e32 vcc_lo, 0, v15
	v_mov_b32_e32 v166, 0
	s_and_not1_b32 s3, s3, exec_lo
	s_and_b32 s14, vcc_lo, exec_lo
	s_delay_alu instid0(SALU_CYCLE_1)
	s_or_b32 s3, s3, s14
	s_or_b32 exec_lo, exec_lo, s15
	s_and_saveexec_b32 s14, s3
	s_cbranch_execnz .LBB2_2268
	s_branch .LBB2_2269
.LBB2_2408:                             ;   in Loop: Header=BB2_1542 Depth=2
	s_or_b32 exec_lo, exec_lo, s30
.LBB2_2409:                             ;   in Loop: Header=BB2_1542 Depth=2
	s_delay_alu instid0(SALU_CYCLE_1) | instskip(SKIP_2) | instid1(VALU_DEP_1)
	s_or_b32 exec_lo, exec_lo, s17
	v_dual_mov_b32 v64, 0 :: v_dual_and_b32 v9, 15, v134
	s_mov_b32 s14, exec_lo
                                        ; implicit-def: $vgpr66
                                        ; implicit-def: $vgpr8
	v_cndmask_b32_e64 v65, v135, v9, s13
	s_delay_alu instid0(VALU_DEP_1)
	v_cmpx_ne_u32_e32 0, v65
	s_cbranch_execz .LBB2_2411
; %bb.2410:                             ;   in Loop: Header=BB2_1542 Depth=2
	v_cmp_lt_i32_e32 vcc_lo, 0, v146
	v_sub_nc_u32_e32 v9, v135, v9
	s_mov_b32 s3, exec_lo
	v_cndmask_b32_e32 v8, 0, v83, vcc_lo
	s_delay_alu instid0(VALU_DEP_2) | instskip(NEXT) | instid1(VALU_DEP_2)
	v_cndmask_b32_e64 v9, 0, v9, s13
	v_sub_nc_u32_e32 v8, v8, v146
	s_delay_alu instid0(VALU_DEP_2) | instskip(NEXT) | instid1(VALU_DEP_2)
	v_add3_u32 v64, v144, v2, v9
	v_lshl_add_u32 v66, v8, 5, v145
	s_delay_alu instid0(VALU_DEP_1) | instskip(NEXT) | instid1(VALU_DEP_1)
	v_ashrrev_i32_e32 v8, 31, v66
	v_lshrrev_b32_e32 v8, 27, v8
	s_delay_alu instid0(VALU_DEP_1) | instskip(NEXT) | instid1(VALU_DEP_1)
	v_add_nc_u32_e32 v8, v66, v8
	v_ashrrev_i32_e32 v8, 5, v8
.LBB2_2411:                             ;   in Loop: Header=BB2_1542 Depth=2
	s_or_b32 exec_lo, exec_lo, s14
	s_delay_alu instid0(SALU_CYCLE_1)
	s_and_b32 s3, s3, exec_lo
.LBB2_2412:                             ;   in Loop: Header=BB2_1542 Depth=2
	s_or_b32 exec_lo, exec_lo, s16
.LBB2_2413:                             ;   in Loop: Header=BB2_1542 Depth=2
	s_and_saveexec_b32 s15, s3
	s_cbranch_execz .LBB2_2643
; %bb.2414:                             ;   in Loop: Header=BB2_1542 Depth=2
	v_ashrrev_i32_e32 v2, 31, v65
	s_mov_b32 s14, exec_lo
	s_delay_alu instid0(VALU_DEP_1) | instskip(NEXT) | instid1(VALU_DEP_1)
	v_lshrrev_b32_e32 v2, 24, v2
	v_add_nc_u32_e32 v2, v65, v2
	s_delay_alu instid0(VALU_DEP_1) | instskip(NEXT) | instid1(VALU_DEP_1)
	v_ashrrev_i32_e32 v67, 8, v2
	v_sub_nc_u32_e32 v2, v67, v8
	s_delay_alu instid0(VALU_DEP_1)
	v_cmpx_lt_i32_e32 0, v2
	s_cbranch_execz .LBB2_2611
; %bb.2415:                             ;   in Loop: Header=BB2_1542 Depth=2
	s_cbranch_execnz .LBB2_4704
; %bb.2416:                             ;   in Loop: Header=BB2_1542 Depth=2
	v_ashrrev_i32_e32 v9, 31, v66
	v_lshlrev_b32_e32 v8, 8, v8
	s_mov_b32 s16, 0
	s_delay_alu instid0(VALU_DEP_2) | instskip(NEXT) | instid1(VALU_DEP_1)
	v_lshrrev_b32_e32 v9, 27, v9
	v_add_nc_u32_e32 v13, v66, v9
	ds_load_b128 v[9:12], v0
	v_and_b32_e32 v13, 0xffffffe0, v13
	s_delay_alu instid0(VALU_DEP_1) | instskip(NEXT) | instid1(VALU_DEP_1)
	v_sub_nc_u32_e32 v13, v66, v13
	v_add3_u32 v13, v64, v13, v8
	s_delay_alu instid0(VALU_DEP_1) | instskip(SKIP_2) | instid1(VALU_DEP_2)
	v_ashrrev_i32_e32 v14, 31, v13
	s_waitcnt lgkmcnt(0)
	v_add_co_u32 v8, vcc_lo, v9, v13
	v_add_co_ci_u32_e32 v9, vcc_lo, v10, v14, vcc_lo
	v_add_co_u32 v10, vcc_lo, v11, v13
	v_add_co_ci_u32_e32 v11, vcc_lo, v12, v14, vcc_lo
	s_delay_alu instid0(VALU_DEP_3) | instskip(NEXT) | instid1(VALU_DEP_2)
	v_dual_mov_b32 v13, v9 :: v_dual_mov_b32 v12, v8
	v_dual_mov_b32 v15, v11 :: v_dual_mov_b32 v14, v10
	s_branch .LBB2_2420
.LBB2_2417:                             ;   in Loop: Header=BB2_2420 Depth=3
	s_or_b32 exec_lo, exec_lo, s13
	s_delay_alu instid0(VALU_DEP_1) | instskip(NEXT) | instid1(VALU_DEP_2)
	v_lshrrev_b32_e32 v134, 20, v134
	v_cmp_gt_i32_e32 vcc_lo, 16, v69
	v_min_i32_e32 v145, 15, v69
	v_lshrrev_b32_e32 v68, 24, v68
	s_delay_alu instid0(VALU_DEP_2) | instskip(NEXT) | instid1(VALU_DEP_2)
	v_dual_cndmask_b32 v134, 7, v134 :: v_dual_lshlrev_b32 v145, 3, v145
	v_and_b32_e32 v68, 0x80, v68
	s_delay_alu instid0(VALU_DEP_2) | instskip(NEXT) | instid1(VALU_DEP_1)
	v_or_b32_e32 v69, v69, v134
	v_cmp_ne_u32_e32 vcc_lo, 0, v69
	v_and_b32_e32 v148, 7, v134
	s_delay_alu instid0(VALU_DEP_1) | instskip(NEXT) | instid1(VALU_DEP_1)
	v_or3_b32 v68, v145, v68, v148
	v_cndmask_b32_e32 v69, 0, v68, vcc_lo
.LBB2_2418:                             ;   in Loop: Header=BB2_2420 Depth=3
	s_or_b32 exec_lo, exec_lo, s17
.LBB2_2419:                             ;   in Loop: Header=BB2_2420 Depth=3
	s_delay_alu instid0(SALU_CYCLE_1)
	s_or_b32 exec_lo, exec_lo, s3
	v_add_co_u32 v8, vcc_lo, v8, v103
	v_add_co_ci_u32_e32 v9, vcc_lo, v9, v112, vcc_lo
	v_add_co_u32 v10, vcc_lo, v10, v103
	v_sub_nc_u32_e32 v2, v2, v83
	v_add_co_ci_u32_e32 v11, vcc_lo, v11, v112, vcc_lo
	s_clause 0x7
	flat_store_b8 v[12:13], v70 glc slc dlc
	flat_store_b8 v[12:13], v135 offset:32 glc slc dlc
	flat_store_b8 v[12:13], v146 offset:64 glc slc dlc
	;; [unrolled: 1-line block ×7, first 2 shown]
	s_clause 0x7
	flat_store_b8 v[14:15], v70 glc slc dlc
	flat_store_b8 v[14:15], v135 offset:32 glc slc dlc
	flat_store_b8 v[14:15], v146 offset:64 glc slc dlc
	;; [unrolled: 1-line block ×7, first 2 shown]
	v_add_co_u32 v12, vcc_lo, v12, v103
	v_add_co_ci_u32_e32 v13, vcc_lo, v13, v112, vcc_lo
	v_cmp_gt_i32_e32 vcc_lo, 1, v2
	v_add_co_u32 v14, s13, v14, v103
	s_delay_alu instid0(VALU_DEP_1) | instskip(SKIP_1) | instid1(SALU_CYCLE_1)
	v_add_co_ci_u32_e64 v15, s13, v15, v112, s13
	s_or_b32 s16, vcc_lo, s16
	s_and_not1_b32 exec_lo, exec_lo, s16
	s_cbranch_execz .LBB2_2610
.LBB2_2420:                             ;   Parent Loop BB2_51 Depth=1
                                        ;     Parent Loop BB2_1542 Depth=2
                                        ; =>    This Inner Loop Header: Depth=3
	s_clause 0x7
	flat_load_u8 v162, v[8:9] slc dlc
	flat_load_u8 v160, v[8:9] offset:32 slc dlc
	flat_load_u8 v151, v[8:9] offset:64 slc dlc
	;; [unrolled: 1-line block ×7, first 2 shown]
	s_clause 0x7
	flat_load_u8 v70, v[10:11] slc dlc
	flat_load_u8 v135, v[10:11] offset:32 slc dlc
	flat_load_u8 v146, v[10:11] offset:64 slc dlc
	;; [unrolled: 1-line block ×7, first 2 shown]
	s_mov_b32 s3, 0
	s_mov_b32 s17, exec_lo
                                        ; implicit-def: $sgpr13
	s_waitcnt vmcnt(15) lgkmcnt(15)
	v_cmpx_lt_i16_e64 0x7f, v162
	s_xor_b32 s17, exec_lo, s17
	s_cbranch_execnz .LBB2_2546
; %bb.2421:                             ;   in Loop: Header=BB2_2420 Depth=3
	s_or_saveexec_b32 s17, s17
	v_mov_b32_e32 v161, s13
	s_xor_b32 exec_lo, exec_lo, s17
	s_cbranch_execnz .LBB2_2549
.LBB2_2422:                             ;   in Loop: Header=BB2_2420 Depth=3
	s_or_b32 exec_lo, exec_lo, s17
	s_and_saveexec_b32 s13, s3
	s_cbranch_execz .LBB2_2424
.LBB2_2423:                             ;   in Loop: Header=BB2_2420 Depth=3
	v_and_b32_e32 v161, 0xffff, v162
	s_delay_alu instid0(VALU_DEP_1) | instskip(NEXT) | instid1(VALU_DEP_1)
	v_and_b32_e32 v163, 7, v161
	v_clz_i32_u32_e32 v164, v163
	s_delay_alu instid0(VALU_DEP_1) | instskip(NEXT) | instid1(VALU_DEP_1)
	v_min_u32_e32 v164, 32, v164
	v_subrev_nc_u32_e32 v165, 28, v164
	v_sub_nc_u32_e32 v164, 29, v164
	s_delay_alu instid0(VALU_DEP_2) | instskip(SKIP_1) | instid1(VALU_DEP_2)
	v_lshlrev_b32_e32 v165, v165, v161
	v_bfe_u32 v161, v161, 3, 4
	v_and_b32_e32 v165, 7, v165
	s_delay_alu instid0(VALU_DEP_2) | instskip(SKIP_1) | instid1(VALU_DEP_1)
	v_cmp_eq_u32_e32 vcc_lo, 0, v161
	v_dual_cndmask_b32 v161, v161, v164 :: v_dual_lshlrev_b32 v162, 24, v162
	v_dual_cndmask_b32 v163, v163, v165 :: v_dual_and_b32 v162, 0x80000000, v162
	s_delay_alu instid0(VALU_DEP_2) | instskip(NEXT) | instid1(VALU_DEP_2)
	v_lshl_add_u32 v161, v161, 23, 0x3b800000
	v_lshlrev_b32_e32 v163, 20, v163
	s_delay_alu instid0(VALU_DEP_1)
	v_or3_b32 v161, v162, v161, v163
.LBB2_2424:                             ;   in Loop: Header=BB2_2420 Depth=3
	s_or_b32 exec_lo, exec_lo, s13
	s_waitcnt vmcnt(7) lgkmcnt(7)
	v_and_b32_e32 v163, 0xff, v70
	s_mov_b32 s3, 0
	s_mov_b32 s17, exec_lo
                                        ; implicit-def: $sgpr13
	s_delay_alu instid0(VALU_DEP_1)
	v_cmpx_lt_i16_e64 0x7f, v163
	s_xor_b32 s17, exec_lo, s17
	s_cbranch_execnz .LBB2_2550
; %bb.2425:                             ;   in Loop: Header=BB2_2420 Depth=3
	s_or_saveexec_b32 s17, s17
	v_mov_b32_e32 v162, s13
	s_xor_b32 exec_lo, exec_lo, s17
	s_cbranch_execnz .LBB2_2553
.LBB2_2426:                             ;   in Loop: Header=BB2_2420 Depth=3
	s_or_b32 exec_lo, exec_lo, s17
	s_and_saveexec_b32 s13, s3
	s_cbranch_execz .LBB2_2428
.LBB2_2427:                             ;   in Loop: Header=BB2_2420 Depth=3
	v_lshrrev_b16 v165, 3, v70
	s_delay_alu instid0(VALU_DEP_1) | instskip(NEXT) | instid1(VALU_DEP_1)
	v_and_b32_e32 v165, 15, v165
	v_cmp_eq_u32_e32 vcc_lo, 0, v165
	v_and_b32_e32 v162, 7, v70
	s_delay_alu instid0(VALU_DEP_1) | instskip(NEXT) | instid1(VALU_DEP_1)
	v_clz_i32_u32_e32 v163, v162
	v_min_u32_e32 v163, 32, v163
	s_delay_alu instid0(VALU_DEP_1) | instskip(SKIP_1) | instid1(VALU_DEP_1)
	v_subrev_nc_u32_e32 v164, 28, v163
	v_sub_nc_u32_e32 v163, 29, v163
	v_dual_cndmask_b32 v163, v165, v163 :: v_dual_lshlrev_b32 v164, v164, v70
	v_lshlrev_b32_e32 v70, 24, v70
	s_delay_alu instid0(VALU_DEP_2) | instskip(NEXT) | instid1(VALU_DEP_3)
	v_and_b32_e32 v164, 7, v164
	v_lshl_add_u32 v163, v163, 23, 0x3b800000
	s_delay_alu instid0(VALU_DEP_3) | instskip(NEXT) | instid1(VALU_DEP_3)
	v_and_b32_e32 v70, 0x80000000, v70
	v_cndmask_b32_e32 v162, v162, v164, vcc_lo
	s_delay_alu instid0(VALU_DEP_1) | instskip(NEXT) | instid1(VALU_DEP_1)
	v_lshlrev_b32_e32 v162, 20, v162
	v_or3_b32 v162, v70, v163, v162
.LBB2_2428:                             ;   in Loop: Header=BB2_2420 Depth=3
	s_or_b32 exec_lo, exec_lo, s13
	s_delay_alu instid0(VALU_DEP_1) | instskip(NEXT) | instid1(VALU_DEP_1)
	v_add_f32_e32 v161, v161, v162
	v_and_b32_e32 v70, 0x7f800000, v161
	s_delay_alu instid0(VALU_DEP_1)
	v_cmp_ne_u32_e32 vcc_lo, 0x7f800000, v70
	v_mov_b32_e32 v70, 0x80
	s_and_saveexec_b32 s3, vcc_lo
	s_cbranch_execz .LBB2_2436
; %bb.2429:                             ;   in Loop: Header=BB2_2420 Depth=3
	v_mov_b32_e32 v70, 0
	s_mov_b32 s17, exec_lo
	v_cmpx_ne_u32_e32 0, v161
	s_cbranch_execz .LBB2_2435
; %bb.2430:                             ;   in Loop: Header=BB2_2420 Depth=3
	v_bfe_u32 v70, v161, 23, 8
	s_delay_alu instid0(VALU_DEP_1) | instskip(SKIP_1) | instid1(VALU_DEP_2)
	v_sub_nc_u32_e32 v163, 0x78, v70
	v_cmp_gt_u32_e32 vcc_lo, 0x79, v70
	v_dual_cndmask_b32 v163, 0, v163 :: v_dual_and_b32 v162, 0x7fffff, v161
	s_delay_alu instid0(VALU_DEP_1) | instskip(SKIP_2) | instid1(VALU_DEP_4)
	v_or_b32_e32 v164, 0x800000, v162
	v_cmp_eq_u32_e32 vcc_lo, 0, v70
	v_add_nc_u32_e32 v70, 0xffffff89, v70
	v_cndmask_b32_e64 v163, v163, 0x77, vcc_lo
	s_delay_alu instid0(VALU_DEP_4) | instskip(NEXT) | instid1(VALU_DEP_3)
	v_cndmask_b32_e32 v162, v164, v162, vcc_lo
	v_cndmask_b32_e64 v70, v70, 0xffffff8a, vcc_lo
	s_delay_alu instid0(VALU_DEP_3) | instskip(NEXT) | instid1(VALU_DEP_3)
	v_lshl_add_u32 v164, 0x100000, v163, -1
	v_lshrrev_b32_e32 v165, v163, v162
	v_lshlrev_b32_e64 v167, v163, 0x80000
	s_delay_alu instid0(VALU_DEP_4) | instskip(NEXT) | instid1(VALU_DEP_4)
	v_add_nc_u32_e32 v163, v163, v70
	v_and_b32_e32 v162, v164, v162
	s_delay_alu instid0(VALU_DEP_4) | instskip(NEXT) | instid1(VALU_DEP_2)
	v_bfe_u32 v166, v165, 20, 1
	v_cmp_eq_u32_e64 s13, v162, v167
	s_delay_alu instid0(VALU_DEP_2) | instskip(NEXT) | instid1(VALU_DEP_1)
	v_add_nc_u32_e32 v164, -1, v166
	v_cndmask_b32_e64 v162, 0, v164, s13
	v_lshrrev_b32_e32 v164, 23, v165
	s_mov_b32 s13, exec_lo
	s_delay_alu instid0(VALU_DEP_2) | instskip(NEXT) | instid1(VALU_DEP_2)
	v_add_nc_u32_e32 v162, v162, v165
	v_xor_b32_e32 v164, 1, v164
	s_delay_alu instid0(VALU_DEP_2) | instskip(NEXT) | instid1(VALU_DEP_1)
	v_and_b32_e32 v70, 0xfffff, v162
	v_add_nc_u32_e32 v162, v70, v165
                                        ; implicit-def: $vgpr70
	s_delay_alu instid0(VALU_DEP_3)
	v_cmpx_ne_u32_e64 v163, v164
	s_xor_b32 s13, exec_lo, s13
; %bb.2431:                             ;   in Loop: Header=BB2_2420 Depth=3
	s_delay_alu instid0(VALU_DEP_2) | instskip(SKIP_2) | instid1(VALU_DEP_2)
	v_cmp_lt_u32_e32 vcc_lo, 0xffffff, v162
	v_sub_nc_u32_e32 v70, v163, v164
	v_cndmask_b32_e64 v163, 0, 1, vcc_lo
	v_add_co_ci_u32_e32 v70, vcc_lo, 0, v70, vcc_lo
	s_delay_alu instid0(VALU_DEP_2)
	v_lshrrev_b32_e32 v162, v163, v162
; %bb.2432:                             ;   in Loop: Header=BB2_2420 Depth=3
	s_and_not1_saveexec_b32 s13, s13
; %bb.2433:                             ;   in Loop: Header=BB2_2420 Depth=3
	s_delay_alu instid0(VALU_DEP_1)
	v_bfe_u32 v70, v162, 23, 1
; %bb.2434:                             ;   in Loop: Header=BB2_2420 Depth=3
	s_or_b32 exec_lo, exec_lo, s13
	v_lshrrev_b32_e32 v162, 20, v162
	s_delay_alu instid0(VALU_DEP_2) | instskip(SKIP_2) | instid1(VALU_DEP_2)
	v_cmp_gt_i32_e32 vcc_lo, 16, v70
	v_lshrrev_b32_e32 v161, 24, v161
	v_min_i32_e32 v163, 15, v70
	v_dual_cndmask_b32 v162, 7, v162 :: v_dual_and_b32 v161, 0x80, v161
	s_delay_alu instid0(VALU_DEP_1) | instskip(SKIP_1) | instid1(VALU_DEP_2)
	v_or_b32_e32 v70, v70, v162
	v_and_b32_e32 v164, 7, v162
	v_cmp_ne_u32_e32 vcc_lo, 0, v70
	v_lshlrev_b32_e32 v163, 3, v163
	s_delay_alu instid0(VALU_DEP_1) | instskip(NEXT) | instid1(VALU_DEP_1)
	v_or3_b32 v161, v163, v161, v164
	v_cndmask_b32_e32 v70, 0, v161, vcc_lo
.LBB2_2435:                             ;   in Loop: Header=BB2_2420 Depth=3
	s_or_b32 exec_lo, exec_lo, s17
.LBB2_2436:                             ;   in Loop: Header=BB2_2420 Depth=3
	s_delay_alu instid0(SALU_CYCLE_1) | instskip(SKIP_3) | instid1(VALU_DEP_1)
	s_or_b32 exec_lo, exec_lo, s3
	v_and_b32_e32 v162, 0xff, v160
	s_mov_b32 s3, 0
	s_mov_b32 s17, exec_lo
                                        ; implicit-def: $sgpr13
	v_cmpx_lt_i16_e64 0x7f, v162
	s_xor_b32 s17, exec_lo, s17
	s_cbranch_execnz .LBB2_2554
; %bb.2437:                             ;   in Loop: Header=BB2_2420 Depth=3
	s_or_saveexec_b32 s17, s17
	v_mov_b32_e32 v161, s13
	s_xor_b32 exec_lo, exec_lo, s17
	s_cbranch_execnz .LBB2_2557
.LBB2_2438:                             ;   in Loop: Header=BB2_2420 Depth=3
	s_or_b32 exec_lo, exec_lo, s17
	s_and_saveexec_b32 s13, s3
	s_cbranch_execz .LBB2_2440
.LBB2_2439:                             ;   in Loop: Header=BB2_2420 Depth=3
	v_lshrrev_b16 v164, 3, v160
	s_delay_alu instid0(VALU_DEP_1) | instskip(NEXT) | instid1(VALU_DEP_1)
	v_and_b32_e32 v164, 15, v164
	v_cmp_eq_u32_e32 vcc_lo, 0, v164
	v_and_b32_e32 v161, 7, v160
	s_delay_alu instid0(VALU_DEP_1) | instskip(NEXT) | instid1(VALU_DEP_1)
	v_clz_i32_u32_e32 v162, v161
	v_min_u32_e32 v162, 32, v162
	s_delay_alu instid0(VALU_DEP_1) | instskip(SKIP_1) | instid1(VALU_DEP_1)
	v_subrev_nc_u32_e32 v163, 28, v162
	v_sub_nc_u32_e32 v162, 29, v162
	v_dual_cndmask_b32 v162, v164, v162 :: v_dual_lshlrev_b32 v163, v163, v160
	v_lshlrev_b32_e32 v160, 24, v160
	s_delay_alu instid0(VALU_DEP_2) | instskip(NEXT) | instid1(VALU_DEP_3)
	v_and_b32_e32 v163, 7, v163
	v_lshl_add_u32 v162, v162, 23, 0x3b800000
	s_delay_alu instid0(VALU_DEP_2) | instskip(NEXT) | instid1(VALU_DEP_1)
	v_dual_cndmask_b32 v161, v161, v163 :: v_dual_and_b32 v160, 0x80000000, v160
	v_lshlrev_b32_e32 v161, 20, v161
	s_delay_alu instid0(VALU_DEP_1)
	v_or3_b32 v161, v160, v162, v161
.LBB2_2440:                             ;   in Loop: Header=BB2_2420 Depth=3
	s_or_b32 exec_lo, exec_lo, s13
	s_waitcnt vmcnt(6) lgkmcnt(6)
	v_and_b32_e32 v162, 0xff, v135
	s_mov_b32 s3, 0
	s_mov_b32 s17, exec_lo
                                        ; implicit-def: $sgpr13
	s_delay_alu instid0(VALU_DEP_1)
	v_cmpx_lt_i16_e64 0x7f, v162
	s_xor_b32 s17, exec_lo, s17
	s_cbranch_execnz .LBB2_2558
; %bb.2441:                             ;   in Loop: Header=BB2_2420 Depth=3
	s_or_saveexec_b32 s17, s17
	v_mov_b32_e32 v160, s13
	s_xor_b32 exec_lo, exec_lo, s17
	s_cbranch_execnz .LBB2_2561
.LBB2_2442:                             ;   in Loop: Header=BB2_2420 Depth=3
	s_or_b32 exec_lo, exec_lo, s17
	s_and_saveexec_b32 s13, s3
	s_cbranch_execz .LBB2_2444
.LBB2_2443:                             ;   in Loop: Header=BB2_2420 Depth=3
	v_and_b32_e32 v160, 7, v135
	v_lshrrev_b16 v164, 3, v135
	s_delay_alu instid0(VALU_DEP_2) | instskip(NEXT) | instid1(VALU_DEP_2)
	v_clz_i32_u32_e32 v162, v160
	v_and_b32_e32 v164, 15, v164
	s_delay_alu instid0(VALU_DEP_2) | instskip(NEXT) | instid1(VALU_DEP_2)
	v_min_u32_e32 v162, 32, v162
	v_cmp_eq_u32_e32 vcc_lo, 0, v164
	s_delay_alu instid0(VALU_DEP_2) | instskip(SKIP_1) | instid1(VALU_DEP_1)
	v_subrev_nc_u32_e32 v163, 28, v162
	v_sub_nc_u32_e32 v162, 29, v162
	v_dual_cndmask_b32 v162, v164, v162 :: v_dual_lshlrev_b32 v163, v163, v135
	v_lshlrev_b32_e32 v135, 24, v135
	s_delay_alu instid0(VALU_DEP_2) | instskip(NEXT) | instid1(VALU_DEP_3)
	v_and_b32_e32 v163, 7, v163
	v_lshl_add_u32 v162, v162, 23, 0x3b800000
	s_delay_alu instid0(VALU_DEP_3) | instskip(NEXT) | instid1(VALU_DEP_3)
	v_and_b32_e32 v135, 0x80000000, v135
	v_cndmask_b32_e32 v160, v160, v163, vcc_lo
	s_delay_alu instid0(VALU_DEP_1) | instskip(NEXT) | instid1(VALU_DEP_1)
	v_lshlrev_b32_e32 v160, 20, v160
	v_or3_b32 v160, v135, v162, v160
.LBB2_2444:                             ;   in Loop: Header=BB2_2420 Depth=3
	s_or_b32 exec_lo, exec_lo, s13
	s_delay_alu instid0(VALU_DEP_1) | instskip(NEXT) | instid1(VALU_DEP_1)
	v_add_f32_e32 v160, v161, v160
	v_and_b32_e32 v135, 0x7f800000, v160
	s_delay_alu instid0(VALU_DEP_1)
	v_cmp_ne_u32_e32 vcc_lo, 0x7f800000, v135
	v_mov_b32_e32 v135, 0x80
	s_and_saveexec_b32 s3, vcc_lo
	s_cbranch_execz .LBB2_2452
; %bb.2445:                             ;   in Loop: Header=BB2_2420 Depth=3
	v_mov_b32_e32 v135, 0
	s_mov_b32 s17, exec_lo
	v_cmpx_ne_u32_e32 0, v160
	s_cbranch_execz .LBB2_2451
; %bb.2446:                             ;   in Loop: Header=BB2_2420 Depth=3
	v_bfe_u32 v135, v160, 23, 8
	s_delay_alu instid0(VALU_DEP_1) | instskip(SKIP_1) | instid1(VALU_DEP_2)
	v_sub_nc_u32_e32 v162, 0x78, v135
	v_cmp_gt_u32_e32 vcc_lo, 0x79, v135
	v_dual_cndmask_b32 v162, 0, v162 :: v_dual_and_b32 v161, 0x7fffff, v160
	s_delay_alu instid0(VALU_DEP_1) | instskip(SKIP_2) | instid1(VALU_DEP_4)
	v_or_b32_e32 v163, 0x800000, v161
	v_cmp_eq_u32_e32 vcc_lo, 0, v135
	v_add_nc_u32_e32 v135, 0xffffff89, v135
	v_cndmask_b32_e64 v162, v162, 0x77, vcc_lo
	s_delay_alu instid0(VALU_DEP_2) | instskip(SKIP_1) | instid1(VALU_DEP_3)
	v_cndmask_b32_e64 v135, v135, 0xffffff8a, vcc_lo
	v_cndmask_b32_e32 v161, v163, v161, vcc_lo
	v_lshl_add_u32 v163, 0x100000, v162, -1
	v_lshlrev_b32_e64 v166, v162, 0x80000
	s_delay_alu instid0(VALU_DEP_3) | instskip(SKIP_1) | instid1(VALU_DEP_4)
	v_lshrrev_b32_e32 v164, v162, v161
	v_add_nc_u32_e32 v162, v162, v135
	v_and_b32_e32 v161, v163, v161
	s_delay_alu instid0(VALU_DEP_3) | instskip(NEXT) | instid1(VALU_DEP_2)
	v_bfe_u32 v165, v164, 20, 1
	v_cmp_eq_u32_e64 s13, v161, v166
	s_delay_alu instid0(VALU_DEP_2) | instskip(NEXT) | instid1(VALU_DEP_1)
	v_add_nc_u32_e32 v163, -1, v165
	v_cndmask_b32_e64 v161, 0, v163, s13
	v_lshrrev_b32_e32 v163, 23, v164
	s_mov_b32 s13, exec_lo
	s_delay_alu instid0(VALU_DEP_2) | instskip(NEXT) | instid1(VALU_DEP_2)
	v_add_nc_u32_e32 v161, v161, v164
	v_xor_b32_e32 v163, 1, v163
	s_delay_alu instid0(VALU_DEP_2) | instskip(NEXT) | instid1(VALU_DEP_1)
	v_and_b32_e32 v135, 0xfffff, v161
	v_add_nc_u32_e32 v161, v135, v164
                                        ; implicit-def: $vgpr135
	s_delay_alu instid0(VALU_DEP_3)
	v_cmpx_ne_u32_e64 v162, v163
	s_xor_b32 s13, exec_lo, s13
; %bb.2447:                             ;   in Loop: Header=BB2_2420 Depth=3
	s_delay_alu instid0(VALU_DEP_2) | instskip(SKIP_2) | instid1(VALU_DEP_2)
	v_cmp_lt_u32_e32 vcc_lo, 0xffffff, v161
	v_sub_nc_u32_e32 v135, v162, v163
	v_cndmask_b32_e64 v162, 0, 1, vcc_lo
	v_add_co_ci_u32_e32 v135, vcc_lo, 0, v135, vcc_lo
	s_delay_alu instid0(VALU_DEP_2)
	v_lshrrev_b32_e32 v161, v162, v161
; %bb.2448:                             ;   in Loop: Header=BB2_2420 Depth=3
	s_and_not1_saveexec_b32 s13, s13
; %bb.2449:                             ;   in Loop: Header=BB2_2420 Depth=3
	s_delay_alu instid0(VALU_DEP_1)
	v_bfe_u32 v135, v161, 23, 1
; %bb.2450:                             ;   in Loop: Header=BB2_2420 Depth=3
	s_or_b32 exec_lo, exec_lo, s13
	v_lshrrev_b32_e32 v161, 20, v161
	s_delay_alu instid0(VALU_DEP_2) | instskip(SKIP_2) | instid1(VALU_DEP_2)
	v_cmp_gt_i32_e32 vcc_lo, 16, v135
	v_lshrrev_b32_e32 v160, 24, v160
	v_min_i32_e32 v162, 15, v135
	v_dual_cndmask_b32 v161, 7, v161 :: v_dual_and_b32 v160, 0x80, v160
	s_delay_alu instid0(VALU_DEP_1) | instskip(SKIP_1) | instid1(VALU_DEP_2)
	v_or_b32_e32 v135, v135, v161
	v_and_b32_e32 v163, 7, v161
	v_cmp_ne_u32_e32 vcc_lo, 0, v135
	v_lshlrev_b32_e32 v162, 3, v162
	s_delay_alu instid0(VALU_DEP_1) | instskip(NEXT) | instid1(VALU_DEP_1)
	v_or3_b32 v160, v162, v160, v163
	v_cndmask_b32_e32 v135, 0, v160, vcc_lo
.LBB2_2451:                             ;   in Loop: Header=BB2_2420 Depth=3
	s_or_b32 exec_lo, exec_lo, s17
.LBB2_2452:                             ;   in Loop: Header=BB2_2420 Depth=3
	s_delay_alu instid0(SALU_CYCLE_1) | instskip(SKIP_3) | instid1(VALU_DEP_1)
	s_or_b32 exec_lo, exec_lo, s3
	v_and_b32_e32 v161, 0xff, v151
	s_mov_b32 s3, 0
	s_mov_b32 s17, exec_lo
                                        ; implicit-def: $sgpr13
	v_cmpx_lt_i16_e64 0x7f, v161
	s_xor_b32 s17, exec_lo, s17
	s_cbranch_execnz .LBB2_2562
; %bb.2453:                             ;   in Loop: Header=BB2_2420 Depth=3
	s_or_saveexec_b32 s17, s17
	v_mov_b32_e32 v160, s13
	s_xor_b32 exec_lo, exec_lo, s17
	s_cbranch_execnz .LBB2_2565
.LBB2_2454:                             ;   in Loop: Header=BB2_2420 Depth=3
	s_or_b32 exec_lo, exec_lo, s17
	s_and_saveexec_b32 s13, s3
	s_cbranch_execz .LBB2_2456
.LBB2_2455:                             ;   in Loop: Header=BB2_2420 Depth=3
	v_lshrrev_b16 v163, 3, v151
	s_delay_alu instid0(VALU_DEP_1) | instskip(NEXT) | instid1(VALU_DEP_1)
	v_and_b32_e32 v163, 15, v163
	v_cmp_eq_u32_e32 vcc_lo, 0, v163
	v_and_b32_e32 v160, 7, v151
	s_delay_alu instid0(VALU_DEP_1) | instskip(NEXT) | instid1(VALU_DEP_1)
	v_clz_i32_u32_e32 v161, v160
	v_min_u32_e32 v161, 32, v161
	s_delay_alu instid0(VALU_DEP_1) | instskip(SKIP_1) | instid1(VALU_DEP_1)
	v_subrev_nc_u32_e32 v162, 28, v161
	v_sub_nc_u32_e32 v161, 29, v161
	v_dual_cndmask_b32 v161, v163, v161 :: v_dual_lshlrev_b32 v162, v162, v151
	v_lshlrev_b32_e32 v151, 24, v151
	s_delay_alu instid0(VALU_DEP_2) | instskip(NEXT) | instid1(VALU_DEP_3)
	v_and_b32_e32 v162, 7, v162
	v_lshl_add_u32 v161, v161, 23, 0x3b800000
	s_delay_alu instid0(VALU_DEP_2) | instskip(NEXT) | instid1(VALU_DEP_1)
	v_dual_cndmask_b32 v160, v160, v162 :: v_dual_and_b32 v151, 0x80000000, v151
	v_lshlrev_b32_e32 v160, 20, v160
	s_delay_alu instid0(VALU_DEP_1)
	v_or3_b32 v160, v151, v161, v160
.LBB2_2456:                             ;   in Loop: Header=BB2_2420 Depth=3
	s_or_b32 exec_lo, exec_lo, s13
	s_waitcnt vmcnt(5) lgkmcnt(5)
	v_and_b32_e32 v161, 0xff, v146
	s_mov_b32 s3, 0
	s_mov_b32 s17, exec_lo
                                        ; implicit-def: $sgpr13
	s_delay_alu instid0(VALU_DEP_1)
	v_cmpx_lt_i16_e64 0x7f, v161
	s_xor_b32 s17, exec_lo, s17
	s_cbranch_execnz .LBB2_2566
; %bb.2457:                             ;   in Loop: Header=BB2_2420 Depth=3
	s_or_saveexec_b32 s17, s17
	v_mov_b32_e32 v151, s13
	s_xor_b32 exec_lo, exec_lo, s17
	s_cbranch_execnz .LBB2_2569
.LBB2_2458:                             ;   in Loop: Header=BB2_2420 Depth=3
	s_or_b32 exec_lo, exec_lo, s17
	s_and_saveexec_b32 s13, s3
	s_cbranch_execz .LBB2_2460
.LBB2_2459:                             ;   in Loop: Header=BB2_2420 Depth=3
	v_and_b32_e32 v151, 7, v146
	v_lshrrev_b16 v163, 3, v146
	s_delay_alu instid0(VALU_DEP_2) | instskip(NEXT) | instid1(VALU_DEP_2)
	v_clz_i32_u32_e32 v161, v151
	v_and_b32_e32 v163, 15, v163
	s_delay_alu instid0(VALU_DEP_2) | instskip(NEXT) | instid1(VALU_DEP_2)
	v_min_u32_e32 v161, 32, v161
	v_cmp_eq_u32_e32 vcc_lo, 0, v163
	s_delay_alu instid0(VALU_DEP_2) | instskip(SKIP_1) | instid1(VALU_DEP_1)
	v_subrev_nc_u32_e32 v162, 28, v161
	v_sub_nc_u32_e32 v161, 29, v161
	v_dual_cndmask_b32 v161, v163, v161 :: v_dual_lshlrev_b32 v162, v162, v146
	v_lshlrev_b32_e32 v146, 24, v146
	s_delay_alu instid0(VALU_DEP_2) | instskip(NEXT) | instid1(VALU_DEP_3)
	v_and_b32_e32 v162, 7, v162
	v_lshl_add_u32 v161, v161, 23, 0x3b800000
	s_delay_alu instid0(VALU_DEP_3) | instskip(NEXT) | instid1(VALU_DEP_3)
	v_and_b32_e32 v146, 0x80000000, v146
	v_cndmask_b32_e32 v151, v151, v162, vcc_lo
	s_delay_alu instid0(VALU_DEP_1) | instskip(NEXT) | instid1(VALU_DEP_1)
	v_lshlrev_b32_e32 v151, 20, v151
	v_or3_b32 v151, v146, v161, v151
.LBB2_2460:                             ;   in Loop: Header=BB2_2420 Depth=3
	s_or_b32 exec_lo, exec_lo, s13
	s_delay_alu instid0(VALU_DEP_1) | instskip(NEXT) | instid1(VALU_DEP_1)
	v_add_f32_e32 v151, v160, v151
	v_and_b32_e32 v146, 0x7f800000, v151
	s_delay_alu instid0(VALU_DEP_1)
	v_cmp_ne_u32_e32 vcc_lo, 0x7f800000, v146
	v_mov_b32_e32 v146, 0x80
	s_and_saveexec_b32 s3, vcc_lo
	s_cbranch_execz .LBB2_2468
; %bb.2461:                             ;   in Loop: Header=BB2_2420 Depth=3
	v_mov_b32_e32 v146, 0
	s_mov_b32 s17, exec_lo
	v_cmpx_ne_u32_e32 0, v151
	s_cbranch_execz .LBB2_2467
; %bb.2462:                             ;   in Loop: Header=BB2_2420 Depth=3
	v_bfe_u32 v146, v151, 23, 8
	s_delay_alu instid0(VALU_DEP_1) | instskip(SKIP_1) | instid1(VALU_DEP_2)
	v_sub_nc_u32_e32 v161, 0x78, v146
	v_cmp_gt_u32_e32 vcc_lo, 0x79, v146
	v_dual_cndmask_b32 v161, 0, v161 :: v_dual_and_b32 v160, 0x7fffff, v151
	s_delay_alu instid0(VALU_DEP_1) | instskip(SKIP_2) | instid1(VALU_DEP_4)
	v_or_b32_e32 v162, 0x800000, v160
	v_cmp_eq_u32_e32 vcc_lo, 0, v146
	v_add_nc_u32_e32 v146, 0xffffff89, v146
	v_cndmask_b32_e64 v161, v161, 0x77, vcc_lo
	s_delay_alu instid0(VALU_DEP_2) | instskip(SKIP_1) | instid1(VALU_DEP_3)
	v_cndmask_b32_e64 v146, v146, 0xffffff8a, vcc_lo
	v_cndmask_b32_e32 v160, v162, v160, vcc_lo
	v_lshl_add_u32 v162, 0x100000, v161, -1
	v_lshlrev_b32_e64 v165, v161, 0x80000
	s_delay_alu instid0(VALU_DEP_3) | instskip(SKIP_1) | instid1(VALU_DEP_4)
	v_lshrrev_b32_e32 v163, v161, v160
	v_add_nc_u32_e32 v161, v161, v146
	v_and_b32_e32 v160, v162, v160
	s_delay_alu instid0(VALU_DEP_3) | instskip(NEXT) | instid1(VALU_DEP_2)
	v_bfe_u32 v164, v163, 20, 1
	v_cmp_eq_u32_e64 s13, v160, v165
	s_delay_alu instid0(VALU_DEP_2) | instskip(NEXT) | instid1(VALU_DEP_1)
	v_add_nc_u32_e32 v162, -1, v164
	v_cndmask_b32_e64 v160, 0, v162, s13
	v_lshrrev_b32_e32 v162, 23, v163
	s_mov_b32 s13, exec_lo
	s_delay_alu instid0(VALU_DEP_2) | instskip(NEXT) | instid1(VALU_DEP_2)
	v_add_nc_u32_e32 v160, v160, v163
	v_xor_b32_e32 v162, 1, v162
	s_delay_alu instid0(VALU_DEP_2) | instskip(NEXT) | instid1(VALU_DEP_1)
	v_and_b32_e32 v146, 0xfffff, v160
	v_add_nc_u32_e32 v160, v146, v163
                                        ; implicit-def: $vgpr146
	s_delay_alu instid0(VALU_DEP_3)
	v_cmpx_ne_u32_e64 v161, v162
	s_xor_b32 s13, exec_lo, s13
; %bb.2463:                             ;   in Loop: Header=BB2_2420 Depth=3
	s_delay_alu instid0(VALU_DEP_2) | instskip(SKIP_2) | instid1(VALU_DEP_2)
	v_cmp_lt_u32_e32 vcc_lo, 0xffffff, v160
	v_sub_nc_u32_e32 v146, v161, v162
	v_cndmask_b32_e64 v161, 0, 1, vcc_lo
	v_add_co_ci_u32_e32 v146, vcc_lo, 0, v146, vcc_lo
	s_delay_alu instid0(VALU_DEP_2)
	v_lshrrev_b32_e32 v160, v161, v160
; %bb.2464:                             ;   in Loop: Header=BB2_2420 Depth=3
	s_and_not1_saveexec_b32 s13, s13
; %bb.2465:                             ;   in Loop: Header=BB2_2420 Depth=3
	s_delay_alu instid0(VALU_DEP_1)
	v_bfe_u32 v146, v160, 23, 1
; %bb.2466:                             ;   in Loop: Header=BB2_2420 Depth=3
	s_or_b32 exec_lo, exec_lo, s13
	v_lshrrev_b32_e32 v160, 20, v160
	s_delay_alu instid0(VALU_DEP_2) | instskip(SKIP_2) | instid1(VALU_DEP_2)
	v_cmp_gt_i32_e32 vcc_lo, 16, v146
	v_lshrrev_b32_e32 v151, 24, v151
	v_min_i32_e32 v161, 15, v146
	v_dual_cndmask_b32 v160, 7, v160 :: v_dual_and_b32 v151, 0x80, v151
	s_delay_alu instid0(VALU_DEP_1) | instskip(SKIP_1) | instid1(VALU_DEP_2)
	v_or_b32_e32 v146, v146, v160
	v_and_b32_e32 v162, 7, v160
	v_cmp_ne_u32_e32 vcc_lo, 0, v146
	v_lshlrev_b32_e32 v161, 3, v161
	s_delay_alu instid0(VALU_DEP_1) | instskip(NEXT) | instid1(VALU_DEP_1)
	v_or3_b32 v151, v161, v151, v162
	v_cndmask_b32_e32 v146, 0, v151, vcc_lo
.LBB2_2467:                             ;   in Loop: Header=BB2_2420 Depth=3
	s_or_b32 exec_lo, exec_lo, s17
.LBB2_2468:                             ;   in Loop: Header=BB2_2420 Depth=3
	s_delay_alu instid0(SALU_CYCLE_1) | instskip(SKIP_3) | instid1(VALU_DEP_1)
	s_or_b32 exec_lo, exec_lo, s3
	v_and_b32_e32 v160, 0xff, v150
	s_mov_b32 s3, 0
	s_mov_b32 s17, exec_lo
                                        ; implicit-def: $sgpr13
	v_cmpx_lt_i16_e64 0x7f, v160
	s_xor_b32 s17, exec_lo, s17
	s_cbranch_execnz .LBB2_2570
; %bb.2469:                             ;   in Loop: Header=BB2_2420 Depth=3
	s_or_saveexec_b32 s17, s17
	v_mov_b32_e32 v151, s13
	s_xor_b32 exec_lo, exec_lo, s17
	s_cbranch_execnz .LBB2_2573
.LBB2_2470:                             ;   in Loop: Header=BB2_2420 Depth=3
	s_or_b32 exec_lo, exec_lo, s17
	s_and_saveexec_b32 s13, s3
	s_cbranch_execz .LBB2_2472
.LBB2_2471:                             ;   in Loop: Header=BB2_2420 Depth=3
	v_lshrrev_b16 v162, 3, v150
	s_delay_alu instid0(VALU_DEP_1) | instskip(NEXT) | instid1(VALU_DEP_1)
	v_and_b32_e32 v162, 15, v162
	v_cmp_eq_u32_e32 vcc_lo, 0, v162
	v_and_b32_e32 v151, 7, v150
	s_delay_alu instid0(VALU_DEP_1) | instskip(NEXT) | instid1(VALU_DEP_1)
	v_clz_i32_u32_e32 v160, v151
	v_min_u32_e32 v160, 32, v160
	s_delay_alu instid0(VALU_DEP_1) | instskip(SKIP_1) | instid1(VALU_DEP_1)
	v_subrev_nc_u32_e32 v161, 28, v160
	v_sub_nc_u32_e32 v160, 29, v160
	v_dual_cndmask_b32 v160, v162, v160 :: v_dual_lshlrev_b32 v161, v161, v150
	v_lshlrev_b32_e32 v150, 24, v150
	s_delay_alu instid0(VALU_DEP_2) | instskip(NEXT) | instid1(VALU_DEP_3)
	v_and_b32_e32 v161, 7, v161
	v_lshl_add_u32 v160, v160, 23, 0x3b800000
	s_delay_alu instid0(VALU_DEP_2) | instskip(NEXT) | instid1(VALU_DEP_1)
	v_dual_cndmask_b32 v151, v151, v161 :: v_dual_and_b32 v150, 0x80000000, v150
	v_lshlrev_b32_e32 v151, 20, v151
	s_delay_alu instid0(VALU_DEP_1)
	v_or3_b32 v151, v150, v160, v151
.LBB2_2472:                             ;   in Loop: Header=BB2_2420 Depth=3
	s_or_b32 exec_lo, exec_lo, s13
	s_waitcnt vmcnt(4) lgkmcnt(4)
	v_and_b32_e32 v160, 0xff, v149
	s_mov_b32 s3, 0
	s_mov_b32 s17, exec_lo
                                        ; implicit-def: $sgpr13
	s_delay_alu instid0(VALU_DEP_1)
	v_cmpx_lt_i16_e64 0x7f, v160
	s_xor_b32 s17, exec_lo, s17
	s_cbranch_execnz .LBB2_2574
; %bb.2473:                             ;   in Loop: Header=BB2_2420 Depth=3
	s_or_saveexec_b32 s17, s17
	v_mov_b32_e32 v150, s13
	s_xor_b32 exec_lo, exec_lo, s17
	s_cbranch_execnz .LBB2_2577
.LBB2_2474:                             ;   in Loop: Header=BB2_2420 Depth=3
	s_or_b32 exec_lo, exec_lo, s17
	s_and_saveexec_b32 s13, s3
	s_cbranch_execz .LBB2_2476
.LBB2_2475:                             ;   in Loop: Header=BB2_2420 Depth=3
	v_and_b32_e32 v150, 7, v149
	v_lshrrev_b16 v162, 3, v149
	s_delay_alu instid0(VALU_DEP_2) | instskip(NEXT) | instid1(VALU_DEP_2)
	v_clz_i32_u32_e32 v160, v150
	v_and_b32_e32 v162, 15, v162
	s_delay_alu instid0(VALU_DEP_2) | instskip(NEXT) | instid1(VALU_DEP_2)
	v_min_u32_e32 v160, 32, v160
	v_cmp_eq_u32_e32 vcc_lo, 0, v162
	s_delay_alu instid0(VALU_DEP_2) | instskip(SKIP_1) | instid1(VALU_DEP_1)
	v_subrev_nc_u32_e32 v161, 28, v160
	v_sub_nc_u32_e32 v160, 29, v160
	v_dual_cndmask_b32 v160, v162, v160 :: v_dual_lshlrev_b32 v161, v161, v149
	v_lshlrev_b32_e32 v149, 24, v149
	s_delay_alu instid0(VALU_DEP_2) | instskip(NEXT) | instid1(VALU_DEP_3)
	v_and_b32_e32 v161, 7, v161
	v_lshl_add_u32 v160, v160, 23, 0x3b800000
	s_delay_alu instid0(VALU_DEP_3) | instskip(NEXT) | instid1(VALU_DEP_3)
	v_and_b32_e32 v149, 0x80000000, v149
	v_cndmask_b32_e32 v150, v150, v161, vcc_lo
	s_delay_alu instid0(VALU_DEP_1) | instskip(NEXT) | instid1(VALU_DEP_1)
	v_lshlrev_b32_e32 v150, 20, v150
	v_or3_b32 v150, v149, v160, v150
.LBB2_2476:                             ;   in Loop: Header=BB2_2420 Depth=3
	s_or_b32 exec_lo, exec_lo, s13
	s_delay_alu instid0(VALU_DEP_1) | instskip(NEXT) | instid1(VALU_DEP_1)
	v_add_f32_e32 v150, v151, v150
	v_and_b32_e32 v149, 0x7f800000, v150
	s_delay_alu instid0(VALU_DEP_1)
	v_cmp_ne_u32_e32 vcc_lo, 0x7f800000, v149
	v_mov_b32_e32 v149, 0x80
	s_and_saveexec_b32 s3, vcc_lo
	s_cbranch_execz .LBB2_2484
; %bb.2477:                             ;   in Loop: Header=BB2_2420 Depth=3
	v_mov_b32_e32 v149, 0
	s_mov_b32 s17, exec_lo
	v_cmpx_ne_u32_e32 0, v150
	s_cbranch_execz .LBB2_2483
; %bb.2478:                             ;   in Loop: Header=BB2_2420 Depth=3
	v_bfe_u32 v149, v150, 23, 8
	s_delay_alu instid0(VALU_DEP_1) | instskip(SKIP_1) | instid1(VALU_DEP_2)
	v_sub_nc_u32_e32 v160, 0x78, v149
	v_cmp_gt_u32_e32 vcc_lo, 0x79, v149
	v_dual_cndmask_b32 v160, 0, v160 :: v_dual_and_b32 v151, 0x7fffff, v150
	s_delay_alu instid0(VALU_DEP_1) | instskip(SKIP_2) | instid1(VALU_DEP_4)
	v_or_b32_e32 v161, 0x800000, v151
	v_cmp_eq_u32_e32 vcc_lo, 0, v149
	v_add_nc_u32_e32 v149, 0xffffff89, v149
	v_cndmask_b32_e64 v160, v160, 0x77, vcc_lo
	s_delay_alu instid0(VALU_DEP_2) | instskip(SKIP_1) | instid1(VALU_DEP_3)
	v_cndmask_b32_e64 v149, v149, 0xffffff8a, vcc_lo
	v_cndmask_b32_e32 v151, v161, v151, vcc_lo
	v_lshl_add_u32 v161, 0x100000, v160, -1
	v_lshlrev_b32_e64 v164, v160, 0x80000
	s_delay_alu instid0(VALU_DEP_3) | instskip(SKIP_1) | instid1(VALU_DEP_4)
	v_lshrrev_b32_e32 v162, v160, v151
	v_add_nc_u32_e32 v160, v160, v149
	v_and_b32_e32 v151, v161, v151
	s_delay_alu instid0(VALU_DEP_3) | instskip(NEXT) | instid1(VALU_DEP_2)
	v_bfe_u32 v163, v162, 20, 1
	v_cmp_eq_u32_e64 s13, v151, v164
	s_delay_alu instid0(VALU_DEP_2) | instskip(NEXT) | instid1(VALU_DEP_1)
	v_add_nc_u32_e32 v161, -1, v163
	v_cndmask_b32_e64 v151, 0, v161, s13
	v_lshrrev_b32_e32 v161, 23, v162
	s_mov_b32 s13, exec_lo
	s_delay_alu instid0(VALU_DEP_2) | instskip(NEXT) | instid1(VALU_DEP_2)
	v_add_nc_u32_e32 v151, v151, v162
	v_xor_b32_e32 v161, 1, v161
	s_delay_alu instid0(VALU_DEP_2) | instskip(NEXT) | instid1(VALU_DEP_1)
	v_and_b32_e32 v149, 0xfffff, v151
	v_add_nc_u32_e32 v151, v149, v162
                                        ; implicit-def: $vgpr149
	s_delay_alu instid0(VALU_DEP_3)
	v_cmpx_ne_u32_e64 v160, v161
	s_xor_b32 s13, exec_lo, s13
; %bb.2479:                             ;   in Loop: Header=BB2_2420 Depth=3
	s_delay_alu instid0(VALU_DEP_2) | instskip(SKIP_2) | instid1(VALU_DEP_2)
	v_cmp_lt_u32_e32 vcc_lo, 0xffffff, v151
	v_sub_nc_u32_e32 v149, v160, v161
	v_cndmask_b32_e64 v160, 0, 1, vcc_lo
	v_add_co_ci_u32_e32 v149, vcc_lo, 0, v149, vcc_lo
	s_delay_alu instid0(VALU_DEP_2)
	v_lshrrev_b32_e32 v151, v160, v151
; %bb.2480:                             ;   in Loop: Header=BB2_2420 Depth=3
	s_and_not1_saveexec_b32 s13, s13
; %bb.2481:                             ;   in Loop: Header=BB2_2420 Depth=3
	s_delay_alu instid0(VALU_DEP_1)
	v_bfe_u32 v149, v151, 23, 1
; %bb.2482:                             ;   in Loop: Header=BB2_2420 Depth=3
	s_or_b32 exec_lo, exec_lo, s13
	v_lshrrev_b32_e32 v151, 20, v151
	s_delay_alu instid0(VALU_DEP_2) | instskip(SKIP_2) | instid1(VALU_DEP_2)
	v_cmp_gt_i32_e32 vcc_lo, 16, v149
	v_lshrrev_b32_e32 v150, 24, v150
	v_min_i32_e32 v160, 15, v149
	v_dual_cndmask_b32 v151, 7, v151 :: v_dual_and_b32 v150, 0x80, v150
	s_delay_alu instid0(VALU_DEP_1) | instskip(SKIP_1) | instid1(VALU_DEP_2)
	v_or_b32_e32 v149, v149, v151
	v_and_b32_e32 v161, 7, v151
	v_cmp_ne_u32_e32 vcc_lo, 0, v149
	v_lshlrev_b32_e32 v160, 3, v160
	s_delay_alu instid0(VALU_DEP_1) | instskip(NEXT) | instid1(VALU_DEP_1)
	v_or3_b32 v150, v160, v150, v161
	v_cndmask_b32_e32 v149, 0, v150, vcc_lo
.LBB2_2483:                             ;   in Loop: Header=BB2_2420 Depth=3
	s_or_b32 exec_lo, exec_lo, s17
.LBB2_2484:                             ;   in Loop: Header=BB2_2420 Depth=3
	s_delay_alu instid0(SALU_CYCLE_1) | instskip(SKIP_3) | instid1(VALU_DEP_1)
	s_or_b32 exec_lo, exec_lo, s3
	v_and_b32_e32 v151, 0xff, v148
	s_mov_b32 s3, 0
	s_mov_b32 s17, exec_lo
                                        ; implicit-def: $sgpr13
	v_cmpx_lt_i16_e64 0x7f, v151
	s_xor_b32 s17, exec_lo, s17
	s_cbranch_execnz .LBB2_2578
; %bb.2485:                             ;   in Loop: Header=BB2_2420 Depth=3
	s_or_saveexec_b32 s17, s17
	v_mov_b32_e32 v150, s13
	s_xor_b32 exec_lo, exec_lo, s17
	s_cbranch_execnz .LBB2_2581
.LBB2_2486:                             ;   in Loop: Header=BB2_2420 Depth=3
	s_or_b32 exec_lo, exec_lo, s17
	s_and_saveexec_b32 s13, s3
	s_cbranch_execz .LBB2_2488
.LBB2_2487:                             ;   in Loop: Header=BB2_2420 Depth=3
	v_lshrrev_b16 v161, 3, v148
	s_delay_alu instid0(VALU_DEP_1) | instskip(NEXT) | instid1(VALU_DEP_1)
	v_and_b32_e32 v161, 15, v161
	v_cmp_eq_u32_e32 vcc_lo, 0, v161
	v_and_b32_e32 v150, 7, v148
	s_delay_alu instid0(VALU_DEP_1) | instskip(NEXT) | instid1(VALU_DEP_1)
	v_clz_i32_u32_e32 v151, v150
	v_min_u32_e32 v151, 32, v151
	s_delay_alu instid0(VALU_DEP_1) | instskip(SKIP_1) | instid1(VALU_DEP_1)
	v_subrev_nc_u32_e32 v160, 28, v151
	v_sub_nc_u32_e32 v151, 29, v151
	v_dual_cndmask_b32 v151, v161, v151 :: v_dual_lshlrev_b32 v160, v160, v148
	v_lshlrev_b32_e32 v148, 24, v148
	s_delay_alu instid0(VALU_DEP_2) | instskip(NEXT) | instid1(VALU_DEP_3)
	v_and_b32_e32 v160, 7, v160
	v_lshl_add_u32 v151, v151, 23, 0x3b800000
	s_delay_alu instid0(VALU_DEP_3) | instskip(NEXT) | instid1(VALU_DEP_3)
	v_and_b32_e32 v148, 0x80000000, v148
	v_cndmask_b32_e32 v150, v150, v160, vcc_lo
	s_delay_alu instid0(VALU_DEP_1) | instskip(NEXT) | instid1(VALU_DEP_1)
	v_lshlrev_b32_e32 v150, 20, v150
	v_or3_b32 v150, v148, v151, v150
.LBB2_2488:                             ;   in Loop: Header=BB2_2420 Depth=3
	s_or_b32 exec_lo, exec_lo, s13
	s_waitcnt vmcnt(3) lgkmcnt(3)
	v_and_b32_e32 v151, 0xff, v147
	s_mov_b32 s3, 0
	s_mov_b32 s17, exec_lo
                                        ; implicit-def: $sgpr13
	s_delay_alu instid0(VALU_DEP_1)
	v_cmpx_lt_i16_e64 0x7f, v151
	s_xor_b32 s17, exec_lo, s17
	s_cbranch_execnz .LBB2_2582
; %bb.2489:                             ;   in Loop: Header=BB2_2420 Depth=3
	s_or_saveexec_b32 s17, s17
	v_mov_b32_e32 v148, s13
	s_xor_b32 exec_lo, exec_lo, s17
	s_cbranch_execnz .LBB2_2585
.LBB2_2490:                             ;   in Loop: Header=BB2_2420 Depth=3
	s_or_b32 exec_lo, exec_lo, s17
	s_and_saveexec_b32 s13, s3
	s_cbranch_execz .LBB2_2492
.LBB2_2491:                             ;   in Loop: Header=BB2_2420 Depth=3
	v_and_b32_e32 v148, 7, v147
	v_lshrrev_b16 v161, 3, v147
	s_delay_alu instid0(VALU_DEP_2) | instskip(NEXT) | instid1(VALU_DEP_1)
	v_clz_i32_u32_e32 v151, v148
	v_min_u32_e32 v151, 32, v151
	s_delay_alu instid0(VALU_DEP_1) | instskip(SKIP_1) | instid1(VALU_DEP_2)
	v_subrev_nc_u32_e32 v160, 28, v151
	v_sub_nc_u32_e32 v151, 29, v151
	v_lshlrev_b32_e32 v160, v160, v147
	v_lshlrev_b32_e32 v147, 24, v147
	s_delay_alu instid0(VALU_DEP_2) | instskip(SKIP_1) | instid1(VALU_DEP_3)
	v_and_b32_e32 v160, 7, v160
	v_and_b32_e32 v161, 15, v161
	;; [unrolled: 1-line block ×3, first 2 shown]
	s_delay_alu instid0(VALU_DEP_2) | instskip(NEXT) | instid1(VALU_DEP_4)
	v_cmp_eq_u32_e32 vcc_lo, 0, v161
	v_dual_cndmask_b32 v148, v148, v160 :: v_dual_cndmask_b32 v151, v161, v151
	s_delay_alu instid0(VALU_DEP_1) | instskip(NEXT) | instid1(VALU_DEP_2)
	v_lshlrev_b32_e32 v148, 20, v148
	v_lshl_add_u32 v151, v151, 23, 0x3b800000
	s_delay_alu instid0(VALU_DEP_1)
	v_or3_b32 v148, v147, v151, v148
.LBB2_2492:                             ;   in Loop: Header=BB2_2420 Depth=3
	s_or_b32 exec_lo, exec_lo, s13
	s_delay_alu instid0(VALU_DEP_1) | instskip(NEXT) | instid1(VALU_DEP_1)
	v_add_f32_e32 v148, v150, v148
	v_and_b32_e32 v147, 0x7f800000, v148
	s_delay_alu instid0(VALU_DEP_1)
	v_cmp_ne_u32_e32 vcc_lo, 0x7f800000, v147
	v_mov_b32_e32 v147, 0x80
	s_and_saveexec_b32 s3, vcc_lo
	s_cbranch_execz .LBB2_2500
; %bb.2493:                             ;   in Loop: Header=BB2_2420 Depth=3
	v_mov_b32_e32 v147, 0
	s_mov_b32 s17, exec_lo
	v_cmpx_ne_u32_e32 0, v148
	s_cbranch_execz .LBB2_2499
; %bb.2494:                             ;   in Loop: Header=BB2_2420 Depth=3
	v_bfe_u32 v147, v148, 23, 8
	s_delay_alu instid0(VALU_DEP_1) | instskip(SKIP_1) | instid1(VALU_DEP_2)
	v_sub_nc_u32_e32 v151, 0x78, v147
	v_cmp_gt_u32_e32 vcc_lo, 0x79, v147
	v_dual_cndmask_b32 v151, 0, v151 :: v_dual_and_b32 v150, 0x7fffff, v148
	s_delay_alu instid0(VALU_DEP_1) | instskip(SKIP_2) | instid1(VALU_DEP_4)
	v_or_b32_e32 v160, 0x800000, v150
	v_cmp_eq_u32_e32 vcc_lo, 0, v147
	v_add_nc_u32_e32 v147, 0xffffff89, v147
	v_cndmask_b32_e64 v151, v151, 0x77, vcc_lo
	s_delay_alu instid0(VALU_DEP_4) | instskip(NEXT) | instid1(VALU_DEP_3)
	v_cndmask_b32_e32 v150, v160, v150, vcc_lo
	v_cndmask_b32_e64 v147, v147, 0xffffff8a, vcc_lo
	s_delay_alu instid0(VALU_DEP_3) | instskip(NEXT) | instid1(VALU_DEP_3)
	v_lshl_add_u32 v160, 0x100000, v151, -1
	v_lshrrev_b32_e32 v161, v151, v150
	v_lshlrev_b32_e64 v163, v151, 0x80000
	s_delay_alu instid0(VALU_DEP_4) | instskip(NEXT) | instid1(VALU_DEP_4)
	v_add_nc_u32_e32 v151, v151, v147
	v_and_b32_e32 v150, v160, v150
	s_delay_alu instid0(VALU_DEP_4) | instskip(NEXT) | instid1(VALU_DEP_2)
	v_bfe_u32 v162, v161, 20, 1
	v_cmp_eq_u32_e64 s13, v150, v163
	s_delay_alu instid0(VALU_DEP_2) | instskip(NEXT) | instid1(VALU_DEP_1)
	v_add_nc_u32_e32 v160, -1, v162
	v_cndmask_b32_e64 v150, 0, v160, s13
	v_lshrrev_b32_e32 v160, 23, v161
	s_mov_b32 s13, exec_lo
	s_delay_alu instid0(VALU_DEP_2) | instskip(NEXT) | instid1(VALU_DEP_2)
	v_add_nc_u32_e32 v150, v150, v161
	v_xor_b32_e32 v160, 1, v160
	s_delay_alu instid0(VALU_DEP_2) | instskip(NEXT) | instid1(VALU_DEP_1)
	v_and_b32_e32 v147, 0xfffff, v150
	v_add_nc_u32_e32 v150, v147, v161
                                        ; implicit-def: $vgpr147
	s_delay_alu instid0(VALU_DEP_3)
	v_cmpx_ne_u32_e64 v151, v160
	s_xor_b32 s13, exec_lo, s13
; %bb.2495:                             ;   in Loop: Header=BB2_2420 Depth=3
	s_delay_alu instid0(VALU_DEP_2) | instskip(SKIP_2) | instid1(VALU_DEP_2)
	v_cmp_lt_u32_e32 vcc_lo, 0xffffff, v150
	v_sub_nc_u32_e32 v147, v151, v160
	v_cndmask_b32_e64 v151, 0, 1, vcc_lo
	v_add_co_ci_u32_e32 v147, vcc_lo, 0, v147, vcc_lo
	s_delay_alu instid0(VALU_DEP_2)
	v_lshrrev_b32_e32 v150, v151, v150
; %bb.2496:                             ;   in Loop: Header=BB2_2420 Depth=3
	s_and_not1_saveexec_b32 s13, s13
; %bb.2497:                             ;   in Loop: Header=BB2_2420 Depth=3
	s_delay_alu instid0(VALU_DEP_1)
	v_bfe_u32 v147, v150, 23, 1
; %bb.2498:                             ;   in Loop: Header=BB2_2420 Depth=3
	s_or_b32 exec_lo, exec_lo, s13
	v_lshrrev_b32_e32 v150, 20, v150
	s_delay_alu instid0(VALU_DEP_2) | instskip(SKIP_2) | instid1(VALU_DEP_2)
	v_cmp_gt_i32_e32 vcc_lo, 16, v147
	v_min_i32_e32 v151, 15, v147
	v_lshrrev_b32_e32 v148, 24, v148
	v_dual_cndmask_b32 v150, 7, v150 :: v_dual_lshlrev_b32 v151, 3, v151
	s_delay_alu instid0(VALU_DEP_2) | instskip(NEXT) | instid1(VALU_DEP_2)
	v_and_b32_e32 v148, 0x80, v148
	v_or_b32_e32 v147, v147, v150
	s_delay_alu instid0(VALU_DEP_1) | instskip(SKIP_1) | instid1(VALU_DEP_1)
	v_cmp_ne_u32_e32 vcc_lo, 0, v147
	v_and_b32_e32 v160, 7, v150
	v_or3_b32 v148, v151, v148, v160
	s_delay_alu instid0(VALU_DEP_1)
	v_cndmask_b32_e32 v147, 0, v148, vcc_lo
.LBB2_2499:                             ;   in Loop: Header=BB2_2420 Depth=3
	s_or_b32 exec_lo, exec_lo, s17
.LBB2_2500:                             ;   in Loop: Header=BB2_2420 Depth=3
	s_delay_alu instid0(SALU_CYCLE_1) | instskip(SKIP_3) | instid1(VALU_DEP_1)
	s_or_b32 exec_lo, exec_lo, s3
	v_and_b32_e32 v150, 0xff, v145
	s_mov_b32 s3, 0
	s_mov_b32 s17, exec_lo
                                        ; implicit-def: $sgpr13
	v_cmpx_lt_i16_e64 0x7f, v150
	s_xor_b32 s17, exec_lo, s17
	s_cbranch_execnz .LBB2_2586
; %bb.2501:                             ;   in Loop: Header=BB2_2420 Depth=3
	s_or_saveexec_b32 s17, s17
	v_mov_b32_e32 v148, s13
	s_xor_b32 exec_lo, exec_lo, s17
	s_cbranch_execnz .LBB2_2589
.LBB2_2502:                             ;   in Loop: Header=BB2_2420 Depth=3
	s_or_b32 exec_lo, exec_lo, s17
	s_and_saveexec_b32 s13, s3
	s_cbranch_execz .LBB2_2504
.LBB2_2503:                             ;   in Loop: Header=BB2_2420 Depth=3
	v_and_b32_e32 v148, 7, v145
	v_lshrrev_b16 v160, 3, v145
	s_delay_alu instid0(VALU_DEP_2) | instskip(NEXT) | instid1(VALU_DEP_2)
	v_clz_i32_u32_e32 v150, v148
	v_and_b32_e32 v160, 15, v160
	s_delay_alu instid0(VALU_DEP_2) | instskip(NEXT) | instid1(VALU_DEP_2)
	v_min_u32_e32 v150, 32, v150
	v_cmp_eq_u32_e32 vcc_lo, 0, v160
	s_delay_alu instid0(VALU_DEP_2) | instskip(SKIP_1) | instid1(VALU_DEP_1)
	v_subrev_nc_u32_e32 v151, 28, v150
	v_sub_nc_u32_e32 v150, 29, v150
	v_dual_cndmask_b32 v150, v160, v150 :: v_dual_lshlrev_b32 v151, v151, v145
	s_delay_alu instid0(VALU_DEP_1) | instskip(SKIP_1) | instid1(VALU_DEP_3)
	v_and_b32_e32 v151, 7, v151
	v_lshlrev_b32_e32 v145, 24, v145
	v_lshl_add_u32 v150, v150, 23, 0x3b800000
	s_delay_alu instid0(VALU_DEP_2) | instskip(NEXT) | instid1(VALU_DEP_1)
	v_dual_cndmask_b32 v148, v148, v151 :: v_dual_and_b32 v145, 0x80000000, v145
	v_lshlrev_b32_e32 v148, 20, v148
	s_delay_alu instid0(VALU_DEP_1)
	v_or3_b32 v148, v145, v150, v148
.LBB2_2504:                             ;   in Loop: Header=BB2_2420 Depth=3
	s_or_b32 exec_lo, exec_lo, s13
	s_waitcnt vmcnt(2) lgkmcnt(2)
	v_and_b32_e32 v150, 0xff, v144
	s_mov_b32 s3, 0
	s_mov_b32 s17, exec_lo
                                        ; implicit-def: $sgpr13
	s_delay_alu instid0(VALU_DEP_1)
	v_cmpx_lt_i16_e64 0x7f, v150
	s_xor_b32 s17, exec_lo, s17
	s_cbranch_execnz .LBB2_2590
; %bb.2505:                             ;   in Loop: Header=BB2_2420 Depth=3
	s_or_saveexec_b32 s17, s17
	v_mov_b32_e32 v145, s13
	s_xor_b32 exec_lo, exec_lo, s17
	s_cbranch_execnz .LBB2_2593
.LBB2_2506:                             ;   in Loop: Header=BB2_2420 Depth=3
	s_or_b32 exec_lo, exec_lo, s17
	s_and_saveexec_b32 s13, s3
	s_cbranch_execz .LBB2_2508
.LBB2_2507:                             ;   in Loop: Header=BB2_2420 Depth=3
	v_lshrrev_b16 v160, 3, v144
	s_delay_alu instid0(VALU_DEP_1) | instskip(NEXT) | instid1(VALU_DEP_1)
	v_and_b32_e32 v160, 15, v160
	v_cmp_eq_u32_e32 vcc_lo, 0, v160
	v_and_b32_e32 v145, 7, v144
	s_delay_alu instid0(VALU_DEP_1) | instskip(NEXT) | instid1(VALU_DEP_1)
	v_clz_i32_u32_e32 v150, v145
	v_min_u32_e32 v150, 32, v150
	s_delay_alu instid0(VALU_DEP_1) | instskip(SKIP_1) | instid1(VALU_DEP_1)
	v_subrev_nc_u32_e32 v151, 28, v150
	v_sub_nc_u32_e32 v150, 29, v150
	v_dual_cndmask_b32 v150, v160, v150 :: v_dual_lshlrev_b32 v151, v151, v144
	v_lshlrev_b32_e32 v144, 24, v144
	s_delay_alu instid0(VALU_DEP_2) | instskip(NEXT) | instid1(VALU_DEP_3)
	v_and_b32_e32 v151, 7, v151
	v_lshl_add_u32 v150, v150, 23, 0x3b800000
	s_delay_alu instid0(VALU_DEP_2) | instskip(NEXT) | instid1(VALU_DEP_1)
	v_dual_cndmask_b32 v145, v145, v151 :: v_dual_and_b32 v144, 0x80000000, v144
	v_lshlrev_b32_e32 v145, 20, v145
	s_delay_alu instid0(VALU_DEP_1)
	v_or3_b32 v145, v144, v150, v145
.LBB2_2508:                             ;   in Loop: Header=BB2_2420 Depth=3
	s_or_b32 exec_lo, exec_lo, s13
	s_delay_alu instid0(VALU_DEP_1) | instskip(NEXT) | instid1(VALU_DEP_1)
	v_add_f32_e32 v145, v148, v145
	v_and_b32_e32 v144, 0x7f800000, v145
	s_delay_alu instid0(VALU_DEP_1)
	v_cmp_ne_u32_e32 vcc_lo, 0x7f800000, v144
	v_mov_b32_e32 v144, 0x80
	s_and_saveexec_b32 s3, vcc_lo
	s_cbranch_execz .LBB2_2516
; %bb.2509:                             ;   in Loop: Header=BB2_2420 Depth=3
	v_mov_b32_e32 v144, 0
	s_mov_b32 s17, exec_lo
	v_cmpx_ne_u32_e32 0, v145
	s_cbranch_execz .LBB2_2515
; %bb.2510:                             ;   in Loop: Header=BB2_2420 Depth=3
	v_bfe_u32 v144, v145, 23, 8
	v_and_b32_e32 v148, 0x7fffff, v145
	s_delay_alu instid0(VALU_DEP_2) | instskip(SKIP_1) | instid1(VALU_DEP_3)
	v_sub_nc_u32_e32 v150, 0x78, v144
	v_cmp_gt_u32_e32 vcc_lo, 0x79, v144
	v_or_b32_e32 v151, 0x800000, v148
	s_delay_alu instid0(VALU_DEP_3) | instskip(SKIP_2) | instid1(VALU_DEP_3)
	v_cndmask_b32_e32 v150, 0, v150, vcc_lo
	v_cmp_eq_u32_e32 vcc_lo, 0, v144
	v_add_nc_u32_e32 v144, 0xffffff89, v144
	v_cndmask_b32_e64 v150, v150, 0x77, vcc_lo
	v_cndmask_b32_e32 v148, v151, v148, vcc_lo
	s_delay_alu instid0(VALU_DEP_3) | instskip(NEXT) | instid1(VALU_DEP_3)
	v_cndmask_b32_e64 v144, v144, 0xffffff8a, vcc_lo
	v_lshl_add_u32 v151, 0x100000, v150, -1
	s_delay_alu instid0(VALU_DEP_3) | instskip(SKIP_1) | instid1(VALU_DEP_4)
	v_lshrrev_b32_e32 v160, v150, v148
	v_lshlrev_b32_e64 v162, v150, 0x80000
	v_add_nc_u32_e32 v150, v150, v144
	s_delay_alu instid0(VALU_DEP_4) | instskip(NEXT) | instid1(VALU_DEP_4)
	v_and_b32_e32 v148, v151, v148
	v_bfe_u32 v161, v160, 20, 1
	s_delay_alu instid0(VALU_DEP_2) | instskip(NEXT) | instid1(VALU_DEP_2)
	v_cmp_eq_u32_e64 s13, v148, v162
	v_add_nc_u32_e32 v151, -1, v161
	s_delay_alu instid0(VALU_DEP_1) | instskip(SKIP_2) | instid1(VALU_DEP_2)
	v_cndmask_b32_e64 v148, 0, v151, s13
	v_lshrrev_b32_e32 v151, 23, v160
	s_mov_b32 s13, exec_lo
	v_add_nc_u32_e32 v148, v148, v160
	s_delay_alu instid0(VALU_DEP_2) | instskip(NEXT) | instid1(VALU_DEP_2)
	v_xor_b32_e32 v151, 1, v151
	v_and_b32_e32 v144, 0xfffff, v148
	s_delay_alu instid0(VALU_DEP_1) | instskip(NEXT) | instid1(VALU_DEP_3)
	v_add_nc_u32_e32 v148, v144, v160
                                        ; implicit-def: $vgpr144
	v_cmpx_ne_u32_e64 v150, v151
	s_xor_b32 s13, exec_lo, s13
; %bb.2511:                             ;   in Loop: Header=BB2_2420 Depth=3
	s_delay_alu instid0(VALU_DEP_2) | instskip(SKIP_2) | instid1(VALU_DEP_2)
	v_cmp_lt_u32_e32 vcc_lo, 0xffffff, v148
	v_sub_nc_u32_e32 v144, v150, v151
	v_cndmask_b32_e64 v150, 0, 1, vcc_lo
	v_add_co_ci_u32_e32 v144, vcc_lo, 0, v144, vcc_lo
	s_delay_alu instid0(VALU_DEP_2)
	v_lshrrev_b32_e32 v148, v150, v148
; %bb.2512:                             ;   in Loop: Header=BB2_2420 Depth=3
	s_and_not1_saveexec_b32 s13, s13
; %bb.2513:                             ;   in Loop: Header=BB2_2420 Depth=3
	s_delay_alu instid0(VALU_DEP_1)
	v_bfe_u32 v144, v148, 23, 1
; %bb.2514:                             ;   in Loop: Header=BB2_2420 Depth=3
	s_or_b32 exec_lo, exec_lo, s13
	v_lshrrev_b32_e32 v148, 20, v148
	s_delay_alu instid0(VALU_DEP_2) | instskip(SKIP_2) | instid1(VALU_DEP_2)
	v_cmp_gt_i32_e32 vcc_lo, 16, v144
	v_lshrrev_b32_e32 v145, 24, v145
	v_min_i32_e32 v150, 15, v144
	v_dual_cndmask_b32 v148, 7, v148 :: v_dual_and_b32 v145, 0x80, v145
	s_delay_alu instid0(VALU_DEP_2) | instskip(NEXT) | instid1(VALU_DEP_2)
	v_lshlrev_b32_e32 v150, 3, v150
	v_or_b32_e32 v144, v144, v148
	s_delay_alu instid0(VALU_DEP_1) | instskip(SKIP_1) | instid1(VALU_DEP_1)
	v_cmp_ne_u32_e32 vcc_lo, 0, v144
	v_and_b32_e32 v151, 7, v148
	v_or3_b32 v145, v150, v145, v151
	s_delay_alu instid0(VALU_DEP_1)
	v_cndmask_b32_e32 v144, 0, v145, vcc_lo
.LBB2_2515:                             ;   in Loop: Header=BB2_2420 Depth=3
	s_or_b32 exec_lo, exec_lo, s17
.LBB2_2516:                             ;   in Loop: Header=BB2_2420 Depth=3
	s_delay_alu instid0(SALU_CYCLE_1) | instskip(SKIP_3) | instid1(VALU_DEP_1)
	s_or_b32 exec_lo, exec_lo, s3
	v_and_b32_e32 v148, 0xff, v134
	s_mov_b32 s3, 0
	s_mov_b32 s17, exec_lo
                                        ; implicit-def: $sgpr13
	v_cmpx_lt_i16_e64 0x7f, v148
	s_xor_b32 s17, exec_lo, s17
	s_cbranch_execnz .LBB2_2594
; %bb.2517:                             ;   in Loop: Header=BB2_2420 Depth=3
	s_or_saveexec_b32 s17, s17
	v_mov_b32_e32 v145, s13
	s_xor_b32 exec_lo, exec_lo, s17
	s_cbranch_execnz .LBB2_2597
.LBB2_2518:                             ;   in Loop: Header=BB2_2420 Depth=3
	s_or_b32 exec_lo, exec_lo, s17
	s_and_saveexec_b32 s13, s3
	s_cbranch_execz .LBB2_2520
.LBB2_2519:                             ;   in Loop: Header=BB2_2420 Depth=3
	v_lshrrev_b16 v151, 3, v134
	s_delay_alu instid0(VALU_DEP_1) | instskip(NEXT) | instid1(VALU_DEP_1)
	v_and_b32_e32 v151, 15, v151
	v_cmp_eq_u32_e32 vcc_lo, 0, v151
	v_and_b32_e32 v145, 7, v134
	s_delay_alu instid0(VALU_DEP_1) | instskip(NEXT) | instid1(VALU_DEP_1)
	v_clz_i32_u32_e32 v148, v145
	v_min_u32_e32 v148, 32, v148
	s_delay_alu instid0(VALU_DEP_1) | instskip(SKIP_1) | instid1(VALU_DEP_2)
	v_subrev_nc_u32_e32 v150, 28, v148
	v_sub_nc_u32_e32 v148, 29, v148
	v_lshlrev_b32_e32 v150, v150, v134
	s_delay_alu instid0(VALU_DEP_2) | instskip(SKIP_1) | instid1(VALU_DEP_3)
	v_cndmask_b32_e32 v148, v151, v148, vcc_lo
	v_lshlrev_b32_e32 v134, 24, v134
	v_and_b32_e32 v150, 7, v150
	s_delay_alu instid0(VALU_DEP_3) | instskip(NEXT) | instid1(VALU_DEP_3)
	v_lshl_add_u32 v148, v148, 23, 0x3b800000
	v_and_b32_e32 v134, 0x80000000, v134
	s_delay_alu instid0(VALU_DEP_3) | instskip(NEXT) | instid1(VALU_DEP_1)
	v_cndmask_b32_e32 v145, v145, v150, vcc_lo
	v_lshlrev_b32_e32 v145, 20, v145
	s_delay_alu instid0(VALU_DEP_1)
	v_or3_b32 v145, v134, v148, v145
.LBB2_2520:                             ;   in Loop: Header=BB2_2420 Depth=3
	s_or_b32 exec_lo, exec_lo, s13
	s_waitcnt vmcnt(1) lgkmcnt(1)
	v_and_b32_e32 v148, 0xff, v71
	s_mov_b32 s3, 0
	s_mov_b32 s17, exec_lo
                                        ; implicit-def: $sgpr13
	s_delay_alu instid0(VALU_DEP_1)
	v_cmpx_lt_i16_e64 0x7f, v148
	s_xor_b32 s17, exec_lo, s17
	s_cbranch_execnz .LBB2_2598
; %bb.2521:                             ;   in Loop: Header=BB2_2420 Depth=3
	s_or_saveexec_b32 s17, s17
	v_mov_b32_e32 v134, s13
	s_xor_b32 exec_lo, exec_lo, s17
	s_cbranch_execnz .LBB2_2601
.LBB2_2522:                             ;   in Loop: Header=BB2_2420 Depth=3
	s_or_b32 exec_lo, exec_lo, s17
	s_and_saveexec_b32 s13, s3
	s_cbranch_execz .LBB2_2524
.LBB2_2523:                             ;   in Loop: Header=BB2_2420 Depth=3
	v_and_b32_e32 v134, 7, v71
	v_lshrrev_b16 v151, 3, v71
	s_delay_alu instid0(VALU_DEP_2) | instskip(NEXT) | instid1(VALU_DEP_1)
	v_clz_i32_u32_e32 v148, v134
	v_min_u32_e32 v148, 32, v148
	s_delay_alu instid0(VALU_DEP_1) | instskip(SKIP_1) | instid1(VALU_DEP_2)
	v_subrev_nc_u32_e32 v150, 28, v148
	v_sub_nc_u32_e32 v148, 29, v148
	v_lshlrev_b32_e32 v150, v150, v71
	s_delay_alu instid0(VALU_DEP_1) | instskip(SKIP_1) | instid1(VALU_DEP_1)
	v_and_b32_e32 v150, 7, v150
	v_and_b32_e32 v151, 15, v151
	v_cmp_eq_u32_e32 vcc_lo, 0, v151
	s_delay_alu instid0(VALU_DEP_3) | instskip(SKIP_1) | instid1(VALU_DEP_2)
	v_dual_cndmask_b32 v134, v134, v150 :: v_dual_lshlrev_b32 v71, 24, v71
	v_cndmask_b32_e32 v148, v151, v148, vcc_lo
	v_lshlrev_b32_e32 v134, 20, v134
	s_delay_alu instid0(VALU_DEP_3) | instskip(NEXT) | instid1(VALU_DEP_3)
	v_and_b32_e32 v71, 0x80000000, v71
	v_lshl_add_u32 v148, v148, 23, 0x3b800000
	s_delay_alu instid0(VALU_DEP_1)
	v_or3_b32 v134, v71, v148, v134
.LBB2_2524:                             ;   in Loop: Header=BB2_2420 Depth=3
	s_or_b32 exec_lo, exec_lo, s13
	s_delay_alu instid0(VALU_DEP_1) | instskip(NEXT) | instid1(VALU_DEP_1)
	v_add_f32_e32 v134, v145, v134
	v_and_b32_e32 v71, 0x7f800000, v134
	s_delay_alu instid0(VALU_DEP_1)
	v_cmp_ne_u32_e32 vcc_lo, 0x7f800000, v71
	v_mov_b32_e32 v71, 0x80
	s_and_saveexec_b32 s3, vcc_lo
	s_cbranch_execz .LBB2_2532
; %bb.2525:                             ;   in Loop: Header=BB2_2420 Depth=3
	v_mov_b32_e32 v71, 0
	s_mov_b32 s17, exec_lo
	v_cmpx_ne_u32_e32 0, v134
	s_cbranch_execz .LBB2_2531
; %bb.2526:                             ;   in Loop: Header=BB2_2420 Depth=3
	v_bfe_u32 v71, v134, 23, 8
	s_delay_alu instid0(VALU_DEP_1) | instskip(SKIP_1) | instid1(VALU_DEP_2)
	v_sub_nc_u32_e32 v148, 0x78, v71
	v_cmp_gt_u32_e32 vcc_lo, 0x79, v71
	v_dual_cndmask_b32 v148, 0, v148 :: v_dual_and_b32 v145, 0x7fffff, v134
	s_delay_alu instid0(VALU_DEP_1) | instskip(SKIP_2) | instid1(VALU_DEP_4)
	v_or_b32_e32 v150, 0x800000, v145
	v_cmp_eq_u32_e32 vcc_lo, 0, v71
	v_add_nc_u32_e32 v71, 0xffffff89, v71
	v_cndmask_b32_e64 v148, v148, 0x77, vcc_lo
	s_delay_alu instid0(VALU_DEP_4) | instskip(NEXT) | instid1(VALU_DEP_3)
	v_cndmask_b32_e32 v145, v150, v145, vcc_lo
	v_cndmask_b32_e64 v71, v71, 0xffffff8a, vcc_lo
	s_delay_alu instid0(VALU_DEP_3) | instskip(NEXT) | instid1(VALU_DEP_3)
	v_lshl_add_u32 v150, 0x100000, v148, -1
	v_lshrrev_b32_e32 v151, v148, v145
	v_lshlrev_b32_e64 v161, v148, 0x80000
	s_delay_alu instid0(VALU_DEP_4) | instskip(NEXT) | instid1(VALU_DEP_4)
	v_add_nc_u32_e32 v148, v148, v71
	v_and_b32_e32 v145, v150, v145
	s_delay_alu instid0(VALU_DEP_4) | instskip(NEXT) | instid1(VALU_DEP_2)
	v_bfe_u32 v160, v151, 20, 1
	v_cmp_eq_u32_e64 s13, v145, v161
	s_delay_alu instid0(VALU_DEP_2) | instskip(NEXT) | instid1(VALU_DEP_1)
	v_add_nc_u32_e32 v150, -1, v160
	v_cndmask_b32_e64 v145, 0, v150, s13
	v_lshrrev_b32_e32 v150, 23, v151
	s_mov_b32 s13, exec_lo
	s_delay_alu instid0(VALU_DEP_2) | instskip(NEXT) | instid1(VALU_DEP_2)
	v_add_nc_u32_e32 v145, v145, v151
	v_xor_b32_e32 v150, 1, v150
	s_delay_alu instid0(VALU_DEP_2) | instskip(NEXT) | instid1(VALU_DEP_1)
	v_and_b32_e32 v71, 0xfffff, v145
	v_add_nc_u32_e32 v145, v71, v151
                                        ; implicit-def: $vgpr71
	s_delay_alu instid0(VALU_DEP_3)
	v_cmpx_ne_u32_e64 v148, v150
	s_xor_b32 s13, exec_lo, s13
; %bb.2527:                             ;   in Loop: Header=BB2_2420 Depth=3
	s_delay_alu instid0(VALU_DEP_2) | instskip(SKIP_2) | instid1(VALU_DEP_2)
	v_cmp_lt_u32_e32 vcc_lo, 0xffffff, v145
	v_sub_nc_u32_e32 v71, v148, v150
	v_cndmask_b32_e64 v148, 0, 1, vcc_lo
	v_add_co_ci_u32_e32 v71, vcc_lo, 0, v71, vcc_lo
	s_delay_alu instid0(VALU_DEP_2)
	v_lshrrev_b32_e32 v145, v148, v145
; %bb.2528:                             ;   in Loop: Header=BB2_2420 Depth=3
	s_and_not1_saveexec_b32 s13, s13
; %bb.2529:                             ;   in Loop: Header=BB2_2420 Depth=3
	s_delay_alu instid0(VALU_DEP_1)
	v_bfe_u32 v71, v145, 23, 1
; %bb.2530:                             ;   in Loop: Header=BB2_2420 Depth=3
	s_or_b32 exec_lo, exec_lo, s13
	v_lshrrev_b32_e32 v145, 20, v145
	s_delay_alu instid0(VALU_DEP_2) | instskip(SKIP_2) | instid1(VALU_DEP_2)
	v_cmp_gt_i32_e32 vcc_lo, 16, v71
	v_lshrrev_b32_e32 v134, 24, v134
	v_min_i32_e32 v148, 15, v71
	v_dual_cndmask_b32 v145, 7, v145 :: v_dual_and_b32 v134, 0x80, v134
	s_delay_alu instid0(VALU_DEP_2) | instskip(NEXT) | instid1(VALU_DEP_2)
	v_lshlrev_b32_e32 v148, 3, v148
	v_or_b32_e32 v71, v71, v145
	s_delay_alu instid0(VALU_DEP_1) | instskip(SKIP_1) | instid1(VALU_DEP_1)
	v_cmp_ne_u32_e32 vcc_lo, 0, v71
	v_and_b32_e32 v150, 7, v145
	v_or3_b32 v134, v148, v134, v150
	s_delay_alu instid0(VALU_DEP_1)
	v_cndmask_b32_e32 v71, 0, v134, vcc_lo
.LBB2_2531:                             ;   in Loop: Header=BB2_2420 Depth=3
	s_or_b32 exec_lo, exec_lo, s17
.LBB2_2532:                             ;   in Loop: Header=BB2_2420 Depth=3
	s_delay_alu instid0(SALU_CYCLE_1) | instskip(SKIP_3) | instid1(VALU_DEP_1)
	s_or_b32 exec_lo, exec_lo, s3
	v_and_b32_e32 v145, 0xff, v69
	s_mov_b32 s3, 0
	s_mov_b32 s17, exec_lo
                                        ; implicit-def: $sgpr13
	v_cmpx_lt_i16_e64 0x7f, v145
	s_xor_b32 s17, exec_lo, s17
	s_cbranch_execnz .LBB2_2602
; %bb.2533:                             ;   in Loop: Header=BB2_2420 Depth=3
	s_or_saveexec_b32 s17, s17
	v_mov_b32_e32 v134, s13
	s_xor_b32 exec_lo, exec_lo, s17
	s_cbranch_execnz .LBB2_2605
.LBB2_2534:                             ;   in Loop: Header=BB2_2420 Depth=3
	s_or_b32 exec_lo, exec_lo, s17
	s_and_saveexec_b32 s13, s3
	s_cbranch_execz .LBB2_2536
.LBB2_2535:                             ;   in Loop: Header=BB2_2420 Depth=3
	v_and_b32_e32 v134, 7, v69
	v_lshrrev_b16 v150, 3, v69
	s_delay_alu instid0(VALU_DEP_2) | instskip(NEXT) | instid1(VALU_DEP_2)
	v_clz_i32_u32_e32 v145, v134
	v_and_b32_e32 v150, 15, v150
	s_delay_alu instid0(VALU_DEP_2) | instskip(NEXT) | instid1(VALU_DEP_2)
	v_min_u32_e32 v145, 32, v145
	v_cmp_eq_u32_e32 vcc_lo, 0, v150
	s_delay_alu instid0(VALU_DEP_2) | instskip(SKIP_1) | instid1(VALU_DEP_2)
	v_subrev_nc_u32_e32 v148, 28, v145
	v_sub_nc_u32_e32 v145, 29, v145
	v_lshlrev_b32_e32 v148, v148, v69
	s_delay_alu instid0(VALU_DEP_1) | instskip(SKIP_1) | instid1(VALU_DEP_2)
	v_dual_cndmask_b32 v145, v150, v145 :: v_dual_and_b32 v148, 7, v148
	v_lshlrev_b32_e32 v69, 24, v69
	v_lshl_add_u32 v145, v145, 23, 0x3b800000
	s_delay_alu instid0(VALU_DEP_2) | instskip(NEXT) | instid1(VALU_DEP_1)
	v_dual_cndmask_b32 v134, v134, v148 :: v_dual_and_b32 v69, 0x80000000, v69
	v_lshlrev_b32_e32 v134, 20, v134
	s_delay_alu instid0(VALU_DEP_1)
	v_or3_b32 v134, v69, v145, v134
.LBB2_2536:                             ;   in Loop: Header=BB2_2420 Depth=3
	s_or_b32 exec_lo, exec_lo, s13
	s_waitcnt vmcnt(0) lgkmcnt(0)
	v_and_b32_e32 v145, 0xff, v68
	s_mov_b32 s3, 0
	s_mov_b32 s17, exec_lo
                                        ; implicit-def: $sgpr13
	s_delay_alu instid0(VALU_DEP_1)
	v_cmpx_lt_i16_e64 0x7f, v145
	s_xor_b32 s17, exec_lo, s17
	s_cbranch_execnz .LBB2_2606
; %bb.2537:                             ;   in Loop: Header=BB2_2420 Depth=3
	s_or_saveexec_b32 s17, s17
	v_mov_b32_e32 v69, s13
	s_xor_b32 exec_lo, exec_lo, s17
	s_cbranch_execnz .LBB2_2609
.LBB2_2538:                             ;   in Loop: Header=BB2_2420 Depth=3
	s_or_b32 exec_lo, exec_lo, s17
	s_and_saveexec_b32 s13, s3
	s_cbranch_execz .LBB2_2540
.LBB2_2539:                             ;   in Loop: Header=BB2_2420 Depth=3
	v_and_b32_e32 v69, 7, v68
	v_lshrrev_b16 v150, 3, v68
	s_delay_alu instid0(VALU_DEP_2) | instskip(NEXT) | instid1(VALU_DEP_2)
	v_clz_i32_u32_e32 v145, v69
	v_and_b32_e32 v150, 15, v150
	s_delay_alu instid0(VALU_DEP_2) | instskip(NEXT) | instid1(VALU_DEP_2)
	v_min_u32_e32 v145, 32, v145
	v_cmp_eq_u32_e32 vcc_lo, 0, v150
	s_delay_alu instid0(VALU_DEP_2) | instskip(SKIP_1) | instid1(VALU_DEP_1)
	v_subrev_nc_u32_e32 v148, 28, v145
	v_sub_nc_u32_e32 v145, 29, v145
	v_dual_cndmask_b32 v145, v150, v145 :: v_dual_lshlrev_b32 v148, v148, v68
	v_lshlrev_b32_e32 v68, 24, v68
	s_delay_alu instid0(VALU_DEP_2) | instskip(NEXT) | instid1(VALU_DEP_3)
	v_and_b32_e32 v148, 7, v148
	v_lshl_add_u32 v145, v145, 23, 0x3b800000
	s_delay_alu instid0(VALU_DEP_3) | instskip(NEXT) | instid1(VALU_DEP_3)
	v_and_b32_e32 v68, 0x80000000, v68
	v_cndmask_b32_e32 v69, v69, v148, vcc_lo
	s_delay_alu instid0(VALU_DEP_1) | instskip(NEXT) | instid1(VALU_DEP_1)
	v_lshlrev_b32_e32 v69, 20, v69
	v_or3_b32 v69, v68, v145, v69
.LBB2_2540:                             ;   in Loop: Header=BB2_2420 Depth=3
	s_or_b32 exec_lo, exec_lo, s13
	s_delay_alu instid0(VALU_DEP_1) | instskip(NEXT) | instid1(VALU_DEP_1)
	v_add_f32_e32 v68, v134, v69
	v_and_b32_e32 v69, 0x7f800000, v68
	s_delay_alu instid0(VALU_DEP_1)
	v_cmp_ne_u32_e32 vcc_lo, 0x7f800000, v69
	v_mov_b32_e32 v69, 0x80
	s_and_saveexec_b32 s3, vcc_lo
	s_cbranch_execz .LBB2_2419
; %bb.2541:                             ;   in Loop: Header=BB2_2420 Depth=3
	v_mov_b32_e32 v69, 0
	s_mov_b32 s17, exec_lo
	v_cmpx_ne_u32_e32 0, v68
	s_cbranch_execz .LBB2_2418
; %bb.2542:                             ;   in Loop: Header=BB2_2420 Depth=3
	v_bfe_u32 v69, v68, 23, 8
	s_delay_alu instid0(VALU_DEP_1) | instskip(SKIP_1) | instid1(VALU_DEP_2)
	v_sub_nc_u32_e32 v145, 0x78, v69
	v_cmp_gt_u32_e32 vcc_lo, 0x79, v69
	v_dual_cndmask_b32 v145, 0, v145 :: v_dual_and_b32 v134, 0x7fffff, v68
	s_delay_alu instid0(VALU_DEP_1) | instskip(SKIP_2) | instid1(VALU_DEP_4)
	v_or_b32_e32 v148, 0x800000, v134
	v_cmp_eq_u32_e32 vcc_lo, 0, v69
	v_add_nc_u32_e32 v69, 0xffffff89, v69
	v_cndmask_b32_e64 v145, v145, 0x77, vcc_lo
	s_delay_alu instid0(VALU_DEP_4) | instskip(NEXT) | instid1(VALU_DEP_3)
	v_cndmask_b32_e32 v134, v148, v134, vcc_lo
	v_cndmask_b32_e64 v69, v69, 0xffffff8a, vcc_lo
	s_delay_alu instid0(VALU_DEP_3) | instskip(NEXT) | instid1(VALU_DEP_3)
	v_lshl_add_u32 v148, 0x100000, v145, -1
	v_lshrrev_b32_e32 v150, v145, v134
	v_lshlrev_b32_e64 v160, v145, 0x80000
	s_delay_alu instid0(VALU_DEP_4) | instskip(NEXT) | instid1(VALU_DEP_4)
	v_add_nc_u32_e32 v145, v145, v69
	v_and_b32_e32 v134, v148, v134
	s_delay_alu instid0(VALU_DEP_4) | instskip(NEXT) | instid1(VALU_DEP_2)
	v_bfe_u32 v151, v150, 20, 1
	v_cmp_eq_u32_e64 s13, v134, v160
	s_delay_alu instid0(VALU_DEP_2) | instskip(NEXT) | instid1(VALU_DEP_1)
	v_add_nc_u32_e32 v148, -1, v151
	v_cndmask_b32_e64 v134, 0, v148, s13
	v_lshrrev_b32_e32 v148, 23, v150
	s_mov_b32 s13, exec_lo
	s_delay_alu instid0(VALU_DEP_2) | instskip(NEXT) | instid1(VALU_DEP_2)
	v_add_nc_u32_e32 v134, v134, v150
	v_xor_b32_e32 v148, 1, v148
	s_delay_alu instid0(VALU_DEP_2) | instskip(NEXT) | instid1(VALU_DEP_1)
	v_and_b32_e32 v69, 0xfffff, v134
	v_add_nc_u32_e32 v134, v69, v150
                                        ; implicit-def: $vgpr69
	s_delay_alu instid0(VALU_DEP_3)
	v_cmpx_ne_u32_e64 v145, v148
	s_xor_b32 s13, exec_lo, s13
; %bb.2543:                             ;   in Loop: Header=BB2_2420 Depth=3
	s_delay_alu instid0(VALU_DEP_2) | instskip(SKIP_2) | instid1(VALU_DEP_2)
	v_cmp_lt_u32_e32 vcc_lo, 0xffffff, v134
	v_sub_nc_u32_e32 v69, v145, v148
	v_cndmask_b32_e64 v145, 0, 1, vcc_lo
	v_add_co_ci_u32_e32 v69, vcc_lo, 0, v69, vcc_lo
	s_delay_alu instid0(VALU_DEP_2)
	v_lshrrev_b32_e32 v134, v145, v134
; %bb.2544:                             ;   in Loop: Header=BB2_2420 Depth=3
	s_and_not1_saveexec_b32 s13, s13
	s_cbranch_execz .LBB2_2417
; %bb.2545:                             ;   in Loop: Header=BB2_2420 Depth=3
	s_delay_alu instid0(VALU_DEP_1)
	v_bfe_u32 v69, v134, 23, 1
	s_branch .LBB2_2417
.LBB2_2546:                             ;   in Loop: Header=BB2_2420 Depth=3
	s_mov_b32 s3, -1
	s_mov_b32 s24, exec_lo
                                        ; implicit-def: $sgpr13
	v_cmpx_eq_u16_e64 0x80, v162
; %bb.2547:                             ;   in Loop: Header=BB2_2420 Depth=3
	s_mov_b32 s13, 0x7f800001
	s_xor_b32 s3, exec_lo, -1
; %bb.2548:                             ;   in Loop: Header=BB2_2420 Depth=3
	s_or_b32 exec_lo, exec_lo, s24
	s_delay_alu instid0(SALU_CYCLE_1)
	s_and_b32 s3, s3, exec_lo
	s_or_saveexec_b32 s17, s17
	v_mov_b32_e32 v161, s13
	s_xor_b32 exec_lo, exec_lo, s17
	s_cbranch_execz .LBB2_2422
.LBB2_2549:                             ;   in Loop: Header=BB2_2420 Depth=3
	v_cmp_ne_u16_e64 vcc_lo, 0, v162
	v_mov_b32_e32 v161, 0
	s_and_not1_b32 s3, s3, exec_lo
	s_delay_alu instid0(VALU_DEP_2) | instskip(NEXT) | instid1(SALU_CYCLE_1)
	s_and_b32 s13, vcc_lo, exec_lo
	s_or_b32 s3, s3, s13
	s_or_b32 exec_lo, exec_lo, s17
	s_and_saveexec_b32 s13, s3
	s_cbranch_execnz .LBB2_2423
	s_branch .LBB2_2424
.LBB2_2550:                             ;   in Loop: Header=BB2_2420 Depth=3
	s_mov_b32 s3, -1
	s_mov_b32 s24, exec_lo
                                        ; implicit-def: $sgpr13
	v_cmpx_eq_u16_e64 0x80, v163
; %bb.2551:                             ;   in Loop: Header=BB2_2420 Depth=3
	s_mov_b32 s13, 0x7f800001
	s_xor_b32 s3, exec_lo, -1
; %bb.2552:                             ;   in Loop: Header=BB2_2420 Depth=3
	s_or_b32 exec_lo, exec_lo, s24
	s_delay_alu instid0(SALU_CYCLE_1)
	s_and_b32 s3, s3, exec_lo
                                        ; implicit-def: $vgpr163
	s_or_saveexec_b32 s17, s17
	v_mov_b32_e32 v162, s13
	s_xor_b32 exec_lo, exec_lo, s17
	s_cbranch_execz .LBB2_2426
.LBB2_2553:                             ;   in Loop: Header=BB2_2420 Depth=3
	v_cmp_ne_u16_e64 vcc_lo, 0, v163
	v_mov_b32_e32 v162, 0
	s_and_not1_b32 s3, s3, exec_lo
	s_delay_alu instid0(VALU_DEP_2) | instskip(NEXT) | instid1(SALU_CYCLE_1)
	s_and_b32 s13, vcc_lo, exec_lo
	s_or_b32 s3, s3, s13
	s_or_b32 exec_lo, exec_lo, s17
	s_and_saveexec_b32 s13, s3
	s_cbranch_execnz .LBB2_2427
	s_branch .LBB2_2428
.LBB2_2554:                             ;   in Loop: Header=BB2_2420 Depth=3
	s_mov_b32 s3, -1
	s_mov_b32 s24, exec_lo
                                        ; implicit-def: $sgpr13
	v_cmpx_eq_u16_e64 0x80, v162
; %bb.2555:                             ;   in Loop: Header=BB2_2420 Depth=3
	s_mov_b32 s13, 0x7f800001
	s_xor_b32 s3, exec_lo, -1
; %bb.2556:                             ;   in Loop: Header=BB2_2420 Depth=3
	s_or_b32 exec_lo, exec_lo, s24
	s_delay_alu instid0(SALU_CYCLE_1)
	s_and_b32 s3, s3, exec_lo
                                        ; implicit-def: $vgpr162
	s_or_saveexec_b32 s17, s17
	v_mov_b32_e32 v161, s13
	s_xor_b32 exec_lo, exec_lo, s17
	s_cbranch_execz .LBB2_2438
.LBB2_2557:                             ;   in Loop: Header=BB2_2420 Depth=3
	v_cmp_ne_u16_e64 vcc_lo, 0, v162
	v_mov_b32_e32 v161, 0
	s_and_not1_b32 s3, s3, exec_lo
	s_delay_alu instid0(VALU_DEP_2) | instskip(NEXT) | instid1(SALU_CYCLE_1)
	s_and_b32 s13, vcc_lo, exec_lo
	s_or_b32 s3, s3, s13
	s_or_b32 exec_lo, exec_lo, s17
	s_and_saveexec_b32 s13, s3
	s_cbranch_execnz .LBB2_2439
	s_branch .LBB2_2440
.LBB2_2558:                             ;   in Loop: Header=BB2_2420 Depth=3
	s_mov_b32 s3, -1
	s_mov_b32 s24, exec_lo
                                        ; implicit-def: $sgpr13
	v_cmpx_eq_u16_e64 0x80, v162
; %bb.2559:                             ;   in Loop: Header=BB2_2420 Depth=3
	s_mov_b32 s13, 0x7f800001
	s_xor_b32 s3, exec_lo, -1
; %bb.2560:                             ;   in Loop: Header=BB2_2420 Depth=3
	s_or_b32 exec_lo, exec_lo, s24
	s_delay_alu instid0(SALU_CYCLE_1)
	s_and_b32 s3, s3, exec_lo
                                        ; implicit-def: $vgpr162
	s_or_saveexec_b32 s17, s17
	v_mov_b32_e32 v160, s13
	s_xor_b32 exec_lo, exec_lo, s17
	s_cbranch_execz .LBB2_2442
.LBB2_2561:                             ;   in Loop: Header=BB2_2420 Depth=3
	v_cmp_ne_u16_e64 vcc_lo, 0, v162
	v_mov_b32_e32 v160, 0
	s_and_not1_b32 s3, s3, exec_lo
	s_delay_alu instid0(VALU_DEP_2) | instskip(NEXT) | instid1(SALU_CYCLE_1)
	s_and_b32 s13, vcc_lo, exec_lo
	s_or_b32 s3, s3, s13
	s_or_b32 exec_lo, exec_lo, s17
	s_and_saveexec_b32 s13, s3
	s_cbranch_execnz .LBB2_2443
	s_branch .LBB2_2444
.LBB2_2562:                             ;   in Loop: Header=BB2_2420 Depth=3
	s_mov_b32 s3, -1
	s_mov_b32 s24, exec_lo
                                        ; implicit-def: $sgpr13
	v_cmpx_eq_u16_e64 0x80, v161
; %bb.2563:                             ;   in Loop: Header=BB2_2420 Depth=3
	s_mov_b32 s13, 0x7f800001
	s_xor_b32 s3, exec_lo, -1
; %bb.2564:                             ;   in Loop: Header=BB2_2420 Depth=3
	s_or_b32 exec_lo, exec_lo, s24
	s_delay_alu instid0(SALU_CYCLE_1)
	s_and_b32 s3, s3, exec_lo
                                        ; implicit-def: $vgpr161
	s_or_saveexec_b32 s17, s17
	v_mov_b32_e32 v160, s13
	s_xor_b32 exec_lo, exec_lo, s17
	s_cbranch_execz .LBB2_2454
.LBB2_2565:                             ;   in Loop: Header=BB2_2420 Depth=3
	v_cmp_ne_u16_e64 vcc_lo, 0, v161
	v_mov_b32_e32 v160, 0
	s_and_not1_b32 s3, s3, exec_lo
	s_delay_alu instid0(VALU_DEP_2) | instskip(NEXT) | instid1(SALU_CYCLE_1)
	s_and_b32 s13, vcc_lo, exec_lo
	s_or_b32 s3, s3, s13
	s_or_b32 exec_lo, exec_lo, s17
	s_and_saveexec_b32 s13, s3
	s_cbranch_execnz .LBB2_2455
	s_branch .LBB2_2456
.LBB2_2566:                             ;   in Loop: Header=BB2_2420 Depth=3
	s_mov_b32 s3, -1
	s_mov_b32 s24, exec_lo
                                        ; implicit-def: $sgpr13
	v_cmpx_eq_u16_e64 0x80, v161
; %bb.2567:                             ;   in Loop: Header=BB2_2420 Depth=3
	s_mov_b32 s13, 0x7f800001
	s_xor_b32 s3, exec_lo, -1
; %bb.2568:                             ;   in Loop: Header=BB2_2420 Depth=3
	s_or_b32 exec_lo, exec_lo, s24
	s_delay_alu instid0(SALU_CYCLE_1)
	s_and_b32 s3, s3, exec_lo
                                        ; implicit-def: $vgpr161
	s_or_saveexec_b32 s17, s17
	v_mov_b32_e32 v151, s13
	s_xor_b32 exec_lo, exec_lo, s17
	s_cbranch_execz .LBB2_2458
.LBB2_2569:                             ;   in Loop: Header=BB2_2420 Depth=3
	v_cmp_ne_u16_e64 vcc_lo, 0, v161
	v_mov_b32_e32 v151, 0
	s_and_not1_b32 s3, s3, exec_lo
	s_delay_alu instid0(VALU_DEP_2) | instskip(NEXT) | instid1(SALU_CYCLE_1)
	s_and_b32 s13, vcc_lo, exec_lo
	s_or_b32 s3, s3, s13
	s_or_b32 exec_lo, exec_lo, s17
	s_and_saveexec_b32 s13, s3
	s_cbranch_execnz .LBB2_2459
	s_branch .LBB2_2460
.LBB2_2570:                             ;   in Loop: Header=BB2_2420 Depth=3
	s_mov_b32 s3, -1
	s_mov_b32 s24, exec_lo
                                        ; implicit-def: $sgpr13
	v_cmpx_eq_u16_e64 0x80, v160
; %bb.2571:                             ;   in Loop: Header=BB2_2420 Depth=3
	s_mov_b32 s13, 0x7f800001
	s_xor_b32 s3, exec_lo, -1
; %bb.2572:                             ;   in Loop: Header=BB2_2420 Depth=3
	s_or_b32 exec_lo, exec_lo, s24
	s_delay_alu instid0(SALU_CYCLE_1)
	s_and_b32 s3, s3, exec_lo
                                        ; implicit-def: $vgpr160
	s_or_saveexec_b32 s17, s17
	v_mov_b32_e32 v151, s13
	s_xor_b32 exec_lo, exec_lo, s17
	s_cbranch_execz .LBB2_2470
.LBB2_2573:                             ;   in Loop: Header=BB2_2420 Depth=3
	v_cmp_ne_u16_e64 vcc_lo, 0, v160
	v_mov_b32_e32 v151, 0
	s_and_not1_b32 s3, s3, exec_lo
	s_delay_alu instid0(VALU_DEP_2) | instskip(NEXT) | instid1(SALU_CYCLE_1)
	s_and_b32 s13, vcc_lo, exec_lo
	s_or_b32 s3, s3, s13
	s_or_b32 exec_lo, exec_lo, s17
	s_and_saveexec_b32 s13, s3
	s_cbranch_execnz .LBB2_2471
	s_branch .LBB2_2472
.LBB2_2574:                             ;   in Loop: Header=BB2_2420 Depth=3
	s_mov_b32 s3, -1
	s_mov_b32 s24, exec_lo
                                        ; implicit-def: $sgpr13
	v_cmpx_eq_u16_e64 0x80, v160
; %bb.2575:                             ;   in Loop: Header=BB2_2420 Depth=3
	s_mov_b32 s13, 0x7f800001
	s_xor_b32 s3, exec_lo, -1
; %bb.2576:                             ;   in Loop: Header=BB2_2420 Depth=3
	s_or_b32 exec_lo, exec_lo, s24
	s_delay_alu instid0(SALU_CYCLE_1)
	s_and_b32 s3, s3, exec_lo
                                        ; implicit-def: $vgpr160
	s_or_saveexec_b32 s17, s17
	v_mov_b32_e32 v150, s13
	s_xor_b32 exec_lo, exec_lo, s17
	s_cbranch_execz .LBB2_2474
.LBB2_2577:                             ;   in Loop: Header=BB2_2420 Depth=3
	v_cmp_ne_u16_e64 vcc_lo, 0, v160
	v_mov_b32_e32 v150, 0
	s_and_not1_b32 s3, s3, exec_lo
	s_delay_alu instid0(VALU_DEP_2) | instskip(NEXT) | instid1(SALU_CYCLE_1)
	s_and_b32 s13, vcc_lo, exec_lo
	s_or_b32 s3, s3, s13
	s_or_b32 exec_lo, exec_lo, s17
	s_and_saveexec_b32 s13, s3
	s_cbranch_execnz .LBB2_2475
	s_branch .LBB2_2476
.LBB2_2578:                             ;   in Loop: Header=BB2_2420 Depth=3
	s_mov_b32 s3, -1
	s_mov_b32 s24, exec_lo
                                        ; implicit-def: $sgpr13
	v_cmpx_eq_u16_e64 0x80, v151
; %bb.2579:                             ;   in Loop: Header=BB2_2420 Depth=3
	s_mov_b32 s13, 0x7f800001
	s_xor_b32 s3, exec_lo, -1
; %bb.2580:                             ;   in Loop: Header=BB2_2420 Depth=3
	s_or_b32 exec_lo, exec_lo, s24
	s_delay_alu instid0(SALU_CYCLE_1)
	s_and_b32 s3, s3, exec_lo
                                        ; implicit-def: $vgpr151
	s_or_saveexec_b32 s17, s17
	v_mov_b32_e32 v150, s13
	s_xor_b32 exec_lo, exec_lo, s17
	s_cbranch_execz .LBB2_2486
.LBB2_2581:                             ;   in Loop: Header=BB2_2420 Depth=3
	v_cmp_ne_u16_e64 vcc_lo, 0, v151
	v_mov_b32_e32 v150, 0
	s_and_not1_b32 s3, s3, exec_lo
	s_delay_alu instid0(VALU_DEP_2) | instskip(NEXT) | instid1(SALU_CYCLE_1)
	s_and_b32 s13, vcc_lo, exec_lo
	s_or_b32 s3, s3, s13
	s_or_b32 exec_lo, exec_lo, s17
	s_and_saveexec_b32 s13, s3
	s_cbranch_execnz .LBB2_2487
	s_branch .LBB2_2488
.LBB2_2582:                             ;   in Loop: Header=BB2_2420 Depth=3
	s_mov_b32 s3, -1
	s_mov_b32 s24, exec_lo
                                        ; implicit-def: $sgpr13
	v_cmpx_eq_u16_e64 0x80, v151
; %bb.2583:                             ;   in Loop: Header=BB2_2420 Depth=3
	s_mov_b32 s13, 0x7f800001
	s_xor_b32 s3, exec_lo, -1
; %bb.2584:                             ;   in Loop: Header=BB2_2420 Depth=3
	s_or_b32 exec_lo, exec_lo, s24
	s_delay_alu instid0(SALU_CYCLE_1)
	s_and_b32 s3, s3, exec_lo
                                        ; implicit-def: $vgpr151
	s_or_saveexec_b32 s17, s17
	v_mov_b32_e32 v148, s13
	s_xor_b32 exec_lo, exec_lo, s17
	s_cbranch_execz .LBB2_2490
.LBB2_2585:                             ;   in Loop: Header=BB2_2420 Depth=3
	v_cmp_ne_u16_e64 vcc_lo, 0, v151
	v_mov_b32_e32 v148, 0
	s_and_not1_b32 s3, s3, exec_lo
	s_delay_alu instid0(VALU_DEP_2) | instskip(NEXT) | instid1(SALU_CYCLE_1)
	s_and_b32 s13, vcc_lo, exec_lo
	s_or_b32 s3, s3, s13
	s_or_b32 exec_lo, exec_lo, s17
	s_and_saveexec_b32 s13, s3
	s_cbranch_execnz .LBB2_2491
	s_branch .LBB2_2492
.LBB2_2586:                             ;   in Loop: Header=BB2_2420 Depth=3
	s_mov_b32 s3, -1
	s_mov_b32 s24, exec_lo
                                        ; implicit-def: $sgpr13
	v_cmpx_eq_u16_e64 0x80, v150
; %bb.2587:                             ;   in Loop: Header=BB2_2420 Depth=3
	s_mov_b32 s13, 0x7f800001
	s_xor_b32 s3, exec_lo, -1
; %bb.2588:                             ;   in Loop: Header=BB2_2420 Depth=3
	s_or_b32 exec_lo, exec_lo, s24
	s_delay_alu instid0(SALU_CYCLE_1)
	s_and_b32 s3, s3, exec_lo
                                        ; implicit-def: $vgpr150
	s_or_saveexec_b32 s17, s17
	v_mov_b32_e32 v148, s13
	s_xor_b32 exec_lo, exec_lo, s17
	s_cbranch_execz .LBB2_2502
.LBB2_2589:                             ;   in Loop: Header=BB2_2420 Depth=3
	v_cmp_ne_u16_e64 vcc_lo, 0, v150
	v_mov_b32_e32 v148, 0
	s_and_not1_b32 s3, s3, exec_lo
	s_delay_alu instid0(VALU_DEP_2) | instskip(NEXT) | instid1(SALU_CYCLE_1)
	s_and_b32 s13, vcc_lo, exec_lo
	s_or_b32 s3, s3, s13
	s_or_b32 exec_lo, exec_lo, s17
	s_and_saveexec_b32 s13, s3
	s_cbranch_execnz .LBB2_2503
	s_branch .LBB2_2504
.LBB2_2590:                             ;   in Loop: Header=BB2_2420 Depth=3
	s_mov_b32 s3, -1
	s_mov_b32 s24, exec_lo
                                        ; implicit-def: $sgpr13
	v_cmpx_eq_u16_e64 0x80, v150
; %bb.2591:                             ;   in Loop: Header=BB2_2420 Depth=3
	s_mov_b32 s13, 0x7f800001
	s_xor_b32 s3, exec_lo, -1
; %bb.2592:                             ;   in Loop: Header=BB2_2420 Depth=3
	s_or_b32 exec_lo, exec_lo, s24
	s_delay_alu instid0(SALU_CYCLE_1)
	s_and_b32 s3, s3, exec_lo
                                        ; implicit-def: $vgpr150
	s_or_saveexec_b32 s17, s17
	v_mov_b32_e32 v145, s13
	s_xor_b32 exec_lo, exec_lo, s17
	s_cbranch_execz .LBB2_2506
.LBB2_2593:                             ;   in Loop: Header=BB2_2420 Depth=3
	v_cmp_ne_u16_e64 vcc_lo, 0, v150
	v_mov_b32_e32 v145, 0
	s_and_not1_b32 s3, s3, exec_lo
	s_delay_alu instid0(VALU_DEP_2) | instskip(NEXT) | instid1(SALU_CYCLE_1)
	s_and_b32 s13, vcc_lo, exec_lo
	s_or_b32 s3, s3, s13
	s_or_b32 exec_lo, exec_lo, s17
	s_and_saveexec_b32 s13, s3
	s_cbranch_execnz .LBB2_2507
	s_branch .LBB2_2508
.LBB2_2594:                             ;   in Loop: Header=BB2_2420 Depth=3
	s_mov_b32 s3, -1
	s_mov_b32 s24, exec_lo
                                        ; implicit-def: $sgpr13
	v_cmpx_eq_u16_e64 0x80, v148
; %bb.2595:                             ;   in Loop: Header=BB2_2420 Depth=3
	s_mov_b32 s13, 0x7f800001
	s_xor_b32 s3, exec_lo, -1
; %bb.2596:                             ;   in Loop: Header=BB2_2420 Depth=3
	s_or_b32 exec_lo, exec_lo, s24
	s_delay_alu instid0(SALU_CYCLE_1)
	s_and_b32 s3, s3, exec_lo
                                        ; implicit-def: $vgpr148
	s_or_saveexec_b32 s17, s17
	v_mov_b32_e32 v145, s13
	s_xor_b32 exec_lo, exec_lo, s17
	s_cbranch_execz .LBB2_2518
.LBB2_2597:                             ;   in Loop: Header=BB2_2420 Depth=3
	v_cmp_ne_u16_e64 vcc_lo, 0, v148
	v_mov_b32_e32 v145, 0
	s_and_not1_b32 s3, s3, exec_lo
	s_delay_alu instid0(VALU_DEP_2) | instskip(NEXT) | instid1(SALU_CYCLE_1)
	s_and_b32 s13, vcc_lo, exec_lo
	s_or_b32 s3, s3, s13
	s_or_b32 exec_lo, exec_lo, s17
	s_and_saveexec_b32 s13, s3
	s_cbranch_execnz .LBB2_2519
	s_branch .LBB2_2520
.LBB2_2598:                             ;   in Loop: Header=BB2_2420 Depth=3
	s_mov_b32 s3, -1
	s_mov_b32 s24, exec_lo
                                        ; implicit-def: $sgpr13
	v_cmpx_eq_u16_e64 0x80, v148
; %bb.2599:                             ;   in Loop: Header=BB2_2420 Depth=3
	s_mov_b32 s13, 0x7f800001
	s_xor_b32 s3, exec_lo, -1
; %bb.2600:                             ;   in Loop: Header=BB2_2420 Depth=3
	s_or_b32 exec_lo, exec_lo, s24
	s_delay_alu instid0(SALU_CYCLE_1)
	s_and_b32 s3, s3, exec_lo
                                        ; implicit-def: $vgpr148
	s_or_saveexec_b32 s17, s17
	v_mov_b32_e32 v134, s13
	s_xor_b32 exec_lo, exec_lo, s17
	s_cbranch_execz .LBB2_2522
.LBB2_2601:                             ;   in Loop: Header=BB2_2420 Depth=3
	v_cmp_ne_u16_e64 vcc_lo, 0, v148
	v_mov_b32_e32 v134, 0
	s_and_not1_b32 s3, s3, exec_lo
	s_delay_alu instid0(VALU_DEP_2) | instskip(NEXT) | instid1(SALU_CYCLE_1)
	s_and_b32 s13, vcc_lo, exec_lo
	s_or_b32 s3, s3, s13
	s_or_b32 exec_lo, exec_lo, s17
	s_and_saveexec_b32 s13, s3
	s_cbranch_execnz .LBB2_2523
	s_branch .LBB2_2524
.LBB2_2602:                             ;   in Loop: Header=BB2_2420 Depth=3
	s_mov_b32 s3, -1
	s_mov_b32 s24, exec_lo
                                        ; implicit-def: $sgpr13
	v_cmpx_eq_u16_e64 0x80, v145
; %bb.2603:                             ;   in Loop: Header=BB2_2420 Depth=3
	s_mov_b32 s13, 0x7f800001
	s_xor_b32 s3, exec_lo, -1
; %bb.2604:                             ;   in Loop: Header=BB2_2420 Depth=3
	s_or_b32 exec_lo, exec_lo, s24
	s_delay_alu instid0(SALU_CYCLE_1)
	s_and_b32 s3, s3, exec_lo
                                        ; implicit-def: $vgpr145
	s_or_saveexec_b32 s17, s17
	v_mov_b32_e32 v134, s13
	s_xor_b32 exec_lo, exec_lo, s17
	s_cbranch_execz .LBB2_2534
.LBB2_2605:                             ;   in Loop: Header=BB2_2420 Depth=3
	v_cmp_ne_u16_e64 vcc_lo, 0, v145
	v_mov_b32_e32 v134, 0
	s_and_not1_b32 s3, s3, exec_lo
	s_delay_alu instid0(VALU_DEP_2) | instskip(NEXT) | instid1(SALU_CYCLE_1)
	s_and_b32 s13, vcc_lo, exec_lo
	s_or_b32 s3, s3, s13
	s_or_b32 exec_lo, exec_lo, s17
	s_and_saveexec_b32 s13, s3
	s_cbranch_execnz .LBB2_2535
	s_branch .LBB2_2536
.LBB2_2606:                             ;   in Loop: Header=BB2_2420 Depth=3
	s_mov_b32 s3, -1
	s_mov_b32 s24, exec_lo
                                        ; implicit-def: $sgpr13
	v_cmpx_eq_u16_e64 0x80, v145
; %bb.2607:                             ;   in Loop: Header=BB2_2420 Depth=3
	s_mov_b32 s13, 0x7f800001
	s_xor_b32 s3, exec_lo, -1
; %bb.2608:                             ;   in Loop: Header=BB2_2420 Depth=3
	s_or_b32 exec_lo, exec_lo, s24
	s_delay_alu instid0(SALU_CYCLE_1)
	s_and_b32 s3, s3, exec_lo
                                        ; implicit-def: $vgpr145
	s_or_saveexec_b32 s17, s17
	v_mov_b32_e32 v69, s13
	s_xor_b32 exec_lo, exec_lo, s17
	s_cbranch_execz .LBB2_2538
.LBB2_2609:                             ;   in Loop: Header=BB2_2420 Depth=3
	v_cmp_ne_u16_e64 vcc_lo, 0, v145
	v_mov_b32_e32 v69, 0
	s_and_not1_b32 s3, s3, exec_lo
	s_delay_alu instid0(VALU_DEP_2) | instskip(NEXT) | instid1(SALU_CYCLE_1)
	s_and_b32 s13, vcc_lo, exec_lo
	s_or_b32 s3, s3, s13
	s_or_b32 exec_lo, exec_lo, s17
	s_and_saveexec_b32 s13, s3
	s_cbranch_execnz .LBB2_2539
	s_branch .LBB2_2540
.LBB2_2610:                             ;   in Loop: Header=BB2_1542 Depth=2
	s_or_b32 exec_lo, exec_lo, s16
.LBB2_2611:                             ;   in Loop: Header=BB2_1542 Depth=2
	s_delay_alu instid0(SALU_CYCLE_1) | instskip(SKIP_2) | instid1(VALU_DEP_1)
	s_or_b32 exec_lo, exec_lo, s14
	v_lshlrev_b32_e32 v8, 8, v67
	s_mov_b32 s3, exec_lo
	v_cmpx_ne_u32_e64 v65, v8
	s_cbranch_execz .LBB2_2642
; %bb.2612:                             ;   in Loop: Header=BB2_1542 Depth=2
	v_ashrrev_i32_e32 v9, 31, v66
	v_lshlrev_b32_e32 v2, 5, v2
	s_delay_alu instid0(VALU_DEP_2) | instskip(NEXT) | instid1(VALU_DEP_1)
	v_lshrrev_b32_e32 v9, 27, v9
	v_add_nc_u32_e32 v9, v66, v9
	s_delay_alu instid0(VALU_DEP_1) | instskip(NEXT) | instid1(VALU_DEP_1)
	v_and_b32_e32 v9, 0xffffffe0, v9
	v_sub_nc_u32_e32 v9, v66, v9
	s_delay_alu instid0(VALU_DEP_1) | instskip(NEXT) | instid1(VALU_DEP_1)
	v_sub_nc_u32_e32 v2, v9, v2
	v_add_nc_u32_e32 v8, v8, v2
	s_delay_alu instid0(VALU_DEP_1) | instskip(NEXT) | instid1(VALU_DEP_1)
	v_sub_nc_u32_e32 v2, v65, v8
	v_cmp_lt_i32_e32 vcc_lo, 0, v2
	s_and_b32 exec_lo, exec_lo, vcc_lo
	s_cbranch_execz .LBB2_2642
; %bb.2613:                             ;   in Loop: Header=BB2_1542 Depth=2
	s_cbranch_execnz .LBB2_4766
; %bb.2614:                             ;   in Loop: Header=BB2_1542 Depth=2
	ds_load_b128 v[9:12], v0
	v_add_nc_u32_e32 v13, v8, v64
	s_mov_b32 s30, 0
	s_delay_alu instid0(VALU_DEP_1) | instskip(SKIP_2) | instid1(VALU_DEP_2)
	v_ashrrev_i32_e32 v14, 31, v13
	s_waitcnt lgkmcnt(0)
	v_add_co_u32 v8, vcc_lo, v9, v13
	v_add_co_ci_u32_e32 v9, vcc_lo, v10, v14, vcc_lo
	v_add_co_u32 v10, vcc_lo, v11, v13
	v_add_co_ci_u32_e32 v11, vcc_lo, v12, v14, vcc_lo
	s_delay_alu instid0(VALU_DEP_3) | instskip(NEXT) | instid1(VALU_DEP_2)
	v_dual_mov_b32 v13, v9 :: v_dual_mov_b32 v12, v8
	v_dual_mov_b32 v15, v11 :: v_dual_mov_b32 v14, v10
.LBB2_2615:                             ;   Parent Loop BB2_51 Depth=1
                                        ;     Parent Loop BB2_1542 Depth=2
                                        ; =>    This Loop Header: Depth=3
                                        ;         Child Loop BB2_2632 Depth 4
	flat_load_u8 v66, v[12:13] slc dlc
	flat_load_u8 v64, v[14:15] slc dlc
	s_mov_b32 s13, 0
	s_mov_b32 s16, exec_lo
                                        ; implicit-def: $sgpr14
	s_waitcnt vmcnt(1) lgkmcnt(1)
	v_cmpx_lt_i16_e32 0x7f, v66
	s_xor_b32 s16, exec_lo, s16
	s_cbranch_execnz .LBB2_2634
; %bb.2616:                             ;   in Loop: Header=BB2_2615 Depth=3
	s_or_saveexec_b32 s16, s16
	v_mov_b32_e32 v65, s14
	s_xor_b32 exec_lo, exec_lo, s16
	s_cbranch_execnz .LBB2_2637
.LBB2_2617:                             ;   in Loop: Header=BB2_2615 Depth=3
	s_or_b32 exec_lo, exec_lo, s16
	s_and_saveexec_b32 s14, s13
	s_cbranch_execz .LBB2_2619
.LBB2_2618:                             ;   in Loop: Header=BB2_2615 Depth=3
	v_and_b32_e32 v65, 0xffff, v66
	s_delay_alu instid0(VALU_DEP_1) | instskip(NEXT) | instid1(VALU_DEP_1)
	v_and_b32_e32 v67, 7, v65
	v_clz_i32_u32_e32 v68, v67
	s_delay_alu instid0(VALU_DEP_1) | instskip(NEXT) | instid1(VALU_DEP_1)
	v_min_u32_e32 v68, 32, v68
	v_subrev_nc_u32_e32 v69, 28, v68
	v_sub_nc_u32_e32 v68, 29, v68
	s_delay_alu instid0(VALU_DEP_2) | instskip(SKIP_1) | instid1(VALU_DEP_2)
	v_lshlrev_b32_e32 v69, v69, v65
	v_bfe_u32 v65, v65, 3, 4
	v_and_b32_e32 v69, 7, v69
	s_delay_alu instid0(VALU_DEP_2) | instskip(SKIP_1) | instid1(VALU_DEP_1)
	v_cmp_eq_u32_e32 vcc_lo, 0, v65
	v_dual_cndmask_b32 v65, v65, v68 :: v_dual_lshlrev_b32 v66, 24, v66
	v_dual_cndmask_b32 v67, v67, v69 :: v_dual_and_b32 v66, 0x80000000, v66
	s_delay_alu instid0(VALU_DEP_2) | instskip(NEXT) | instid1(VALU_DEP_2)
	v_lshl_add_u32 v65, v65, 23, 0x3b800000
	v_lshlrev_b32_e32 v67, 20, v67
	s_delay_alu instid0(VALU_DEP_1)
	v_or3_b32 v65, v66, v65, v67
.LBB2_2619:                             ;   in Loop: Header=BB2_2615 Depth=3
	s_or_b32 exec_lo, exec_lo, s14
	s_waitcnt vmcnt(0) lgkmcnt(0)
	v_and_b32_e32 v67, 0xff, v64
	s_mov_b32 s13, 0
	s_mov_b32 s16, exec_lo
                                        ; implicit-def: $sgpr14
	s_delay_alu instid0(VALU_DEP_1)
	v_cmpx_lt_i16_e32 0x7f, v67
	s_xor_b32 s16, exec_lo, s16
	s_cbranch_execnz .LBB2_2638
; %bb.2620:                             ;   in Loop: Header=BB2_2615 Depth=3
	s_or_saveexec_b32 s16, s16
	v_mov_b32_e32 v66, s14
	s_xor_b32 exec_lo, exec_lo, s16
	s_cbranch_execnz .LBB2_2641
.LBB2_2621:                             ;   in Loop: Header=BB2_2615 Depth=3
	s_or_b32 exec_lo, exec_lo, s16
	s_and_saveexec_b32 s14, s13
	s_cbranch_execz .LBB2_2623
.LBB2_2622:                             ;   in Loop: Header=BB2_2615 Depth=3
	v_lshrrev_b16 v69, 3, v64
	s_delay_alu instid0(VALU_DEP_1) | instskip(NEXT) | instid1(VALU_DEP_1)
	v_and_b32_e32 v69, 15, v69
	v_cmp_eq_u32_e32 vcc_lo, 0, v69
	v_and_b32_e32 v66, 7, v64
	s_delay_alu instid0(VALU_DEP_1) | instskip(NEXT) | instid1(VALU_DEP_1)
	v_clz_i32_u32_e32 v67, v66
	v_min_u32_e32 v67, 32, v67
	s_delay_alu instid0(VALU_DEP_1) | instskip(SKIP_1) | instid1(VALU_DEP_1)
	v_subrev_nc_u32_e32 v68, 28, v67
	v_sub_nc_u32_e32 v67, 29, v67
	v_dual_cndmask_b32 v67, v69, v67 :: v_dual_lshlrev_b32 v68, v68, v64
	v_lshlrev_b32_e32 v64, 24, v64
	s_delay_alu instid0(VALU_DEP_2) | instskip(NEXT) | instid1(VALU_DEP_3)
	v_and_b32_e32 v68, 7, v68
	v_lshl_add_u32 v67, v67, 23, 0x3b800000
	s_delay_alu instid0(VALU_DEP_3) | instskip(NEXT) | instid1(VALU_DEP_3)
	v_and_b32_e32 v64, 0x80000000, v64
	v_cndmask_b32_e32 v66, v66, v68, vcc_lo
	s_delay_alu instid0(VALU_DEP_1) | instskip(NEXT) | instid1(VALU_DEP_1)
	v_lshlrev_b32_e32 v66, 20, v66
	v_or3_b32 v66, v64, v67, v66
.LBB2_2623:                             ;   in Loop: Header=BB2_2615 Depth=3
	s_or_b32 exec_lo, exec_lo, s14
	s_delay_alu instid0(VALU_DEP_1) | instskip(NEXT) | instid1(VALU_DEP_1)
	v_add_f32_e32 v64, v65, v66
	v_and_b32_e32 v65, 0x7f800000, v64
	s_delay_alu instid0(VALU_DEP_1)
	v_cmp_ne_u32_e32 vcc_lo, 0x7f800000, v65
	v_mov_b32_e32 v65, 0x80
	s_and_saveexec_b32 s14, vcc_lo
	s_cbranch_execz .LBB2_2631
; %bb.2624:                             ;   in Loop: Header=BB2_2615 Depth=3
	v_mov_b32_e32 v65, 0
	s_mov_b32 s16, exec_lo
	v_cmpx_ne_u32_e32 0, v64
	s_cbranch_execz .LBB2_2630
; %bb.2625:                             ;   in Loop: Header=BB2_2615 Depth=3
	v_bfe_u32 v65, v64, 23, 8
	s_delay_alu instid0(VALU_DEP_1) | instskip(SKIP_1) | instid1(VALU_DEP_2)
	v_sub_nc_u32_e32 v67, 0x78, v65
	v_cmp_gt_u32_e32 vcc_lo, 0x79, v65
	v_dual_cndmask_b32 v67, 0, v67 :: v_dual_and_b32 v66, 0x7fffff, v64
	s_delay_alu instid0(VALU_DEP_1) | instskip(SKIP_2) | instid1(VALU_DEP_4)
	v_or_b32_e32 v68, 0x800000, v66
	v_cmp_eq_u32_e32 vcc_lo, 0, v65
	v_add_nc_u32_e32 v65, 0xffffff89, v65
	v_cndmask_b32_e64 v67, v67, 0x77, vcc_lo
	s_delay_alu instid0(VALU_DEP_4) | instskip(NEXT) | instid1(VALU_DEP_3)
	v_cndmask_b32_e32 v66, v68, v66, vcc_lo
	v_cndmask_b32_e64 v65, v65, 0xffffff8a, vcc_lo
	s_delay_alu instid0(VALU_DEP_3) | instskip(NEXT) | instid1(VALU_DEP_3)
	v_lshl_add_u32 v68, 0x100000, v67, -1
	v_lshrrev_b32_e32 v69, v67, v66
	v_lshlrev_b32_e64 v71, v67, 0x80000
	s_delay_alu instid0(VALU_DEP_4) | instskip(NEXT) | instid1(VALU_DEP_4)
	v_add_nc_u32_e32 v67, v67, v65
	v_and_b32_e32 v66, v68, v66
	s_delay_alu instid0(VALU_DEP_4) | instskip(NEXT) | instid1(VALU_DEP_2)
	v_bfe_u32 v70, v69, 20, 1
	v_cmp_eq_u32_e64 s13, v66, v71
	s_delay_alu instid0(VALU_DEP_2) | instskip(NEXT) | instid1(VALU_DEP_1)
	v_add_nc_u32_e32 v68, -1, v70
	v_cndmask_b32_e64 v66, 0, v68, s13
	v_lshrrev_b32_e32 v68, 23, v69
	s_mov_b32 s13, exec_lo
	s_delay_alu instid0(VALU_DEP_2) | instskip(NEXT) | instid1(VALU_DEP_2)
	v_add_nc_u32_e32 v66, v66, v69
	v_xor_b32_e32 v68, 1, v68
	s_delay_alu instid0(VALU_DEP_2) | instskip(NEXT) | instid1(VALU_DEP_1)
	v_and_b32_e32 v65, 0xfffff, v66
	v_add_nc_u32_e32 v66, v65, v69
                                        ; implicit-def: $vgpr65
	s_delay_alu instid0(VALU_DEP_3)
	v_cmpx_ne_u32_e64 v67, v68
	s_xor_b32 s13, exec_lo, s13
; %bb.2626:                             ;   in Loop: Header=BB2_2615 Depth=3
	s_delay_alu instid0(VALU_DEP_2) | instskip(SKIP_2) | instid1(VALU_DEP_2)
	v_cmp_lt_u32_e32 vcc_lo, 0xffffff, v66
	v_sub_nc_u32_e32 v65, v67, v68
	v_cndmask_b32_e64 v67, 0, 1, vcc_lo
	v_add_co_ci_u32_e32 v65, vcc_lo, 0, v65, vcc_lo
	s_delay_alu instid0(VALU_DEP_2)
	v_lshrrev_b32_e32 v66, v67, v66
; %bb.2627:                             ;   in Loop: Header=BB2_2615 Depth=3
	s_and_not1_saveexec_b32 s13, s13
; %bb.2628:                             ;   in Loop: Header=BB2_2615 Depth=3
	s_delay_alu instid0(VALU_DEP_1)
	v_bfe_u32 v65, v66, 23, 1
; %bb.2629:                             ;   in Loop: Header=BB2_2615 Depth=3
	s_or_b32 exec_lo, exec_lo, s13
	v_lshrrev_b32_e32 v66, 20, v66
	s_delay_alu instid0(VALU_DEP_2) | instskip(SKIP_2) | instid1(VALU_DEP_2)
	v_cmp_gt_i32_e32 vcc_lo, 16, v65
	v_min_i32_e32 v67, 15, v65
	v_lshrrev_b32_e32 v64, 24, v64
	v_dual_cndmask_b32 v66, 7, v66 :: v_dual_lshlrev_b32 v67, 3, v67
	s_delay_alu instid0(VALU_DEP_2) | instskip(NEXT) | instid1(VALU_DEP_2)
	v_and_b32_e32 v64, 0x80, v64
	v_or_b32_e32 v65, v65, v66
	s_delay_alu instid0(VALU_DEP_1) | instskip(SKIP_1) | instid1(VALU_DEP_1)
	v_cmp_ne_u32_e32 vcc_lo, 0, v65
	v_and_b32_e32 v68, 7, v66
	v_or3_b32 v64, v67, v64, v68
	s_delay_alu instid0(VALU_DEP_1)
	v_cndmask_b32_e32 v65, 0, v64, vcc_lo
.LBB2_2630:                             ;   in Loop: Header=BB2_2615 Depth=3
	s_or_b32 exec_lo, exec_lo, s16
.LBB2_2631:                             ;   in Loop: Header=BB2_2615 Depth=3
	s_delay_alu instid0(SALU_CYCLE_1)
	s_or_b32 exec_lo, exec_lo, s14
	s_mov_b64 s[16:17], 0
	s_mov_b32 s24, -1
.LBB2_2632:                             ;   Parent Loop BB2_51 Depth=1
                                        ;     Parent Loop BB2_1542 Depth=2
                                        ;       Parent Loop BB2_2615 Depth=3
                                        ; =>      This Inner Loop Header: Depth=4
	s_cmp_eq_u32 s16, 1
	s_cselect_b32 vcc_lo, -1, 0
	s_cmp_eq_u32 s16, 0
	v_dual_cndmask_b32 v67, v9, v11 :: v_dual_cndmask_b32 v66, v8, v10
	s_mov_b64 s[16:17], 1
	s_delay_alu instid0(VALU_DEP_1) | instskip(NEXT) | instid1(VALU_DEP_1)
	v_add_co_u32 v64, s13, v66, 32
	v_add_co_ci_u32_e64 v68, s13, 0, v67, s13
	s_cselect_b32 s13, -1, 0
	s_delay_alu instid0(VALU_DEP_2) | instskip(SKIP_1) | instid1(VALU_DEP_3)
	v_cndmask_b32_e32 v10, v10, v64, vcc_lo
	v_cndmask_b32_e64 v8, v8, v64, s13
	v_cndmask_b32_e32 v11, v11, v68, vcc_lo
	v_cndmask_b32_e64 v9, v9, v68, s13
	s_and_b32 s14, exec_lo, s24
	s_mov_b32 s24, 0
	s_mov_b32 vcc_lo, s14
	flat_store_b8 v[66:67], v65 glc slc dlc
	s_cbranch_vccnz .LBB2_2632
; %bb.2633:                             ;   in Loop: Header=BB2_2615 Depth=3
	v_add_co_u32 v12, vcc_lo, v12, v114
	v_add_co_ci_u32_e32 v13, vcc_lo, v13, v115, vcc_lo
	v_add_co_u32 v14, vcc_lo, v14, v114
	v_sub_nc_u32_e32 v2, v2, v99
	v_add_co_ci_u32_e32 v15, vcc_lo, v15, v115, vcc_lo
	v_add_co_u32 v8, vcc_lo, v8, v102
	v_add_co_ci_u32_e32 v9, vcc_lo, v9, v113, vcc_lo
	s_delay_alu instid0(VALU_DEP_4) | instskip(SKIP_1) | instid1(VALU_DEP_1)
	v_cmp_gt_i32_e32 vcc_lo, 1, v2
	v_add_co_u32 v10, s13, v10, v102
	v_add_co_ci_u32_e64 v11, s13, v11, v113, s13
	s_or_b32 s30, vcc_lo, s30
	s_delay_alu instid0(SALU_CYCLE_1)
	s_and_not1_b32 exec_lo, exec_lo, s30
	s_cbranch_execnz .LBB2_2615
	s_branch .LBB2_2642
.LBB2_2634:                             ;   in Loop: Header=BB2_2615 Depth=3
	s_mov_b32 s13, -1
	s_mov_b32 s17, exec_lo
                                        ; implicit-def: $sgpr14
	v_cmpx_eq_u16_e32 0x80, v66
; %bb.2635:                             ;   in Loop: Header=BB2_2615 Depth=3
	s_mov_b32 s14, 0x7f800001
	s_xor_b32 s13, exec_lo, -1
; %bb.2636:                             ;   in Loop: Header=BB2_2615 Depth=3
	s_or_b32 exec_lo, exec_lo, s17
	s_delay_alu instid0(SALU_CYCLE_1)
	s_and_b32 s13, s13, exec_lo
	s_or_saveexec_b32 s16, s16
	v_mov_b32_e32 v65, s14
	s_xor_b32 exec_lo, exec_lo, s16
	s_cbranch_execz .LBB2_2617
.LBB2_2637:                             ;   in Loop: Header=BB2_2615 Depth=3
	v_cmp_ne_u16_e32 vcc_lo, 0, v66
	v_mov_b32_e32 v65, 0
	s_and_not1_b32 s13, s13, exec_lo
	s_and_b32 s14, vcc_lo, exec_lo
	s_delay_alu instid0(SALU_CYCLE_1)
	s_or_b32 s13, s13, s14
	s_or_b32 exec_lo, exec_lo, s16
	s_and_saveexec_b32 s14, s13
	s_cbranch_execnz .LBB2_2618
	s_branch .LBB2_2619
.LBB2_2638:                             ;   in Loop: Header=BB2_2615 Depth=3
	s_mov_b32 s13, -1
	s_mov_b32 s17, exec_lo
                                        ; implicit-def: $sgpr14
	v_cmpx_eq_u16_e32 0x80, v67
; %bb.2639:                             ;   in Loop: Header=BB2_2615 Depth=3
	s_mov_b32 s14, 0x7f800001
	s_xor_b32 s13, exec_lo, -1
; %bb.2640:                             ;   in Loop: Header=BB2_2615 Depth=3
	s_or_b32 exec_lo, exec_lo, s17
	s_delay_alu instid0(SALU_CYCLE_1)
	s_and_b32 s13, s13, exec_lo
                                        ; implicit-def: $vgpr67
	s_or_saveexec_b32 s16, s16
	v_mov_b32_e32 v66, s14
	s_xor_b32 exec_lo, exec_lo, s16
	s_cbranch_execz .LBB2_2621
.LBB2_2641:                             ;   in Loop: Header=BB2_2615 Depth=3
	v_cmp_ne_u16_e32 vcc_lo, 0, v67
	v_mov_b32_e32 v66, 0
	s_and_not1_b32 s13, s13, exec_lo
	s_and_b32 s14, vcc_lo, exec_lo
	s_delay_alu instid0(SALU_CYCLE_1)
	s_or_b32 s13, s13, s14
	s_or_b32 exec_lo, exec_lo, s16
	s_and_saveexec_b32 s14, s13
	s_cbranch_execnz .LBB2_2622
	s_branch .LBB2_2623
.LBB2_2642:                             ;   in Loop: Header=BB2_1542 Depth=2
	s_or_b32 exec_lo, exec_lo, s3
.LBB2_2643:                             ;   in Loop: Header=BB2_1542 Depth=2
	s_delay_alu instid0(SALU_CYCLE_1)
	s_or_b32 exec_lo, exec_lo, s15
	s_mov_b32 s3, 0
.LBB2_2644:                             ;   in Loop: Header=BB2_1542 Depth=2
	s_delay_alu instid0(SALU_CYCLE_1)
	s_and_b32 vcc_lo, exec_lo, s3
	s_cbranch_vccz .LBB2_3662
; %bb.2645:                             ;   in Loop: Header=BB2_1542 Depth=2
	s_mov_b32 s3, -1
	s_and_saveexec_b32 s13, s12
	s_cbranch_execz .LBB2_2647
; %bb.2646:                             ;   in Loop: Header=BB2_1542 Depth=2
	ds_load_b32 v2, v0 offset:720
	s_waitcnt lgkmcnt(0)
	v_and_b32_e32 v2, 15, v2
	s_delay_alu instid0(VALU_DEP_1)
	v_cmp_eq_u32_e32 vcc_lo, 0, v2
	s_or_not1_b32 s3, vcc_lo, exec_lo
.LBB2_2647:                             ;   in Loop: Header=BB2_1542 Depth=2
	s_or_b32 exec_lo, exec_lo, s13
	s_and_saveexec_b32 s13, s5
	s_cbranch_execz .LBB2_2649
; %bb.2648:                             ;   in Loop: Header=BB2_1542 Depth=2
	ds_load_b32 v2, v0 offset:784
	s_waitcnt lgkmcnt(0)
	v_and_b32_e32 v2, 15, v2
	s_delay_alu instid0(VALU_DEP_1) | instskip(SKIP_3) | instid1(SALU_CYCLE_1)
	v_cmp_eq_u32_e32 vcc_lo, 0, v2
	s_and_b32 s14, s3, vcc_lo
	s_and_not1_b32 s3, s3, exec_lo
	s_and_b32 s14, s14, exec_lo
	s_or_b32 s3, s3, s14
.LBB2_2649:                             ;   in Loop: Header=BB2_1542 Depth=2
	s_or_b32 exec_lo, exec_lo, s13
	s_xor_b32 s3, s3, -1
	v_dual_mov_b32 v14, 0 :: v_dual_mov_b32 v15, v55
	v_cndmask_b32_e64 v2, 0, 1, s3
	;;#ASMSTART
	;;#ASMEND
	s_delay_alu instid0(VALU_DEP_1)
	v_cmp_ne_u32_e32 vcc_lo, 0, v2
	v_mov_b32_e32 v64, v0
	v_mov_b32_e32 v8, v84
	s_mov_b32 s3, -1
	s_cbranch_vccnz .LBB2_3433
; %bb.2650:                             ;   in Loop: Header=BB2_1542 Depth=2
	v_ashrrev_i32_e32 v2, 31, v55
	v_sub_nc_u32_e32 v70, v55, v116
	s_mov_b32 s15, exec_lo
	s_delay_alu instid0(VALU_DEP_2) | instskip(NEXT) | instid1(VALU_DEP_1)
	v_lshrrev_b32_e32 v2, 23, v2
	v_add_nc_u32_e32 v8, v55, v2
	s_delay_alu instid0(VALU_DEP_1) | instskip(SKIP_1) | instid1(VALU_DEP_2)
	v_and_b32_e32 v2, 0xfffffe00, v8
	v_ashrrev_i32_e32 v8, 9, v8
	v_sub_nc_u32_e32 v71, v55, v2
	s_delay_alu instid0(VALU_DEP_1) | instskip(NEXT) | instid1(VALU_DEP_3)
	v_cmp_lt_i32_e32 vcc_lo, 15, v71
	v_add_co_ci_u32_e64 v134, s13, v8, v117, vcc_lo
	v_cmpx_lt_i32_e32 15, v70
	s_cbranch_execz .LBB2_3039
; %bb.2651:                             ;   in Loop: Header=BB2_1542 Depth=2
	s_cbranch_execnz .LBB2_4736
; %bb.2652:                             ;   in Loop: Header=BB2_1542 Depth=2
	ds_load_b128 v[8:11], v0
	ds_load_b64 v[12:13], v0
	s_mov_b32 s16, 0
	s_waitcnt lgkmcnt(1)
	v_add_co_u32 v64, s13, v8, v116
	s_delay_alu instid0(VALU_DEP_1) | instskip(SKIP_1) | instid1(VALU_DEP_1)
	v_add_co_ci_u32_e64 v65, s13, v9, v118, s13
	v_add_co_u32 v66, s13, v10, v116
	v_add_co_ci_u32_e64 v67, s13, v11, v118, s13
	s_waitcnt lgkmcnt(0)
	v_add_co_u32 v68, s13, v12, v116
	s_delay_alu instid0(VALU_DEP_1)
	v_add_co_ci_u32_e64 v69, s13, v13, v118, s13
	s_branch .LBB2_2656
.LBB2_2653:                             ;   in Loop: Header=BB2_2656 Depth=3
	s_or_b32 exec_lo, exec_lo, s13
	s_delay_alu instid0(VALU_DEP_1) | instskip(NEXT) | instid1(VALU_DEP_2)
	v_lshrrev_b32_e32 v160, 20, v160
	v_min_i32_e32 v161, 15, v15
	v_cmp_gt_i32_e64 s13, 16, v15
	v_lshrrev_b32_e32 v11, 24, v11
	s_delay_alu instid0(VALU_DEP_3) | instskip(NEXT) | instid1(VALU_DEP_3)
	v_lshlrev_b32_e32 v161, 3, v161
	v_cndmask_b32_e64 v160, 7, v160, s13
	s_delay_alu instid0(VALU_DEP_3) | instskip(NEXT) | instid1(VALU_DEP_3)
	v_and_b32_e32 v11, 0x80, v11
	v_and_b32_e32 v161, 0xf8, v161
	s_delay_alu instid0(VALU_DEP_3) | instskip(SKIP_1) | instid1(VALU_DEP_2)
	v_and_b32_e32 v162, 7, v160
	v_or_b32_e32 v15, v15, v160
	v_or3_b32 v11, v11, v161, v162
	s_delay_alu instid0(VALU_DEP_2) | instskip(NEXT) | instid1(VALU_DEP_2)
	v_cmp_ne_u32_e64 s13, 0, v15
	v_lshlrev_b32_e32 v11, 8, v11
	s_delay_alu instid0(VALU_DEP_1)
	v_cndmask_b32_e64 v15, 0, v11, s13
.LBB2_2654:                             ;   in Loop: Header=BB2_2656 Depth=3
	s_or_b32 exec_lo, exec_lo, s17
.LBB2_2655:                             ;   in Loop: Header=BB2_2656 Depth=3
	s_delay_alu instid0(SALU_CYCLE_1)
	s_or_b32 exec_lo, exec_lo, s3
	v_or_b32_e32 v9, v9, v147
	v_and_b32_e32 v11, 0xff, v145
	v_lshlrev_b32_e32 v144, 8, v144
	v_and_b32_e32 v145, 0xff, v149
	v_lshlrev_b32_e32 v147, 8, v148
	v_or_b32_e32 v15, v15, v151
	v_and_b32_e32 v12, 0xff, v12
	v_lshlrev_b32_e32 v8, 24, v8
	v_lshlrev_b32_e32 v9, 16, v9
	;; [unrolled: 1-line block ×3, first 2 shown]
	v_perm_b32 v135, v144, v135, 0xc0c0500
	v_lshlrev_b32_e32 v10, 24, v10
	v_lshlrev_b32_e32 v144, 16, v145
	v_perm_b32 v13, v147, v13, 0xc0c0500
	v_and_b32_e32 v14, 0xff, v14
	v_lshlrev_b32_e32 v15, 16, v15
	v_add_co_u32 v64, s13, v64, v100
	v_or3_b32 v9, v146, v12, v9
	v_or3_b32 v8, v8, v11, v135
	;; [unrolled: 1-line block ×4, first 2 shown]
	v_sub_nc_u32_e32 v70, v70, v86
	v_add_co_ci_u32_e64 v65, s13, v65, v101, s13
	v_add_co_u32 v66, s13, v66, v100
	s_delay_alu instid0(VALU_DEP_1) | instskip(SKIP_3) | instid1(VALU_DEP_1)
	v_add_co_ci_u32_e64 v67, s13, v67, v101, s13
	global_store_b128 v[68:69], v[8:11], off glc slc dlc
	v_cmp_gt_i32_e64 s13, 16, v70
	v_add_co_u32 v68, s14, v68, v100
	v_add_co_ci_u32_e64 v69, s14, v69, v101, s14
	v_sub_nc_u32_e32 v134, v134, v83
	s_delay_alu instid0(VALU_DEP_4) | instskip(NEXT) | instid1(SALU_CYCLE_1)
	s_or_b32 s16, s13, s16
	s_and_not1_b32 exec_lo, exec_lo, s16
	s_cbranch_execz .LBB2_3038
.LBB2_2656:                             ;   Parent Loop BB2_51 Depth=1
                                        ;     Parent Loop BB2_1542 Depth=2
                                        ; =>    This Inner Loop Header: Depth=3
	global_load_b128 v[12:15], v[64:65], off slc dlc
	global_load_b128 v[8:11], v[66:67], off slc dlc
	s_mov_b32 s3, 0
	s_mov_b32 s17, exec_lo
                                        ; implicit-def: $sgpr14
	s_waitcnt vmcnt(1)
	v_and_b32_e32 v144, 0xff, v12
	s_delay_alu instid0(VALU_DEP_1)
	v_cmpx_lt_i16_e64 0x7f, v144
	s_xor_b32 s17, exec_lo, s17
	s_cbranch_execnz .LBB2_2910
; %bb.2657:                             ;   in Loop: Header=BB2_2656 Depth=3
	s_or_saveexec_b32 s17, s17
	v_mov_b32_e32 v135, s14
	s_xor_b32 exec_lo, exec_lo, s17
	s_cbranch_execnz .LBB2_2913
.LBB2_2658:                             ;   in Loop: Header=BB2_2656 Depth=3
	s_or_b32 exec_lo, exec_lo, s17
	s_and_saveexec_b32 s14, s3
	s_cbranch_execz .LBB2_2660
.LBB2_2659:                             ;   in Loop: Header=BB2_2656 Depth=3
	v_and_b32_e32 v135, 7, v12
	v_bfe_u32 v146, v12, 3, 4
	v_lshlrev_b32_e32 v147, 24, v12
	s_delay_alu instid0(VALU_DEP_3) | instskip(NEXT) | instid1(VALU_DEP_3)
	v_clz_i32_u32_e32 v144, v135
	v_cmp_eq_u32_e64 s13, 0, v146
	s_delay_alu instid0(VALU_DEP_2) | instskip(NEXT) | instid1(VALU_DEP_1)
	v_min_u32_e32 v144, 32, v144
	v_subrev_nc_u32_e32 v145, 28, v144
	v_sub_nc_u32_e32 v144, 29, v144
	s_delay_alu instid0(VALU_DEP_2) | instskip(NEXT) | instid1(VALU_DEP_2)
	v_lshlrev_b32_e32 v145, v145, v12
	v_cndmask_b32_e64 v144, v146, v144, s13
	s_delay_alu instid0(VALU_DEP_2) | instskip(NEXT) | instid1(VALU_DEP_2)
	v_and_b32_e32 v145, 7, v145
	v_lshl_add_u32 v144, v144, 23, 0x3b800000
	s_delay_alu instid0(VALU_DEP_2) | instskip(SKIP_1) | instid1(VALU_DEP_2)
	v_cndmask_b32_e64 v135, v135, v145, s13
	v_and_b32_e32 v145, 0x80000000, v147
	v_lshlrev_b32_e32 v135, 20, v135
	s_delay_alu instid0(VALU_DEP_1)
	v_or3_b32 v135, v145, v144, v135
.LBB2_2660:                             ;   in Loop: Header=BB2_2656 Depth=3
	s_or_b32 exec_lo, exec_lo, s14
	s_waitcnt vmcnt(0)
	v_and_b32_e32 v145, 0xff, v8
	s_mov_b32 s3, 0
	s_mov_b32 s17, exec_lo
                                        ; implicit-def: $sgpr14
	s_delay_alu instid0(VALU_DEP_1)
	v_cmpx_lt_i16_e64 0x7f, v145
	s_xor_b32 s17, exec_lo, s17
	s_cbranch_execnz .LBB2_2914
; %bb.2661:                             ;   in Loop: Header=BB2_2656 Depth=3
	s_or_saveexec_b32 s17, s17
	v_mov_b32_e32 v144, s14
	s_xor_b32 exec_lo, exec_lo, s17
	s_cbranch_execnz .LBB2_2917
.LBB2_2662:                             ;   in Loop: Header=BB2_2656 Depth=3
	s_or_b32 exec_lo, exec_lo, s17
	s_and_saveexec_b32 s14, s3
	s_cbranch_execz .LBB2_2664
.LBB2_2663:                             ;   in Loop: Header=BB2_2656 Depth=3
	v_and_b32_e32 v144, 7, v8
	v_bfe_u32 v147, v8, 3, 4
	v_lshlrev_b32_e32 v148, 24, v8
	s_delay_alu instid0(VALU_DEP_3) | instskip(NEXT) | instid1(VALU_DEP_3)
	v_clz_i32_u32_e32 v145, v144
	v_cmp_eq_u32_e64 s13, 0, v147
	s_delay_alu instid0(VALU_DEP_2) | instskip(NEXT) | instid1(VALU_DEP_1)
	v_min_u32_e32 v145, 32, v145
	v_subrev_nc_u32_e32 v146, 28, v145
	v_sub_nc_u32_e32 v145, 29, v145
	s_delay_alu instid0(VALU_DEP_2) | instskip(NEXT) | instid1(VALU_DEP_2)
	v_lshlrev_b32_e32 v146, v146, v8
	v_cndmask_b32_e64 v145, v147, v145, s13
	s_delay_alu instid0(VALU_DEP_2) | instskip(NEXT) | instid1(VALU_DEP_2)
	v_and_b32_e32 v146, 7, v146
	v_lshl_add_u32 v145, v145, 23, 0x3b800000
	s_delay_alu instid0(VALU_DEP_2) | instskip(SKIP_1) | instid1(VALU_DEP_2)
	v_cndmask_b32_e64 v144, v144, v146, s13
	v_and_b32_e32 v146, 0x80000000, v148
	v_lshlrev_b32_e32 v144, 20, v144
	s_delay_alu instid0(VALU_DEP_1)
	v_or3_b32 v144, v146, v145, v144
.LBB2_2664:                             ;   in Loop: Header=BB2_2656 Depth=3
	s_or_b32 exec_lo, exec_lo, s14
	s_delay_alu instid0(VALU_DEP_1) | instskip(NEXT) | instid1(VALU_DEP_1)
	v_add_f32_e32 v144, v135, v144
	v_and_b32_e32 v135, 0x7f800000, v144
	s_delay_alu instid0(VALU_DEP_1) | instskip(SKIP_1) | instid1(VALU_DEP_2)
	v_cmp_ne_u32_e64 s13, 0x7f800000, v135
	v_mov_b32_e32 v135, 0x80
	s_and_saveexec_b32 s3, s13
	s_cbranch_execz .LBB2_2672
; %bb.2665:                             ;   in Loop: Header=BB2_2656 Depth=3
	v_mov_b32_e32 v135, 0
	s_mov_b32 s17, exec_lo
	v_cmpx_ne_u32_e32 0, v144
	s_cbranch_execz .LBB2_2671
; %bb.2666:                             ;   in Loop: Header=BB2_2656 Depth=3
	v_bfe_u32 v135, v144, 23, 8
	v_and_b32_e32 v145, 0x7fffff, v144
	s_delay_alu instid0(VALU_DEP_2) | instskip(SKIP_1) | instid1(VALU_DEP_3)
	v_sub_nc_u32_e32 v146, 0x78, v135
	v_cmp_gt_u32_e64 s13, 0x79, v135
	v_or_b32_e32 v147, 0x800000, v145
	s_delay_alu instid0(VALU_DEP_2) | instskip(SKIP_2) | instid1(VALU_DEP_2)
	v_cndmask_b32_e64 v146, 0, v146, s13
	v_cmp_eq_u32_e64 s13, 0, v135
	v_add_nc_u32_e32 v135, 0xffffff89, v135
	v_cndmask_b32_e64 v146, v146, 0x77, s13
	v_cndmask_b32_e64 v145, v147, v145, s13
	s_delay_alu instid0(VALU_DEP_3) | instskip(NEXT) | instid1(VALU_DEP_3)
	v_cndmask_b32_e64 v135, v135, 0xffffff8a, s13
	v_lshl_add_u32 v147, 0x100000, v146, -1
	s_delay_alu instid0(VALU_DEP_3) | instskip(SKIP_1) | instid1(VALU_DEP_4)
	v_lshrrev_b32_e32 v148, v146, v145
	v_lshlrev_b32_e64 v150, v146, 0x80000
	v_add_nc_u32_e32 v146, v146, v135
	s_delay_alu instid0(VALU_DEP_4) | instskip(NEXT) | instid1(VALU_DEP_4)
	v_and_b32_e32 v145, v147, v145
	v_bfe_u32 v149, v148, 20, 1
	s_delay_alu instid0(VALU_DEP_2) | instskip(NEXT) | instid1(VALU_DEP_2)
	v_cmp_eq_u32_e64 s14, v145, v150
	v_add_nc_u32_e32 v147, -1, v149
	s_delay_alu instid0(VALU_DEP_1) | instskip(SKIP_2) | instid1(VALU_DEP_2)
	v_cndmask_b32_e64 v145, 0, v147, s14
	v_lshrrev_b32_e32 v147, 23, v148
	s_mov_b32 s14, exec_lo
	v_add_nc_u32_e32 v145, v145, v148
	s_delay_alu instid0(VALU_DEP_2) | instskip(NEXT) | instid1(VALU_DEP_2)
	v_xor_b32_e32 v147, 1, v147
	v_and_b32_e32 v135, 0xfffff, v145
	s_delay_alu instid0(VALU_DEP_1) | instskip(NEXT) | instid1(VALU_DEP_3)
	v_add_nc_u32_e32 v145, v135, v148
                                        ; implicit-def: $vgpr135
	v_cmpx_ne_u32_e64 v146, v147
	s_xor_b32 s14, exec_lo, s14
; %bb.2667:                             ;   in Loop: Header=BB2_2656 Depth=3
	s_delay_alu instid0(VALU_DEP_2) | instskip(SKIP_1) | instid1(VALU_DEP_2)
	v_cmp_lt_u32_e64 s13, 0xffffff, v145
	v_sub_nc_u32_e32 v135, v146, v147
	v_cndmask_b32_e64 v146, 0, 1, s13
	s_delay_alu instid0(VALU_DEP_2) | instskip(NEXT) | instid1(VALU_DEP_2)
	v_add_co_ci_u32_e64 v135, s13, 0, v135, s13
	v_lshrrev_b32_e32 v145, v146, v145
; %bb.2668:                             ;   in Loop: Header=BB2_2656 Depth=3
	s_and_not1_saveexec_b32 s13, s14
; %bb.2669:                             ;   in Loop: Header=BB2_2656 Depth=3
	s_delay_alu instid0(VALU_DEP_1)
	v_bfe_u32 v135, v145, 23, 1
; %bb.2670:                             ;   in Loop: Header=BB2_2656 Depth=3
	s_or_b32 exec_lo, exec_lo, s13
	v_lshrrev_b32_e32 v145, 20, v145
	s_delay_alu instid0(VALU_DEP_2) | instskip(SKIP_2) | instid1(VALU_DEP_3)
	v_cmp_gt_i32_e64 s13, 16, v135
	v_lshrrev_b32_e32 v144, 24, v144
	v_min_i32_e32 v146, 15, v135
	v_cndmask_b32_e64 v145, 7, v145, s13
	s_delay_alu instid0(VALU_DEP_3) | instskip(NEXT) | instid1(VALU_DEP_3)
	v_and_b32_e32 v144, 0x80, v144
	v_lshlrev_b32_e32 v146, 3, v146
	s_delay_alu instid0(VALU_DEP_3) | instskip(SKIP_1) | instid1(VALU_DEP_2)
	v_and_b32_e32 v147, 7, v145
	v_or_b32_e32 v135, v135, v145
	v_or3_b32 v144, v146, v144, v147
	s_delay_alu instid0(VALU_DEP_2) | instskip(NEXT) | instid1(VALU_DEP_1)
	v_cmp_ne_u32_e64 s13, 0, v135
	v_cndmask_b32_e64 v135, 0, v144, s13
.LBB2_2671:                             ;   in Loop: Header=BB2_2656 Depth=3
	s_or_b32 exec_lo, exec_lo, s17
.LBB2_2672:                             ;   in Loop: Header=BB2_2656 Depth=3
	s_delay_alu instid0(SALU_CYCLE_1) | instskip(SKIP_3) | instid1(VALU_DEP_1)
	s_or_b32 exec_lo, exec_lo, s3
	v_lshrrev_b16 v145, 8, v12
	s_mov_b32 s3, 0
	s_mov_b32 s17, exec_lo
                                        ; implicit-def: $sgpr14
	v_cmpx_lt_i16_e64 0x7f, v145
	s_xor_b32 s17, exec_lo, s17
	s_cbranch_execnz .LBB2_2918
; %bb.2673:                             ;   in Loop: Header=BB2_2656 Depth=3
	s_or_saveexec_b32 s17, s17
	v_mov_b32_e32 v144, s14
	s_xor_b32 exec_lo, exec_lo, s17
	s_cbranch_execnz .LBB2_2921
.LBB2_2674:                             ;   in Loop: Header=BB2_2656 Depth=3
	s_or_b32 exec_lo, exec_lo, s17
	s_and_saveexec_b32 s14, s3
	s_cbranch_execz .LBB2_2676
.LBB2_2675:                             ;   in Loop: Header=BB2_2656 Depth=3
	v_and_b32_e32 v144, 0xffff, v145
	v_lshlrev_b32_e32 v145, 24, v145
	s_delay_alu instid0(VALU_DEP_2) | instskip(NEXT) | instid1(VALU_DEP_2)
	v_and_b32_e32 v146, 7, v144
	v_and_b32_e32 v145, 0x80000000, v145
	s_delay_alu instid0(VALU_DEP_2) | instskip(NEXT) | instid1(VALU_DEP_1)
	v_clz_i32_u32_e32 v147, v146
	v_min_u32_e32 v147, 32, v147
	s_delay_alu instid0(VALU_DEP_1) | instskip(SKIP_1) | instid1(VALU_DEP_2)
	v_subrev_nc_u32_e32 v148, 28, v147
	v_sub_nc_u32_e32 v147, 29, v147
	v_lshlrev_b32_e32 v148, v148, v144
	v_bfe_u32 v144, v144, 3, 4
	s_delay_alu instid0(VALU_DEP_2) | instskip(NEXT) | instid1(VALU_DEP_2)
	v_and_b32_e32 v148, 7, v148
	v_cmp_eq_u32_e64 s13, 0, v144
	s_delay_alu instid0(VALU_DEP_1) | instskip(NEXT) | instid1(VALU_DEP_3)
	v_cndmask_b32_e64 v144, v144, v147, s13
	v_cndmask_b32_e64 v146, v146, v148, s13
	s_delay_alu instid0(VALU_DEP_2) | instskip(NEXT) | instid1(VALU_DEP_2)
	v_lshl_add_u32 v144, v144, 23, 0x3b800000
	v_lshlrev_b32_e32 v146, 20, v146
	s_delay_alu instid0(VALU_DEP_1)
	v_or3_b32 v144, v145, v144, v146
.LBB2_2676:                             ;   in Loop: Header=BB2_2656 Depth=3
	s_or_b32 exec_lo, exec_lo, s14
	v_lshrrev_b16 v145, 8, v8
	s_mov_b32 s3, 0
	s_mov_b32 s17, exec_lo
                                        ; implicit-def: $sgpr14
	s_delay_alu instid0(VALU_DEP_1)
	v_cmpx_lt_i16_e64 0x7f, v145
	s_xor_b32 s17, exec_lo, s17
	s_cbranch_execnz .LBB2_2922
; %bb.2677:                             ;   in Loop: Header=BB2_2656 Depth=3
	s_or_saveexec_b32 s17, s17
	v_mov_b32_e32 v146, s14
	s_xor_b32 exec_lo, exec_lo, s17
	s_cbranch_execnz .LBB2_2925
.LBB2_2678:                             ;   in Loop: Header=BB2_2656 Depth=3
	s_or_b32 exec_lo, exec_lo, s17
	s_and_saveexec_b32 s14, s3
	s_cbranch_execz .LBB2_2680
.LBB2_2679:                             ;   in Loop: Header=BB2_2656 Depth=3
	v_and_b32_e32 v146, 0xffff, v145
	v_lshlrev_b32_e32 v145, 24, v145
	s_delay_alu instid0(VALU_DEP_2) | instskip(NEXT) | instid1(VALU_DEP_2)
	v_and_b32_e32 v147, 7, v146
	v_and_b32_e32 v145, 0x80000000, v145
	s_delay_alu instid0(VALU_DEP_2) | instskip(NEXT) | instid1(VALU_DEP_1)
	v_clz_i32_u32_e32 v148, v147
	v_min_u32_e32 v148, 32, v148
	s_delay_alu instid0(VALU_DEP_1) | instskip(SKIP_1) | instid1(VALU_DEP_2)
	v_subrev_nc_u32_e32 v149, 28, v148
	v_sub_nc_u32_e32 v148, 29, v148
	v_lshlrev_b32_e32 v149, v149, v146
	v_bfe_u32 v146, v146, 3, 4
	s_delay_alu instid0(VALU_DEP_2) | instskip(NEXT) | instid1(VALU_DEP_2)
	v_and_b32_e32 v149, 7, v149
	v_cmp_eq_u32_e64 s13, 0, v146
	s_delay_alu instid0(VALU_DEP_1) | instskip(NEXT) | instid1(VALU_DEP_3)
	v_cndmask_b32_e64 v146, v146, v148, s13
	v_cndmask_b32_e64 v147, v147, v149, s13
	s_delay_alu instid0(VALU_DEP_2) | instskip(NEXT) | instid1(VALU_DEP_2)
	v_lshl_add_u32 v146, v146, 23, 0x3b800000
	v_lshlrev_b32_e32 v147, 20, v147
	s_delay_alu instid0(VALU_DEP_1)
	v_or3_b32 v146, v145, v146, v147
.LBB2_2680:                             ;   in Loop: Header=BB2_2656 Depth=3
	s_or_b32 exec_lo, exec_lo, s14
	s_delay_alu instid0(VALU_DEP_1) | instskip(NEXT) | instid1(VALU_DEP_1)
	v_add_f32_e32 v145, v144, v146
	v_and_b32_e32 v144, 0x7f800000, v145
	s_delay_alu instid0(VALU_DEP_1) | instskip(SKIP_1) | instid1(VALU_DEP_2)
	v_cmp_ne_u32_e64 s13, 0x7f800000, v144
	v_mov_b32_e32 v144, 0x80
	s_and_saveexec_b32 s3, s13
	s_cbranch_execz .LBB2_2688
; %bb.2681:                             ;   in Loop: Header=BB2_2656 Depth=3
	v_mov_b32_e32 v144, 0
	s_mov_b32 s17, exec_lo
	v_cmpx_ne_u32_e32 0, v145
	s_cbranch_execz .LBB2_2687
; %bb.2682:                             ;   in Loop: Header=BB2_2656 Depth=3
	v_bfe_u32 v144, v145, 23, 8
	v_and_b32_e32 v146, 0x7fffff, v145
	s_delay_alu instid0(VALU_DEP_2) | instskip(SKIP_1) | instid1(VALU_DEP_3)
	v_sub_nc_u32_e32 v147, 0x78, v144
	v_cmp_gt_u32_e64 s13, 0x79, v144
	v_or_b32_e32 v148, 0x800000, v146
	s_delay_alu instid0(VALU_DEP_2) | instskip(SKIP_2) | instid1(VALU_DEP_2)
	v_cndmask_b32_e64 v147, 0, v147, s13
	v_cmp_eq_u32_e64 s13, 0, v144
	v_add_nc_u32_e32 v144, 0xffffff89, v144
	v_cndmask_b32_e64 v147, v147, 0x77, s13
	v_cndmask_b32_e64 v146, v148, v146, s13
	s_delay_alu instid0(VALU_DEP_3) | instskip(NEXT) | instid1(VALU_DEP_3)
	v_cndmask_b32_e64 v144, v144, 0xffffff8a, s13
	v_lshl_add_u32 v148, 0x100000, v147, -1
	s_delay_alu instid0(VALU_DEP_3) | instskip(SKIP_1) | instid1(VALU_DEP_4)
	v_lshrrev_b32_e32 v149, v147, v146
	v_lshlrev_b32_e64 v151, v147, 0x80000
	v_add_nc_u32_e32 v147, v147, v144
	s_delay_alu instid0(VALU_DEP_4) | instskip(NEXT) | instid1(VALU_DEP_4)
	v_and_b32_e32 v146, v148, v146
	v_bfe_u32 v150, v149, 20, 1
	s_delay_alu instid0(VALU_DEP_2) | instskip(NEXT) | instid1(VALU_DEP_2)
	v_cmp_eq_u32_e64 s14, v146, v151
	v_add_nc_u32_e32 v148, -1, v150
	s_delay_alu instid0(VALU_DEP_1) | instskip(SKIP_2) | instid1(VALU_DEP_2)
	v_cndmask_b32_e64 v146, 0, v148, s14
	v_lshrrev_b32_e32 v148, 23, v149
	s_mov_b32 s14, exec_lo
	v_add_nc_u32_e32 v146, v146, v149
	s_delay_alu instid0(VALU_DEP_2) | instskip(NEXT) | instid1(VALU_DEP_2)
	v_xor_b32_e32 v148, 1, v148
	v_and_b32_e32 v144, 0xfffff, v146
	s_delay_alu instid0(VALU_DEP_1) | instskip(NEXT) | instid1(VALU_DEP_3)
	v_add_nc_u32_e32 v146, v144, v149
                                        ; implicit-def: $vgpr144
	v_cmpx_ne_u32_e64 v147, v148
	s_xor_b32 s14, exec_lo, s14
; %bb.2683:                             ;   in Loop: Header=BB2_2656 Depth=3
	s_delay_alu instid0(VALU_DEP_2) | instskip(SKIP_1) | instid1(VALU_DEP_2)
	v_cmp_lt_u32_e64 s13, 0xffffff, v146
	v_sub_nc_u32_e32 v144, v147, v148
	v_cndmask_b32_e64 v147, 0, 1, s13
	s_delay_alu instid0(VALU_DEP_2) | instskip(NEXT) | instid1(VALU_DEP_2)
	v_add_co_ci_u32_e64 v144, s13, 0, v144, s13
	v_lshrrev_b32_e32 v146, v147, v146
; %bb.2684:                             ;   in Loop: Header=BB2_2656 Depth=3
	s_and_not1_saveexec_b32 s13, s14
; %bb.2685:                             ;   in Loop: Header=BB2_2656 Depth=3
	s_delay_alu instid0(VALU_DEP_1)
	v_bfe_u32 v144, v146, 23, 1
; %bb.2686:                             ;   in Loop: Header=BB2_2656 Depth=3
	s_or_b32 exec_lo, exec_lo, s13
	v_lshrrev_b32_e32 v146, 20, v146
	s_delay_alu instid0(VALU_DEP_2) | instskip(SKIP_2) | instid1(VALU_DEP_3)
	v_cmp_gt_i32_e64 s13, 16, v144
	v_lshrrev_b32_e32 v145, 24, v145
	v_min_i32_e32 v147, 15, v144
	v_cndmask_b32_e64 v146, 7, v146, s13
	s_delay_alu instid0(VALU_DEP_3) | instskip(NEXT) | instid1(VALU_DEP_3)
	v_and_b32_e32 v145, 0x80, v145
	v_lshlrev_b32_e32 v147, 3, v147
	s_delay_alu instid0(VALU_DEP_3) | instskip(SKIP_1) | instid1(VALU_DEP_2)
	v_and_b32_e32 v148, 7, v146
	v_or_b32_e32 v144, v144, v146
	v_or3_b32 v145, v147, v145, v148
	s_delay_alu instid0(VALU_DEP_2) | instskip(NEXT) | instid1(VALU_DEP_1)
	v_cmp_ne_u32_e64 s13, 0, v144
	v_cndmask_b32_e64 v144, 0, v145, s13
.LBB2_2687:                             ;   in Loop: Header=BB2_2656 Depth=3
	s_or_b32 exec_lo, exec_lo, s17
.LBB2_2688:                             ;   in Loop: Header=BB2_2656 Depth=3
	s_delay_alu instid0(SALU_CYCLE_1) | instskip(SKIP_3) | instid1(VALU_DEP_1)
	s_or_b32 exec_lo, exec_lo, s3
	v_lshrrev_b32_e32 v146, 16, v12
	s_mov_b32 s3, 0
	s_mov_b32 s17, exec_lo
                                        ; implicit-def: $sgpr14
	v_and_b32_e32 v147, 0xff, v146
	s_delay_alu instid0(VALU_DEP_1)
	v_cmpx_lt_i16_e64 0x7f, v147
	s_xor_b32 s17, exec_lo, s17
	s_cbranch_execnz .LBB2_2926
; %bb.2689:                             ;   in Loop: Header=BB2_2656 Depth=3
	s_or_saveexec_b32 s17, s17
	v_mov_b32_e32 v145, s14
	s_xor_b32 exec_lo, exec_lo, s17
	s_cbranch_execnz .LBB2_2929
.LBB2_2690:                             ;   in Loop: Header=BB2_2656 Depth=3
	s_or_b32 exec_lo, exec_lo, s17
	s_and_saveexec_b32 s14, s3
	s_cbranch_execz .LBB2_2692
.LBB2_2691:                             ;   in Loop: Header=BB2_2656 Depth=3
	v_bfe_u32 v145, v12, 16, 3
	v_lshlrev_b32_e32 v149, 8, v12
	s_delay_alu instid0(VALU_DEP_2) | instskip(NEXT) | instid1(VALU_DEP_1)
	v_clz_i32_u32_e32 v147, v145
	v_min_u32_e32 v147, 32, v147
	s_delay_alu instid0(VALU_DEP_1) | instskip(SKIP_1) | instid1(VALU_DEP_2)
	v_subrev_nc_u32_e32 v148, 28, v147
	v_sub_nc_u32_e32 v147, 29, v147
	v_lshlrev_b32_e32 v146, v148, v146
	v_bfe_u32 v148, v12, 19, 4
	s_delay_alu instid0(VALU_DEP_2) | instskip(NEXT) | instid1(VALU_DEP_2)
	v_and_b32_e32 v146, 7, v146
	v_cmp_eq_u32_e64 s13, 0, v148
	s_delay_alu instid0(VALU_DEP_1) | instskip(NEXT) | instid1(VALU_DEP_3)
	v_cndmask_b32_e64 v147, v148, v147, s13
	v_cndmask_b32_e64 v145, v145, v146, s13
	v_and_b32_e32 v146, 0x80000000, v149
	s_delay_alu instid0(VALU_DEP_3) | instskip(NEXT) | instid1(VALU_DEP_3)
	v_lshl_add_u32 v147, v147, 23, 0x3b800000
	v_lshlrev_b32_e32 v145, 20, v145
	s_delay_alu instid0(VALU_DEP_1)
	v_or3_b32 v145, v146, v147, v145
.LBB2_2692:                             ;   in Loop: Header=BB2_2656 Depth=3
	s_or_b32 exec_lo, exec_lo, s14
	v_lshrrev_b32_e32 v146, 16, v8
	s_mov_b32 s3, 0
	s_mov_b32 s17, exec_lo
                                        ; implicit-def: $sgpr14
	s_delay_alu instid0(VALU_DEP_1) | instskip(NEXT) | instid1(VALU_DEP_1)
	v_and_b32_e32 v148, 0xff, v146
	v_cmpx_lt_i16_e64 0x7f, v148
	s_xor_b32 s17, exec_lo, s17
	s_cbranch_execnz .LBB2_2930
; %bb.2693:                             ;   in Loop: Header=BB2_2656 Depth=3
	s_or_saveexec_b32 s17, s17
	v_mov_b32_e32 v147, s14
	s_xor_b32 exec_lo, exec_lo, s17
	s_cbranch_execnz .LBB2_2933
.LBB2_2694:                             ;   in Loop: Header=BB2_2656 Depth=3
	s_or_b32 exec_lo, exec_lo, s17
	s_and_saveexec_b32 s14, s3
	s_cbranch_execz .LBB2_2696
.LBB2_2695:                             ;   in Loop: Header=BB2_2656 Depth=3
	v_bfe_u32 v147, v8, 16, 3
	v_lshlrev_b32_e32 v150, 8, v8
	s_delay_alu instid0(VALU_DEP_2) | instskip(NEXT) | instid1(VALU_DEP_1)
	v_clz_i32_u32_e32 v148, v147
	v_min_u32_e32 v148, 32, v148
	s_delay_alu instid0(VALU_DEP_1) | instskip(SKIP_1) | instid1(VALU_DEP_2)
	v_subrev_nc_u32_e32 v149, 28, v148
	v_sub_nc_u32_e32 v148, 29, v148
	v_lshlrev_b32_e32 v146, v149, v146
	v_bfe_u32 v149, v8, 19, 4
	s_delay_alu instid0(VALU_DEP_2) | instskip(NEXT) | instid1(VALU_DEP_2)
	v_and_b32_e32 v146, 7, v146
	v_cmp_eq_u32_e64 s13, 0, v149
	s_delay_alu instid0(VALU_DEP_1) | instskip(NEXT) | instid1(VALU_DEP_3)
	v_cndmask_b32_e64 v148, v149, v148, s13
	v_cndmask_b32_e64 v146, v147, v146, s13
	v_and_b32_e32 v147, 0x80000000, v150
	s_delay_alu instid0(VALU_DEP_3) | instskip(NEXT) | instid1(VALU_DEP_3)
	v_lshl_add_u32 v148, v148, 23, 0x3b800000
	v_lshlrev_b32_e32 v146, 20, v146
	s_delay_alu instid0(VALU_DEP_1)
	v_or3_b32 v147, v147, v148, v146
.LBB2_2696:                             ;   in Loop: Header=BB2_2656 Depth=3
	s_or_b32 exec_lo, exec_lo, s14
	s_delay_alu instid0(VALU_DEP_1) | instskip(NEXT) | instid1(VALU_DEP_1)
	v_add_f32_e32 v146, v145, v147
	v_and_b32_e32 v145, 0x7f800000, v146
	s_delay_alu instid0(VALU_DEP_1) | instskip(SKIP_1) | instid1(VALU_DEP_2)
	v_cmp_ne_u32_e64 s13, 0x7f800000, v145
	v_mov_b32_e32 v145, 0x80
	s_and_saveexec_b32 s3, s13
	s_cbranch_execz .LBB2_2704
; %bb.2697:                             ;   in Loop: Header=BB2_2656 Depth=3
	v_mov_b32_e32 v145, 0
	s_mov_b32 s17, exec_lo
	v_cmpx_ne_u32_e32 0, v146
	s_cbranch_execz .LBB2_2703
; %bb.2698:                             ;   in Loop: Header=BB2_2656 Depth=3
	v_bfe_u32 v145, v146, 23, 8
	v_and_b32_e32 v147, 0x7fffff, v146
	s_delay_alu instid0(VALU_DEP_2) | instskip(SKIP_1) | instid1(VALU_DEP_3)
	v_sub_nc_u32_e32 v148, 0x78, v145
	v_cmp_gt_u32_e64 s13, 0x79, v145
	v_or_b32_e32 v149, 0x800000, v147
	s_delay_alu instid0(VALU_DEP_2) | instskip(SKIP_2) | instid1(VALU_DEP_2)
	v_cndmask_b32_e64 v148, 0, v148, s13
	v_cmp_eq_u32_e64 s13, 0, v145
	v_add_nc_u32_e32 v145, 0xffffff89, v145
	v_cndmask_b32_e64 v148, v148, 0x77, s13
	v_cndmask_b32_e64 v147, v149, v147, s13
	s_delay_alu instid0(VALU_DEP_3) | instskip(NEXT) | instid1(VALU_DEP_3)
	v_cndmask_b32_e64 v145, v145, 0xffffff8a, s13
	v_lshl_add_u32 v149, 0x100000, v148, -1
	s_delay_alu instid0(VALU_DEP_3) | instskip(SKIP_1) | instid1(VALU_DEP_4)
	v_lshrrev_b32_e32 v150, v148, v147
	v_lshlrev_b32_e64 v160, v148, 0x80000
	v_add_nc_u32_e32 v148, v148, v145
	s_delay_alu instid0(VALU_DEP_4) | instskip(NEXT) | instid1(VALU_DEP_4)
	v_and_b32_e32 v147, v149, v147
	v_bfe_u32 v151, v150, 20, 1
	s_delay_alu instid0(VALU_DEP_2) | instskip(NEXT) | instid1(VALU_DEP_2)
	v_cmp_eq_u32_e64 s14, v147, v160
	v_add_nc_u32_e32 v149, -1, v151
	s_delay_alu instid0(VALU_DEP_1) | instskip(SKIP_2) | instid1(VALU_DEP_2)
	v_cndmask_b32_e64 v147, 0, v149, s14
	v_lshrrev_b32_e32 v149, 23, v150
	s_mov_b32 s14, exec_lo
	v_add_nc_u32_e32 v147, v147, v150
	s_delay_alu instid0(VALU_DEP_2) | instskip(NEXT) | instid1(VALU_DEP_2)
	v_xor_b32_e32 v149, 1, v149
	v_and_b32_e32 v145, 0xfffff, v147
	s_delay_alu instid0(VALU_DEP_1) | instskip(NEXT) | instid1(VALU_DEP_3)
	v_add_nc_u32_e32 v147, v145, v150
                                        ; implicit-def: $vgpr145
	v_cmpx_ne_u32_e64 v148, v149
	s_xor_b32 s14, exec_lo, s14
; %bb.2699:                             ;   in Loop: Header=BB2_2656 Depth=3
	s_delay_alu instid0(VALU_DEP_2) | instskip(SKIP_1) | instid1(VALU_DEP_2)
	v_cmp_lt_u32_e64 s13, 0xffffff, v147
	v_sub_nc_u32_e32 v145, v148, v149
	v_cndmask_b32_e64 v148, 0, 1, s13
	s_delay_alu instid0(VALU_DEP_2) | instskip(NEXT) | instid1(VALU_DEP_2)
	v_add_co_ci_u32_e64 v145, s13, 0, v145, s13
	v_lshrrev_b32_e32 v147, v148, v147
; %bb.2700:                             ;   in Loop: Header=BB2_2656 Depth=3
	s_and_not1_saveexec_b32 s13, s14
; %bb.2701:                             ;   in Loop: Header=BB2_2656 Depth=3
	s_delay_alu instid0(VALU_DEP_1)
	v_bfe_u32 v145, v147, 23, 1
; %bb.2702:                             ;   in Loop: Header=BB2_2656 Depth=3
	s_or_b32 exec_lo, exec_lo, s13
	v_lshrrev_b32_e32 v147, 20, v147
	s_delay_alu instid0(VALU_DEP_2) | instskip(SKIP_2) | instid1(VALU_DEP_3)
	v_cmp_gt_i32_e64 s13, 16, v145
	v_lshrrev_b32_e32 v146, 24, v146
	v_min_i32_e32 v148, 15, v145
	v_cndmask_b32_e64 v147, 7, v147, s13
	s_delay_alu instid0(VALU_DEP_3) | instskip(NEXT) | instid1(VALU_DEP_3)
	v_and_b32_e32 v146, 0x80, v146
	v_lshlrev_b32_e32 v148, 3, v148
	s_delay_alu instid0(VALU_DEP_3) | instskip(SKIP_1) | instid1(VALU_DEP_2)
	v_and_b32_e32 v149, 7, v147
	v_or_b32_e32 v145, v145, v147
	v_or3_b32 v146, v148, v146, v149
	s_delay_alu instid0(VALU_DEP_2) | instskip(NEXT) | instid1(VALU_DEP_1)
	v_cmp_ne_u32_e64 s13, 0, v145
	v_cndmask_b32_e64 v145, 0, v146, s13
.LBB2_2703:                             ;   in Loop: Header=BB2_2656 Depth=3
	s_or_b32 exec_lo, exec_lo, s17
.LBB2_2704:                             ;   in Loop: Header=BB2_2656 Depth=3
	s_delay_alu instid0(SALU_CYCLE_1) | instskip(SKIP_3) | instid1(VALU_DEP_1)
	s_or_b32 exec_lo, exec_lo, s3
	v_lshrrev_b32_e32 v147, 24, v12
	s_mov_b32 s3, 0
	s_mov_b32 s17, exec_lo
                                        ; implicit-def: $sgpr14
	v_cmpx_lt_i16_e64 0x7f, v147
	s_xor_b32 s17, exec_lo, s17
	s_cbranch_execnz .LBB2_2934
; %bb.2705:                             ;   in Loop: Header=BB2_2656 Depth=3
	s_or_saveexec_b32 s17, s17
	v_mov_b32_e32 v146, s14
	s_xor_b32 exec_lo, exec_lo, s17
	s_cbranch_execnz .LBB2_2937
.LBB2_2706:                             ;   in Loop: Header=BB2_2656 Depth=3
	s_or_b32 exec_lo, exec_lo, s17
	s_and_saveexec_b32 s14, s3
	s_cbranch_execz .LBB2_2708
.LBB2_2707:                             ;   in Loop: Header=BB2_2656 Depth=3
	v_bfe_u32 v146, v12, 24, 3
	s_delay_alu instid0(VALU_DEP_1) | instskip(NEXT) | instid1(VALU_DEP_1)
	v_clz_i32_u32_e32 v148, v146
	v_min_u32_e32 v148, 32, v148
	s_delay_alu instid0(VALU_DEP_1) | instskip(SKIP_1) | instid1(VALU_DEP_2)
	v_subrev_nc_u32_e32 v149, 28, v148
	v_sub_nc_u32_e32 v148, 29, v148
	v_lshlrev_b32_e32 v147, v149, v147
	v_bfe_u32 v149, v12, 27, 4
	v_and_b32_e32 v12, 0x80000000, v12
	s_delay_alu instid0(VALU_DEP_3) | instskip(NEXT) | instid1(VALU_DEP_3)
	v_and_b32_e32 v147, 7, v147
	v_cmp_eq_u32_e64 s13, 0, v149
	s_delay_alu instid0(VALU_DEP_1) | instskip(NEXT) | instid1(VALU_DEP_3)
	v_cndmask_b32_e64 v148, v149, v148, s13
	v_cndmask_b32_e64 v146, v146, v147, s13
	s_delay_alu instid0(VALU_DEP_2) | instskip(NEXT) | instid1(VALU_DEP_2)
	v_lshl_add_u32 v147, v148, 23, 0x3b800000
	v_lshlrev_b32_e32 v146, 20, v146
	s_delay_alu instid0(VALU_DEP_1)
	v_or3_b32 v146, v12, v147, v146
.LBB2_2708:                             ;   in Loop: Header=BB2_2656 Depth=3
	s_or_b32 exec_lo, exec_lo, s14
	v_lshrrev_b32_e32 v12, 24, v8
	s_mov_b32 s3, 0
	s_mov_b32 s17, exec_lo
                                        ; implicit-def: $sgpr14
	s_delay_alu instid0(VALU_DEP_1)
	v_cmpx_lt_i16_e32 0x7f, v12
	s_xor_b32 s17, exec_lo, s17
	s_cbranch_execnz .LBB2_2938
; %bb.2709:                             ;   in Loop: Header=BB2_2656 Depth=3
	s_or_saveexec_b32 s17, s17
	v_mov_b32_e32 v147, s14
	s_xor_b32 exec_lo, exec_lo, s17
	s_cbranch_execnz .LBB2_2941
.LBB2_2710:                             ;   in Loop: Header=BB2_2656 Depth=3
	s_or_b32 exec_lo, exec_lo, s17
	s_and_saveexec_b32 s14, s3
	s_cbranch_execz .LBB2_2712
.LBB2_2711:                             ;   in Loop: Header=BB2_2656 Depth=3
	v_bfe_u32 v147, v8, 24, 3
	s_delay_alu instid0(VALU_DEP_1) | instskip(NEXT) | instid1(VALU_DEP_1)
	v_clz_i32_u32_e32 v148, v147
	v_min_u32_e32 v148, 32, v148
	s_delay_alu instid0(VALU_DEP_1) | instskip(SKIP_1) | instid1(VALU_DEP_2)
	v_subrev_nc_u32_e32 v149, 28, v148
	v_sub_nc_u32_e32 v148, 29, v148
	v_lshlrev_b32_e32 v12, v149, v12
	v_bfe_u32 v149, v8, 27, 4
	v_and_b32_e32 v8, 0x80000000, v8
	s_delay_alu instid0(VALU_DEP_3) | instskip(NEXT) | instid1(VALU_DEP_3)
	v_and_b32_e32 v12, 7, v12
	v_cmp_eq_u32_e64 s13, 0, v149
	s_delay_alu instid0(VALU_DEP_1) | instskip(NEXT) | instid1(VALU_DEP_3)
	v_cndmask_b32_e64 v148, v149, v148, s13
	v_cndmask_b32_e64 v12, v147, v12, s13
	s_delay_alu instid0(VALU_DEP_2) | instskip(NEXT) | instid1(VALU_DEP_2)
	v_lshl_add_u32 v147, v148, 23, 0x3b800000
	v_lshlrev_b32_e32 v12, 20, v12
	s_delay_alu instid0(VALU_DEP_1)
	v_or3_b32 v147, v8, v147, v12
.LBB2_2712:                             ;   in Loop: Header=BB2_2656 Depth=3
	s_or_b32 exec_lo, exec_lo, s14
	s_delay_alu instid0(VALU_DEP_1) | instskip(NEXT) | instid1(VALU_DEP_1)
	v_add_f32_e32 v12, v146, v147
	v_and_b32_e32 v8, 0x7f800000, v12
	s_delay_alu instid0(VALU_DEP_1) | instskip(SKIP_1) | instid1(VALU_DEP_2)
	v_cmp_ne_u32_e64 s13, 0x7f800000, v8
	v_mov_b32_e32 v8, 0x80
	s_and_saveexec_b32 s3, s13
	s_cbranch_execz .LBB2_2720
; %bb.2713:                             ;   in Loop: Header=BB2_2656 Depth=3
	v_mov_b32_e32 v8, 0
	s_mov_b32 s17, exec_lo
	v_cmpx_ne_u32_e32 0, v12
	s_cbranch_execz .LBB2_2719
; %bb.2714:                             ;   in Loop: Header=BB2_2656 Depth=3
	v_bfe_u32 v8, v12, 23, 8
	v_and_b32_e32 v146, 0x7fffff, v12
	s_delay_alu instid0(VALU_DEP_2) | instskip(SKIP_1) | instid1(VALU_DEP_3)
	v_sub_nc_u32_e32 v147, 0x78, v8
	v_cmp_gt_u32_e64 s13, 0x79, v8
	v_or_b32_e32 v148, 0x800000, v146
	s_delay_alu instid0(VALU_DEP_2) | instskip(SKIP_2) | instid1(VALU_DEP_2)
	v_cndmask_b32_e64 v147, 0, v147, s13
	v_cmp_eq_u32_e64 s13, 0, v8
	v_add_nc_u32_e32 v8, 0xffffff89, v8
	v_cndmask_b32_e64 v147, v147, 0x77, s13
	v_cndmask_b32_e64 v146, v148, v146, s13
	s_delay_alu instid0(VALU_DEP_3) | instskip(NEXT) | instid1(VALU_DEP_3)
	v_cndmask_b32_e64 v8, v8, 0xffffff8a, s13
	v_lshl_add_u32 v148, 0x100000, v147, -1
	s_delay_alu instid0(VALU_DEP_3) | instskip(SKIP_1) | instid1(VALU_DEP_4)
	v_lshrrev_b32_e32 v149, v147, v146
	v_lshlrev_b32_e64 v151, v147, 0x80000
	v_add_nc_u32_e32 v147, v147, v8
	s_delay_alu instid0(VALU_DEP_4) | instskip(NEXT) | instid1(VALU_DEP_4)
	v_and_b32_e32 v146, v148, v146
	v_bfe_u32 v150, v149, 20, 1
	s_delay_alu instid0(VALU_DEP_2) | instskip(NEXT) | instid1(VALU_DEP_2)
	v_cmp_eq_u32_e64 s14, v146, v151
	v_add_nc_u32_e32 v148, -1, v150
	s_delay_alu instid0(VALU_DEP_1) | instskip(SKIP_2) | instid1(VALU_DEP_2)
	v_cndmask_b32_e64 v146, 0, v148, s14
	v_lshrrev_b32_e32 v148, 23, v149
	s_mov_b32 s14, exec_lo
	v_add_nc_u32_e32 v146, v146, v149
	s_delay_alu instid0(VALU_DEP_2) | instskip(NEXT) | instid1(VALU_DEP_2)
	v_xor_b32_e32 v148, 1, v148
	v_and_b32_e32 v8, 0xfffff, v146
	s_delay_alu instid0(VALU_DEP_1) | instskip(NEXT) | instid1(VALU_DEP_3)
	v_add_nc_u32_e32 v146, v8, v149
                                        ; implicit-def: $vgpr8
	v_cmpx_ne_u32_e64 v147, v148
	s_xor_b32 s14, exec_lo, s14
; %bb.2715:                             ;   in Loop: Header=BB2_2656 Depth=3
	s_delay_alu instid0(VALU_DEP_2) | instskip(SKIP_1) | instid1(VALU_DEP_2)
	v_cmp_lt_u32_e64 s13, 0xffffff, v146
	v_sub_nc_u32_e32 v8, v147, v148
	v_cndmask_b32_e64 v147, 0, 1, s13
	s_delay_alu instid0(VALU_DEP_2) | instskip(NEXT) | instid1(VALU_DEP_2)
	v_add_co_ci_u32_e64 v8, s13, 0, v8, s13
	v_lshrrev_b32_e32 v146, v147, v146
; %bb.2716:                             ;   in Loop: Header=BB2_2656 Depth=3
	s_and_not1_saveexec_b32 s13, s14
; %bb.2717:                             ;   in Loop: Header=BB2_2656 Depth=3
	s_delay_alu instid0(VALU_DEP_1)
	v_bfe_u32 v8, v146, 23, 1
; %bb.2718:                             ;   in Loop: Header=BB2_2656 Depth=3
	s_or_b32 exec_lo, exec_lo, s13
	v_lshrrev_b32_e32 v146, 20, v146
	s_delay_alu instid0(VALU_DEP_2) | instskip(SKIP_2) | instid1(VALU_DEP_3)
	v_cmp_gt_i32_e64 s13, 16, v8
	v_lshrrev_b32_e32 v12, 24, v12
	v_min_i32_e32 v147, 15, v8
	v_cndmask_b32_e64 v146, 7, v146, s13
	s_delay_alu instid0(VALU_DEP_3) | instskip(NEXT) | instid1(VALU_DEP_3)
	v_and_b32_e32 v12, 0x80, v12
	v_lshlrev_b32_e32 v147, 3, v147
	s_delay_alu instid0(VALU_DEP_3) | instskip(SKIP_1) | instid1(VALU_DEP_2)
	v_and_b32_e32 v148, 7, v146
	v_or_b32_e32 v8, v8, v146
	v_or3_b32 v12, v147, v12, v148
	s_delay_alu instid0(VALU_DEP_2) | instskip(NEXT) | instid1(VALU_DEP_1)
	v_cmp_ne_u32_e64 s13, 0, v8
	v_cndmask_b32_e64 v8, 0, v12, s13
.LBB2_2719:                             ;   in Loop: Header=BB2_2656 Depth=3
	s_or_b32 exec_lo, exec_lo, s17
.LBB2_2720:                             ;   in Loop: Header=BB2_2656 Depth=3
	s_delay_alu instid0(SALU_CYCLE_1) | instskip(SKIP_3) | instid1(VALU_DEP_1)
	s_or_b32 exec_lo, exec_lo, s3
	v_and_b32_e32 v146, 0xff, v13
	s_mov_b32 s3, 0
	s_mov_b32 s17, exec_lo
                                        ; implicit-def: $sgpr14
	v_cmpx_lt_i16_e64 0x7f, v146
	s_xor_b32 s17, exec_lo, s17
	s_cbranch_execnz .LBB2_2942
; %bb.2721:                             ;   in Loop: Header=BB2_2656 Depth=3
	s_or_saveexec_b32 s17, s17
	v_mov_b32_e32 v12, s14
	s_xor_b32 exec_lo, exec_lo, s17
	s_cbranch_execnz .LBB2_2945
.LBB2_2722:                             ;   in Loop: Header=BB2_2656 Depth=3
	s_or_b32 exec_lo, exec_lo, s17
	s_and_saveexec_b32 s14, s3
	s_cbranch_execz .LBB2_2724
.LBB2_2723:                             ;   in Loop: Header=BB2_2656 Depth=3
	v_and_b32_e32 v12, 7, v13
	v_bfe_u32 v148, v13, 3, 4
	v_lshlrev_b32_e32 v149, 24, v13
	s_delay_alu instid0(VALU_DEP_3) | instskip(NEXT) | instid1(VALU_DEP_3)
	v_clz_i32_u32_e32 v146, v12
	v_cmp_eq_u32_e64 s13, 0, v148
	s_delay_alu instid0(VALU_DEP_2) | instskip(NEXT) | instid1(VALU_DEP_1)
	v_min_u32_e32 v146, 32, v146
	v_subrev_nc_u32_e32 v147, 28, v146
	v_sub_nc_u32_e32 v146, 29, v146
	s_delay_alu instid0(VALU_DEP_2) | instskip(NEXT) | instid1(VALU_DEP_2)
	v_lshlrev_b32_e32 v147, v147, v13
	v_cndmask_b32_e64 v146, v148, v146, s13
	s_delay_alu instid0(VALU_DEP_2) | instskip(NEXT) | instid1(VALU_DEP_2)
	v_and_b32_e32 v147, 7, v147
	v_lshl_add_u32 v146, v146, 23, 0x3b800000
	s_delay_alu instid0(VALU_DEP_2) | instskip(SKIP_1) | instid1(VALU_DEP_2)
	v_cndmask_b32_e64 v12, v12, v147, s13
	v_and_b32_e32 v147, 0x80000000, v149
	v_lshlrev_b32_e32 v12, 20, v12
	s_delay_alu instid0(VALU_DEP_1)
	v_or3_b32 v12, v147, v146, v12
.LBB2_2724:                             ;   in Loop: Header=BB2_2656 Depth=3
	s_or_b32 exec_lo, exec_lo, s14
	v_and_b32_e32 v147, 0xff, v9
	s_mov_b32 s3, 0
	s_mov_b32 s17, exec_lo
                                        ; implicit-def: $sgpr14
	s_delay_alu instid0(VALU_DEP_1)
	v_cmpx_lt_i16_e64 0x7f, v147
	s_xor_b32 s17, exec_lo, s17
	s_cbranch_execnz .LBB2_2946
; %bb.2725:                             ;   in Loop: Header=BB2_2656 Depth=3
	s_or_saveexec_b32 s17, s17
	v_mov_b32_e32 v146, s14
	s_xor_b32 exec_lo, exec_lo, s17
	s_cbranch_execnz .LBB2_2949
.LBB2_2726:                             ;   in Loop: Header=BB2_2656 Depth=3
	s_or_b32 exec_lo, exec_lo, s17
	s_and_saveexec_b32 s14, s3
	s_cbranch_execz .LBB2_2728
.LBB2_2727:                             ;   in Loop: Header=BB2_2656 Depth=3
	v_and_b32_e32 v146, 7, v9
	v_bfe_u32 v149, v9, 3, 4
	v_lshlrev_b32_e32 v150, 24, v9
	s_delay_alu instid0(VALU_DEP_3) | instskip(NEXT) | instid1(VALU_DEP_3)
	v_clz_i32_u32_e32 v147, v146
	v_cmp_eq_u32_e64 s13, 0, v149
	s_delay_alu instid0(VALU_DEP_2) | instskip(NEXT) | instid1(VALU_DEP_1)
	v_min_u32_e32 v147, 32, v147
	v_subrev_nc_u32_e32 v148, 28, v147
	v_sub_nc_u32_e32 v147, 29, v147
	s_delay_alu instid0(VALU_DEP_2) | instskip(NEXT) | instid1(VALU_DEP_2)
	v_lshlrev_b32_e32 v148, v148, v9
	v_cndmask_b32_e64 v147, v149, v147, s13
	s_delay_alu instid0(VALU_DEP_2) | instskip(NEXT) | instid1(VALU_DEP_2)
	v_and_b32_e32 v148, 7, v148
	v_lshl_add_u32 v147, v147, 23, 0x3b800000
	s_delay_alu instid0(VALU_DEP_2) | instskip(SKIP_1) | instid1(VALU_DEP_2)
	v_cndmask_b32_e64 v146, v146, v148, s13
	v_and_b32_e32 v148, 0x80000000, v150
	v_lshlrev_b32_e32 v146, 20, v146
	s_delay_alu instid0(VALU_DEP_1)
	v_or3_b32 v146, v148, v147, v146
.LBB2_2728:                             ;   in Loop: Header=BB2_2656 Depth=3
	s_or_b32 exec_lo, exec_lo, s14
	s_delay_alu instid0(VALU_DEP_1) | instskip(NEXT) | instid1(VALU_DEP_1)
	v_add_f32_e32 v146, v12, v146
	v_and_b32_e32 v12, 0x7f800000, v146
	s_delay_alu instid0(VALU_DEP_1) | instskip(SKIP_1) | instid1(VALU_DEP_2)
	v_cmp_ne_u32_e64 s13, 0x7f800000, v12
	v_mov_b32_e32 v12, 0x80
	s_and_saveexec_b32 s3, s13
	s_cbranch_execz .LBB2_2736
; %bb.2729:                             ;   in Loop: Header=BB2_2656 Depth=3
	v_mov_b32_e32 v12, 0
	s_mov_b32 s17, exec_lo
	v_cmpx_ne_u32_e32 0, v146
	s_cbranch_execz .LBB2_2735
; %bb.2730:                             ;   in Loop: Header=BB2_2656 Depth=3
	v_bfe_u32 v12, v146, 23, 8
	v_and_b32_e32 v147, 0x7fffff, v146
	s_delay_alu instid0(VALU_DEP_2) | instskip(SKIP_1) | instid1(VALU_DEP_3)
	v_sub_nc_u32_e32 v148, 0x78, v12
	v_cmp_gt_u32_e64 s13, 0x79, v12
	v_or_b32_e32 v149, 0x800000, v147
	s_delay_alu instid0(VALU_DEP_2) | instskip(SKIP_2) | instid1(VALU_DEP_2)
	v_cndmask_b32_e64 v148, 0, v148, s13
	v_cmp_eq_u32_e64 s13, 0, v12
	v_add_nc_u32_e32 v12, 0xffffff89, v12
	v_cndmask_b32_e64 v148, v148, 0x77, s13
	v_cndmask_b32_e64 v147, v149, v147, s13
	s_delay_alu instid0(VALU_DEP_3) | instskip(NEXT) | instid1(VALU_DEP_3)
	v_cndmask_b32_e64 v12, v12, 0xffffff8a, s13
	v_lshl_add_u32 v149, 0x100000, v148, -1
	s_delay_alu instid0(VALU_DEP_3) | instskip(SKIP_1) | instid1(VALU_DEP_4)
	v_lshrrev_b32_e32 v150, v148, v147
	v_lshlrev_b32_e64 v160, v148, 0x80000
	v_add_nc_u32_e32 v148, v148, v12
	s_delay_alu instid0(VALU_DEP_4) | instskip(NEXT) | instid1(VALU_DEP_4)
	v_and_b32_e32 v147, v149, v147
	v_bfe_u32 v151, v150, 20, 1
	s_delay_alu instid0(VALU_DEP_2) | instskip(NEXT) | instid1(VALU_DEP_2)
	v_cmp_eq_u32_e64 s14, v147, v160
	v_add_nc_u32_e32 v149, -1, v151
	s_delay_alu instid0(VALU_DEP_1) | instskip(SKIP_2) | instid1(VALU_DEP_2)
	v_cndmask_b32_e64 v147, 0, v149, s14
	v_lshrrev_b32_e32 v149, 23, v150
	s_mov_b32 s14, exec_lo
	v_add_nc_u32_e32 v147, v147, v150
	s_delay_alu instid0(VALU_DEP_2) | instskip(NEXT) | instid1(VALU_DEP_2)
	v_xor_b32_e32 v149, 1, v149
	v_and_b32_e32 v12, 0xfffff, v147
	s_delay_alu instid0(VALU_DEP_1) | instskip(NEXT) | instid1(VALU_DEP_3)
	v_add_nc_u32_e32 v147, v12, v150
                                        ; implicit-def: $vgpr12
	v_cmpx_ne_u32_e64 v148, v149
	s_xor_b32 s14, exec_lo, s14
; %bb.2731:                             ;   in Loop: Header=BB2_2656 Depth=3
	s_delay_alu instid0(VALU_DEP_2) | instskip(SKIP_1) | instid1(VALU_DEP_2)
	v_cmp_lt_u32_e64 s13, 0xffffff, v147
	v_sub_nc_u32_e32 v12, v148, v149
	v_cndmask_b32_e64 v148, 0, 1, s13
	s_delay_alu instid0(VALU_DEP_2) | instskip(NEXT) | instid1(VALU_DEP_2)
	v_add_co_ci_u32_e64 v12, s13, 0, v12, s13
	v_lshrrev_b32_e32 v147, v148, v147
; %bb.2732:                             ;   in Loop: Header=BB2_2656 Depth=3
	s_and_not1_saveexec_b32 s13, s14
; %bb.2733:                             ;   in Loop: Header=BB2_2656 Depth=3
	s_delay_alu instid0(VALU_DEP_1)
	v_bfe_u32 v12, v147, 23, 1
; %bb.2734:                             ;   in Loop: Header=BB2_2656 Depth=3
	s_or_b32 exec_lo, exec_lo, s13
	v_lshrrev_b32_e32 v147, 20, v147
	s_delay_alu instid0(VALU_DEP_2) | instskip(SKIP_2) | instid1(VALU_DEP_3)
	v_cmp_gt_i32_e64 s13, 16, v12
	v_lshrrev_b32_e32 v146, 24, v146
	v_min_i32_e32 v148, 15, v12
	v_cndmask_b32_e64 v147, 7, v147, s13
	s_delay_alu instid0(VALU_DEP_3) | instskip(NEXT) | instid1(VALU_DEP_3)
	v_and_b32_e32 v146, 0x80, v146
	v_lshlrev_b32_e32 v148, 3, v148
	s_delay_alu instid0(VALU_DEP_3) | instskip(SKIP_1) | instid1(VALU_DEP_2)
	v_and_b32_e32 v149, 7, v147
	v_or_b32_e32 v12, v12, v147
	v_or3_b32 v146, v148, v146, v149
	s_delay_alu instid0(VALU_DEP_2) | instskip(NEXT) | instid1(VALU_DEP_1)
	v_cmp_ne_u32_e64 s13, 0, v12
	v_cndmask_b32_e64 v12, 0, v146, s13
.LBB2_2735:                             ;   in Loop: Header=BB2_2656 Depth=3
	s_or_b32 exec_lo, exec_lo, s17
.LBB2_2736:                             ;   in Loop: Header=BB2_2656 Depth=3
	s_delay_alu instid0(SALU_CYCLE_1) | instskip(SKIP_3) | instid1(VALU_DEP_1)
	s_or_b32 exec_lo, exec_lo, s3
	v_lshrrev_b16 v147, 8, v13
	s_mov_b32 s3, 0
	s_mov_b32 s17, exec_lo
                                        ; implicit-def: $sgpr14
	v_cmpx_lt_i16_e64 0x7f, v147
	s_xor_b32 s17, exec_lo, s17
	s_cbranch_execnz .LBB2_2950
; %bb.2737:                             ;   in Loop: Header=BB2_2656 Depth=3
	s_or_saveexec_b32 s17, s17
	v_mov_b32_e32 v146, s14
	s_xor_b32 exec_lo, exec_lo, s17
	s_cbranch_execnz .LBB2_2953
.LBB2_2738:                             ;   in Loop: Header=BB2_2656 Depth=3
	s_or_b32 exec_lo, exec_lo, s17
	s_and_saveexec_b32 s14, s3
	s_cbranch_execz .LBB2_2740
.LBB2_2739:                             ;   in Loop: Header=BB2_2656 Depth=3
	v_and_b32_e32 v146, 0xffff, v147
	v_lshlrev_b32_e32 v147, 24, v147
	s_delay_alu instid0(VALU_DEP_2) | instskip(NEXT) | instid1(VALU_DEP_2)
	v_and_b32_e32 v148, 7, v146
	v_and_b32_e32 v147, 0x80000000, v147
	s_delay_alu instid0(VALU_DEP_2) | instskip(NEXT) | instid1(VALU_DEP_1)
	v_clz_i32_u32_e32 v149, v148
	v_min_u32_e32 v149, 32, v149
	s_delay_alu instid0(VALU_DEP_1) | instskip(SKIP_1) | instid1(VALU_DEP_2)
	v_subrev_nc_u32_e32 v150, 28, v149
	v_sub_nc_u32_e32 v149, 29, v149
	v_lshlrev_b32_e32 v150, v150, v146
	v_bfe_u32 v146, v146, 3, 4
	s_delay_alu instid0(VALU_DEP_2) | instskip(NEXT) | instid1(VALU_DEP_2)
	v_and_b32_e32 v150, 7, v150
	v_cmp_eq_u32_e64 s13, 0, v146
	s_delay_alu instid0(VALU_DEP_1) | instskip(NEXT) | instid1(VALU_DEP_3)
	v_cndmask_b32_e64 v146, v146, v149, s13
	v_cndmask_b32_e64 v148, v148, v150, s13
	s_delay_alu instid0(VALU_DEP_2) | instskip(NEXT) | instid1(VALU_DEP_2)
	v_lshl_add_u32 v146, v146, 23, 0x3b800000
	v_lshlrev_b32_e32 v148, 20, v148
	s_delay_alu instid0(VALU_DEP_1)
	v_or3_b32 v146, v147, v146, v148
.LBB2_2740:                             ;   in Loop: Header=BB2_2656 Depth=3
	s_or_b32 exec_lo, exec_lo, s14
	v_lshrrev_b16 v147, 8, v9
	s_mov_b32 s3, 0
	s_mov_b32 s17, exec_lo
                                        ; implicit-def: $sgpr14
	s_delay_alu instid0(VALU_DEP_1)
	v_cmpx_lt_i16_e64 0x7f, v147
	s_xor_b32 s17, exec_lo, s17
	s_cbranch_execnz .LBB2_2954
; %bb.2741:                             ;   in Loop: Header=BB2_2656 Depth=3
	s_or_saveexec_b32 s17, s17
	v_mov_b32_e32 v148, s14
	s_xor_b32 exec_lo, exec_lo, s17
	s_cbranch_execnz .LBB2_2957
.LBB2_2742:                             ;   in Loop: Header=BB2_2656 Depth=3
	s_or_b32 exec_lo, exec_lo, s17
	s_and_saveexec_b32 s14, s3
	s_cbranch_execz .LBB2_2744
.LBB2_2743:                             ;   in Loop: Header=BB2_2656 Depth=3
	v_and_b32_e32 v148, 0xffff, v147
	v_lshlrev_b32_e32 v147, 24, v147
	s_delay_alu instid0(VALU_DEP_2) | instskip(NEXT) | instid1(VALU_DEP_2)
	v_and_b32_e32 v149, 7, v148
	v_and_b32_e32 v147, 0x80000000, v147
	s_delay_alu instid0(VALU_DEP_2) | instskip(NEXT) | instid1(VALU_DEP_1)
	v_clz_i32_u32_e32 v150, v149
	v_min_u32_e32 v150, 32, v150
	s_delay_alu instid0(VALU_DEP_1) | instskip(SKIP_1) | instid1(VALU_DEP_2)
	v_subrev_nc_u32_e32 v151, 28, v150
	v_sub_nc_u32_e32 v150, 29, v150
	v_lshlrev_b32_e32 v151, v151, v148
	v_bfe_u32 v148, v148, 3, 4
	s_delay_alu instid0(VALU_DEP_2) | instskip(NEXT) | instid1(VALU_DEP_2)
	v_and_b32_e32 v151, 7, v151
	v_cmp_eq_u32_e64 s13, 0, v148
	s_delay_alu instid0(VALU_DEP_1) | instskip(NEXT) | instid1(VALU_DEP_3)
	v_cndmask_b32_e64 v148, v148, v150, s13
	v_cndmask_b32_e64 v149, v149, v151, s13
	s_delay_alu instid0(VALU_DEP_2) | instskip(NEXT) | instid1(VALU_DEP_2)
	v_lshl_add_u32 v148, v148, 23, 0x3b800000
	v_lshlrev_b32_e32 v149, 20, v149
	s_delay_alu instid0(VALU_DEP_1)
	v_or3_b32 v148, v147, v148, v149
.LBB2_2744:                             ;   in Loop: Header=BB2_2656 Depth=3
	s_or_b32 exec_lo, exec_lo, s14
	s_delay_alu instid0(VALU_DEP_1) | instskip(NEXT) | instid1(VALU_DEP_1)
	v_add_f32_e32 v147, v146, v148
	v_and_b32_e32 v146, 0x7f800000, v147
	s_delay_alu instid0(VALU_DEP_1) | instskip(SKIP_1) | instid1(VALU_DEP_2)
	v_cmp_ne_u32_e64 s13, 0x7f800000, v146
	v_mov_b32_e32 v146, 0x8000
	s_and_saveexec_b32 s3, s13
	s_cbranch_execz .LBB2_2752
; %bb.2745:                             ;   in Loop: Header=BB2_2656 Depth=3
	v_mov_b32_e32 v146, 0
	s_mov_b32 s17, exec_lo
	v_cmpx_ne_u32_e32 0, v147
	s_cbranch_execz .LBB2_2751
; %bb.2746:                             ;   in Loop: Header=BB2_2656 Depth=3
	v_bfe_u32 v146, v147, 23, 8
	v_and_b32_e32 v148, 0x7fffff, v147
	s_delay_alu instid0(VALU_DEP_2) | instskip(SKIP_1) | instid1(VALU_DEP_3)
	v_sub_nc_u32_e32 v149, 0x78, v146
	v_cmp_gt_u32_e64 s13, 0x79, v146
	v_or_b32_e32 v150, 0x800000, v148
	s_delay_alu instid0(VALU_DEP_2) | instskip(SKIP_2) | instid1(VALU_DEP_2)
	v_cndmask_b32_e64 v149, 0, v149, s13
	v_cmp_eq_u32_e64 s13, 0, v146
	v_add_nc_u32_e32 v146, 0xffffff89, v146
	v_cndmask_b32_e64 v149, v149, 0x77, s13
	v_cndmask_b32_e64 v148, v150, v148, s13
	s_delay_alu instid0(VALU_DEP_3) | instskip(NEXT) | instid1(VALU_DEP_3)
	v_cndmask_b32_e64 v146, v146, 0xffffff8a, s13
	v_lshl_add_u32 v150, 0x100000, v149, -1
	s_delay_alu instid0(VALU_DEP_3) | instskip(SKIP_1) | instid1(VALU_DEP_4)
	v_lshrrev_b32_e32 v151, v149, v148
	v_lshlrev_b32_e64 v161, v149, 0x80000
	v_add_nc_u32_e32 v149, v149, v146
	s_delay_alu instid0(VALU_DEP_4) | instskip(NEXT) | instid1(VALU_DEP_4)
	v_and_b32_e32 v148, v150, v148
	v_bfe_u32 v160, v151, 20, 1
	s_delay_alu instid0(VALU_DEP_2) | instskip(NEXT) | instid1(VALU_DEP_2)
	v_cmp_eq_u32_e64 s14, v148, v161
	v_add_nc_u32_e32 v150, -1, v160
	s_delay_alu instid0(VALU_DEP_1) | instskip(SKIP_2) | instid1(VALU_DEP_2)
	v_cndmask_b32_e64 v148, 0, v150, s14
	v_lshrrev_b32_e32 v150, 23, v151
	s_mov_b32 s14, exec_lo
	v_add_nc_u32_e32 v148, v148, v151
	s_delay_alu instid0(VALU_DEP_2) | instskip(NEXT) | instid1(VALU_DEP_2)
	v_xor_b32_e32 v150, 1, v150
	v_and_b32_e32 v146, 0xfffff, v148
	s_delay_alu instid0(VALU_DEP_1) | instskip(NEXT) | instid1(VALU_DEP_3)
	v_add_nc_u32_e32 v148, v146, v151
                                        ; implicit-def: $vgpr146
	v_cmpx_ne_u32_e64 v149, v150
	s_xor_b32 s14, exec_lo, s14
; %bb.2747:                             ;   in Loop: Header=BB2_2656 Depth=3
	s_delay_alu instid0(VALU_DEP_2) | instskip(SKIP_1) | instid1(VALU_DEP_2)
	v_cmp_lt_u32_e64 s13, 0xffffff, v148
	v_sub_nc_u32_e32 v146, v149, v150
	v_cndmask_b32_e64 v149, 0, 1, s13
	s_delay_alu instid0(VALU_DEP_2) | instskip(NEXT) | instid1(VALU_DEP_2)
	v_add_co_ci_u32_e64 v146, s13, 0, v146, s13
	v_lshrrev_b32_e32 v148, v149, v148
; %bb.2748:                             ;   in Loop: Header=BB2_2656 Depth=3
	s_and_not1_saveexec_b32 s13, s14
; %bb.2749:                             ;   in Loop: Header=BB2_2656 Depth=3
	s_delay_alu instid0(VALU_DEP_1)
	v_bfe_u32 v146, v148, 23, 1
; %bb.2750:                             ;   in Loop: Header=BB2_2656 Depth=3
	s_or_b32 exec_lo, exec_lo, s13
	v_lshrrev_b32_e32 v148, 20, v148
	s_delay_alu instid0(VALU_DEP_2) | instskip(SKIP_2) | instid1(VALU_DEP_3)
	v_min_i32_e32 v149, 15, v146
	v_cmp_gt_i32_e64 s13, 16, v146
	v_lshrrev_b32_e32 v147, 24, v147
	v_lshlrev_b32_e32 v149, 3, v149
	s_delay_alu instid0(VALU_DEP_3) | instskip(NEXT) | instid1(VALU_DEP_3)
	v_cndmask_b32_e64 v148, 7, v148, s13
	v_and_b32_e32 v147, 0x80, v147
	s_delay_alu instid0(VALU_DEP_3) | instskip(NEXT) | instid1(VALU_DEP_3)
	v_and_b32_e32 v149, 0xf8, v149
	v_and_b32_e32 v150, 7, v148
	v_or_b32_e32 v146, v146, v148
	s_delay_alu instid0(VALU_DEP_2) | instskip(NEXT) | instid1(VALU_DEP_2)
	v_or3_b32 v147, v147, v149, v150
	v_cmp_ne_u32_e64 s13, 0, v146
	s_delay_alu instid0(VALU_DEP_2) | instskip(NEXT) | instid1(VALU_DEP_1)
	v_lshlrev_b32_e32 v147, 8, v147
	v_cndmask_b32_e64 v146, 0, v147, s13
.LBB2_2751:                             ;   in Loop: Header=BB2_2656 Depth=3
	s_or_b32 exec_lo, exec_lo, s17
.LBB2_2752:                             ;   in Loop: Header=BB2_2656 Depth=3
	s_delay_alu instid0(SALU_CYCLE_1) | instskip(SKIP_3) | instid1(VALU_DEP_1)
	s_or_b32 exec_lo, exec_lo, s3
	v_lshrrev_b32_e32 v148, 16, v13
	s_mov_b32 s3, 0
	s_mov_b32 s17, exec_lo
                                        ; implicit-def: $sgpr14
	v_and_b32_e32 v149, 0xff, v148
	s_delay_alu instid0(VALU_DEP_1)
	v_cmpx_lt_i16_e64 0x7f, v149
	s_xor_b32 s17, exec_lo, s17
	s_cbranch_execnz .LBB2_2958
; %bb.2753:                             ;   in Loop: Header=BB2_2656 Depth=3
	s_or_saveexec_b32 s17, s17
	v_mov_b32_e32 v147, s14
	s_xor_b32 exec_lo, exec_lo, s17
	s_cbranch_execnz .LBB2_2961
.LBB2_2754:                             ;   in Loop: Header=BB2_2656 Depth=3
	s_or_b32 exec_lo, exec_lo, s17
	s_and_saveexec_b32 s14, s3
	s_cbranch_execz .LBB2_2756
.LBB2_2755:                             ;   in Loop: Header=BB2_2656 Depth=3
	v_bfe_u32 v147, v13, 16, 3
	v_lshlrev_b32_e32 v151, 8, v13
	s_delay_alu instid0(VALU_DEP_2) | instskip(NEXT) | instid1(VALU_DEP_1)
	v_clz_i32_u32_e32 v149, v147
	v_min_u32_e32 v149, 32, v149
	s_delay_alu instid0(VALU_DEP_1) | instskip(SKIP_1) | instid1(VALU_DEP_2)
	v_subrev_nc_u32_e32 v150, 28, v149
	v_sub_nc_u32_e32 v149, 29, v149
	v_lshlrev_b32_e32 v148, v150, v148
	v_bfe_u32 v150, v13, 19, 4
	s_delay_alu instid0(VALU_DEP_2) | instskip(NEXT) | instid1(VALU_DEP_2)
	v_and_b32_e32 v148, 7, v148
	v_cmp_eq_u32_e64 s13, 0, v150
	s_delay_alu instid0(VALU_DEP_1) | instskip(NEXT) | instid1(VALU_DEP_3)
	v_cndmask_b32_e64 v149, v150, v149, s13
	v_cndmask_b32_e64 v147, v147, v148, s13
	v_and_b32_e32 v148, 0x80000000, v151
	s_delay_alu instid0(VALU_DEP_3) | instskip(NEXT) | instid1(VALU_DEP_3)
	v_lshl_add_u32 v149, v149, 23, 0x3b800000
	v_lshlrev_b32_e32 v147, 20, v147
	s_delay_alu instid0(VALU_DEP_1)
	v_or3_b32 v147, v148, v149, v147
.LBB2_2756:                             ;   in Loop: Header=BB2_2656 Depth=3
	s_or_b32 exec_lo, exec_lo, s14
	v_lshrrev_b32_e32 v148, 16, v9
	s_mov_b32 s3, 0
	s_mov_b32 s17, exec_lo
                                        ; implicit-def: $sgpr14
	s_delay_alu instid0(VALU_DEP_1) | instskip(NEXT) | instid1(VALU_DEP_1)
	v_and_b32_e32 v150, 0xff, v148
	v_cmpx_lt_i16_e64 0x7f, v150
	s_xor_b32 s17, exec_lo, s17
	s_cbranch_execnz .LBB2_2962
; %bb.2757:                             ;   in Loop: Header=BB2_2656 Depth=3
	s_or_saveexec_b32 s17, s17
	v_mov_b32_e32 v149, s14
	s_xor_b32 exec_lo, exec_lo, s17
	s_cbranch_execnz .LBB2_2965
.LBB2_2758:                             ;   in Loop: Header=BB2_2656 Depth=3
	s_or_b32 exec_lo, exec_lo, s17
	s_and_saveexec_b32 s14, s3
	s_cbranch_execz .LBB2_2760
.LBB2_2759:                             ;   in Loop: Header=BB2_2656 Depth=3
	v_bfe_u32 v149, v9, 16, 3
	v_lshlrev_b32_e32 v160, 8, v9
	s_delay_alu instid0(VALU_DEP_2) | instskip(NEXT) | instid1(VALU_DEP_1)
	v_clz_i32_u32_e32 v150, v149
	v_min_u32_e32 v150, 32, v150
	s_delay_alu instid0(VALU_DEP_1) | instskip(SKIP_1) | instid1(VALU_DEP_2)
	v_subrev_nc_u32_e32 v151, 28, v150
	v_sub_nc_u32_e32 v150, 29, v150
	v_lshlrev_b32_e32 v148, v151, v148
	v_bfe_u32 v151, v9, 19, 4
	s_delay_alu instid0(VALU_DEP_2) | instskip(NEXT) | instid1(VALU_DEP_2)
	v_and_b32_e32 v148, 7, v148
	v_cmp_eq_u32_e64 s13, 0, v151
	s_delay_alu instid0(VALU_DEP_1) | instskip(NEXT) | instid1(VALU_DEP_3)
	v_cndmask_b32_e64 v150, v151, v150, s13
	v_cndmask_b32_e64 v148, v149, v148, s13
	v_and_b32_e32 v149, 0x80000000, v160
	s_delay_alu instid0(VALU_DEP_3) | instskip(NEXT) | instid1(VALU_DEP_3)
	v_lshl_add_u32 v150, v150, 23, 0x3b800000
	v_lshlrev_b32_e32 v148, 20, v148
	s_delay_alu instid0(VALU_DEP_1)
	v_or3_b32 v149, v149, v150, v148
.LBB2_2760:                             ;   in Loop: Header=BB2_2656 Depth=3
	s_or_b32 exec_lo, exec_lo, s14
	s_delay_alu instid0(VALU_DEP_1) | instskip(NEXT) | instid1(VALU_DEP_1)
	v_add_f32_e32 v148, v147, v149
	v_and_b32_e32 v147, 0x7f800000, v148
	s_delay_alu instid0(VALU_DEP_1) | instskip(SKIP_1) | instid1(VALU_DEP_2)
	v_cmp_ne_u32_e64 s13, 0x7f800000, v147
	v_mov_b32_e32 v147, 0x80
	s_and_saveexec_b32 s3, s13
	s_cbranch_execz .LBB2_2768
; %bb.2761:                             ;   in Loop: Header=BB2_2656 Depth=3
	v_mov_b32_e32 v147, 0
	s_mov_b32 s17, exec_lo
	v_cmpx_ne_u32_e32 0, v148
	s_cbranch_execz .LBB2_2767
; %bb.2762:                             ;   in Loop: Header=BB2_2656 Depth=3
	v_bfe_u32 v147, v148, 23, 8
	v_and_b32_e32 v149, 0x7fffff, v148
	s_delay_alu instid0(VALU_DEP_2) | instskip(SKIP_1) | instid1(VALU_DEP_3)
	v_sub_nc_u32_e32 v150, 0x78, v147
	v_cmp_gt_u32_e64 s13, 0x79, v147
	v_or_b32_e32 v151, 0x800000, v149
	s_delay_alu instid0(VALU_DEP_2) | instskip(SKIP_2) | instid1(VALU_DEP_2)
	v_cndmask_b32_e64 v150, 0, v150, s13
	v_cmp_eq_u32_e64 s13, 0, v147
	v_add_nc_u32_e32 v147, 0xffffff89, v147
	v_cndmask_b32_e64 v150, v150, 0x77, s13
	v_cndmask_b32_e64 v149, v151, v149, s13
	s_delay_alu instid0(VALU_DEP_3) | instskip(NEXT) | instid1(VALU_DEP_3)
	v_cndmask_b32_e64 v147, v147, 0xffffff8a, s13
	v_lshl_add_u32 v151, 0x100000, v150, -1
	s_delay_alu instid0(VALU_DEP_3) | instskip(SKIP_1) | instid1(VALU_DEP_4)
	v_lshrrev_b32_e32 v160, v150, v149
	v_lshlrev_b32_e64 v162, v150, 0x80000
	v_add_nc_u32_e32 v150, v150, v147
	s_delay_alu instid0(VALU_DEP_4) | instskip(NEXT) | instid1(VALU_DEP_4)
	v_and_b32_e32 v149, v151, v149
	v_bfe_u32 v161, v160, 20, 1
	s_delay_alu instid0(VALU_DEP_2) | instskip(NEXT) | instid1(VALU_DEP_2)
	v_cmp_eq_u32_e64 s14, v149, v162
	v_add_nc_u32_e32 v151, -1, v161
	s_delay_alu instid0(VALU_DEP_1) | instskip(SKIP_2) | instid1(VALU_DEP_2)
	v_cndmask_b32_e64 v149, 0, v151, s14
	v_lshrrev_b32_e32 v151, 23, v160
	s_mov_b32 s14, exec_lo
	v_add_nc_u32_e32 v149, v149, v160
	s_delay_alu instid0(VALU_DEP_2) | instskip(NEXT) | instid1(VALU_DEP_2)
	v_xor_b32_e32 v151, 1, v151
	v_and_b32_e32 v147, 0xfffff, v149
	s_delay_alu instid0(VALU_DEP_1) | instskip(NEXT) | instid1(VALU_DEP_3)
	v_add_nc_u32_e32 v149, v147, v160
                                        ; implicit-def: $vgpr147
	v_cmpx_ne_u32_e64 v150, v151
	s_xor_b32 s14, exec_lo, s14
; %bb.2763:                             ;   in Loop: Header=BB2_2656 Depth=3
	s_delay_alu instid0(VALU_DEP_2) | instskip(SKIP_1) | instid1(VALU_DEP_2)
	v_cmp_lt_u32_e64 s13, 0xffffff, v149
	v_sub_nc_u32_e32 v147, v150, v151
	v_cndmask_b32_e64 v150, 0, 1, s13
	s_delay_alu instid0(VALU_DEP_2) | instskip(NEXT) | instid1(VALU_DEP_2)
	v_add_co_ci_u32_e64 v147, s13, 0, v147, s13
	v_lshrrev_b32_e32 v149, v150, v149
; %bb.2764:                             ;   in Loop: Header=BB2_2656 Depth=3
	s_and_not1_saveexec_b32 s13, s14
; %bb.2765:                             ;   in Loop: Header=BB2_2656 Depth=3
	s_delay_alu instid0(VALU_DEP_1)
	v_bfe_u32 v147, v149, 23, 1
; %bb.2766:                             ;   in Loop: Header=BB2_2656 Depth=3
	s_or_b32 exec_lo, exec_lo, s13
	v_lshrrev_b32_e32 v149, 20, v149
	s_delay_alu instid0(VALU_DEP_2) | instskip(SKIP_2) | instid1(VALU_DEP_3)
	v_min_i32_e32 v150, 15, v147
	v_cmp_gt_i32_e64 s13, 16, v147
	v_lshrrev_b32_e32 v148, 24, v148
	v_lshlrev_b32_e32 v150, 3, v150
	s_delay_alu instid0(VALU_DEP_3) | instskip(NEXT) | instid1(VALU_DEP_3)
	v_cndmask_b32_e64 v149, 7, v149, s13
	v_and_b32_e32 v148, 0x80, v148
	s_delay_alu instid0(VALU_DEP_3) | instskip(NEXT) | instid1(VALU_DEP_3)
	v_and_b32_e32 v150, 0xf8, v150
	v_and_b32_e32 v151, 7, v149
	v_or_b32_e32 v147, v147, v149
	s_delay_alu instid0(VALU_DEP_2) | instskip(NEXT) | instid1(VALU_DEP_2)
	v_or3_b32 v148, v150, v148, v151
	v_cmp_ne_u32_e64 s13, 0, v147
	s_delay_alu instid0(VALU_DEP_1)
	v_cndmask_b32_e64 v147, 0, v148, s13
.LBB2_2767:                             ;   in Loop: Header=BB2_2656 Depth=3
	s_or_b32 exec_lo, exec_lo, s17
.LBB2_2768:                             ;   in Loop: Header=BB2_2656 Depth=3
	s_delay_alu instid0(SALU_CYCLE_1) | instskip(SKIP_3) | instid1(VALU_DEP_1)
	s_or_b32 exec_lo, exec_lo, s3
	v_lshrrev_b32_e32 v149, 24, v13
	s_mov_b32 s3, 0
	s_mov_b32 s17, exec_lo
                                        ; implicit-def: $sgpr14
	v_cmpx_lt_i16_e64 0x7f, v149
	s_xor_b32 s17, exec_lo, s17
	s_cbranch_execnz .LBB2_2966
; %bb.2769:                             ;   in Loop: Header=BB2_2656 Depth=3
	s_or_saveexec_b32 s17, s17
	v_mov_b32_e32 v148, s14
	s_xor_b32 exec_lo, exec_lo, s17
	s_cbranch_execnz .LBB2_2969
.LBB2_2770:                             ;   in Loop: Header=BB2_2656 Depth=3
	s_or_b32 exec_lo, exec_lo, s17
	s_and_saveexec_b32 s14, s3
	s_cbranch_execz .LBB2_2772
.LBB2_2771:                             ;   in Loop: Header=BB2_2656 Depth=3
	v_bfe_u32 v148, v13, 24, 3
	s_delay_alu instid0(VALU_DEP_1) | instskip(NEXT) | instid1(VALU_DEP_1)
	v_clz_i32_u32_e32 v150, v148
	v_min_u32_e32 v150, 32, v150
	s_delay_alu instid0(VALU_DEP_1) | instskip(SKIP_1) | instid1(VALU_DEP_2)
	v_subrev_nc_u32_e32 v151, 28, v150
	v_sub_nc_u32_e32 v150, 29, v150
	v_lshlrev_b32_e32 v149, v151, v149
	v_bfe_u32 v151, v13, 27, 4
	v_and_b32_e32 v13, 0x80000000, v13
	s_delay_alu instid0(VALU_DEP_3) | instskip(NEXT) | instid1(VALU_DEP_3)
	v_and_b32_e32 v149, 7, v149
	v_cmp_eq_u32_e64 s13, 0, v151
	s_delay_alu instid0(VALU_DEP_1) | instskip(NEXT) | instid1(VALU_DEP_3)
	v_cndmask_b32_e64 v150, v151, v150, s13
	v_cndmask_b32_e64 v148, v148, v149, s13
	s_delay_alu instid0(VALU_DEP_2) | instskip(NEXT) | instid1(VALU_DEP_2)
	v_lshl_add_u32 v149, v150, 23, 0x3b800000
	v_lshlrev_b32_e32 v148, 20, v148
	s_delay_alu instid0(VALU_DEP_1)
	v_or3_b32 v148, v13, v149, v148
.LBB2_2772:                             ;   in Loop: Header=BB2_2656 Depth=3
	s_or_b32 exec_lo, exec_lo, s14
	v_lshrrev_b32_e32 v13, 24, v9
	s_mov_b32 s3, 0
	s_mov_b32 s17, exec_lo
                                        ; implicit-def: $sgpr14
	s_delay_alu instid0(VALU_DEP_1)
	v_cmpx_lt_i16_e32 0x7f, v13
	s_xor_b32 s17, exec_lo, s17
	s_cbranch_execnz .LBB2_2970
; %bb.2773:                             ;   in Loop: Header=BB2_2656 Depth=3
	s_or_saveexec_b32 s17, s17
	v_mov_b32_e32 v149, s14
	s_xor_b32 exec_lo, exec_lo, s17
	s_cbranch_execnz .LBB2_2973
.LBB2_2774:                             ;   in Loop: Header=BB2_2656 Depth=3
	s_or_b32 exec_lo, exec_lo, s17
	s_and_saveexec_b32 s14, s3
	s_cbranch_execz .LBB2_2776
.LBB2_2775:                             ;   in Loop: Header=BB2_2656 Depth=3
	v_bfe_u32 v149, v9, 24, 3
	s_delay_alu instid0(VALU_DEP_1) | instskip(NEXT) | instid1(VALU_DEP_1)
	v_clz_i32_u32_e32 v150, v149
	v_min_u32_e32 v150, 32, v150
	s_delay_alu instid0(VALU_DEP_1) | instskip(SKIP_1) | instid1(VALU_DEP_2)
	v_subrev_nc_u32_e32 v151, 28, v150
	v_sub_nc_u32_e32 v150, 29, v150
	v_lshlrev_b32_e32 v13, v151, v13
	v_bfe_u32 v151, v9, 27, 4
	v_and_b32_e32 v9, 0x80000000, v9
	s_delay_alu instid0(VALU_DEP_3) | instskip(NEXT) | instid1(VALU_DEP_3)
	v_and_b32_e32 v13, 7, v13
	v_cmp_eq_u32_e64 s13, 0, v151
	s_delay_alu instid0(VALU_DEP_1) | instskip(NEXT) | instid1(VALU_DEP_3)
	v_cndmask_b32_e64 v150, v151, v150, s13
	v_cndmask_b32_e64 v13, v149, v13, s13
	s_delay_alu instid0(VALU_DEP_2) | instskip(NEXT) | instid1(VALU_DEP_2)
	v_lshl_add_u32 v149, v150, 23, 0x3b800000
	v_lshlrev_b32_e32 v13, 20, v13
	s_delay_alu instid0(VALU_DEP_1)
	v_or3_b32 v149, v9, v149, v13
.LBB2_2776:                             ;   in Loop: Header=BB2_2656 Depth=3
	s_or_b32 exec_lo, exec_lo, s14
	s_delay_alu instid0(VALU_DEP_1) | instskip(NEXT) | instid1(VALU_DEP_1)
	v_add_f32_e32 v13, v148, v149
	v_and_b32_e32 v9, 0x7f800000, v13
	s_delay_alu instid0(VALU_DEP_1) | instskip(SKIP_1) | instid1(VALU_DEP_2)
	v_cmp_ne_u32_e64 s13, 0x7f800000, v9
	v_mov_b32_e32 v9, 0x8000
	s_and_saveexec_b32 s3, s13
	s_cbranch_execz .LBB2_2784
; %bb.2777:                             ;   in Loop: Header=BB2_2656 Depth=3
	v_mov_b32_e32 v9, 0
	s_mov_b32 s17, exec_lo
	v_cmpx_ne_u32_e32 0, v13
	s_cbranch_execz .LBB2_2783
; %bb.2778:                             ;   in Loop: Header=BB2_2656 Depth=3
	v_bfe_u32 v9, v13, 23, 8
	v_and_b32_e32 v148, 0x7fffff, v13
	s_delay_alu instid0(VALU_DEP_2) | instskip(SKIP_1) | instid1(VALU_DEP_3)
	v_sub_nc_u32_e32 v149, 0x78, v9
	v_cmp_gt_u32_e64 s13, 0x79, v9
	v_or_b32_e32 v150, 0x800000, v148
	s_delay_alu instid0(VALU_DEP_2) | instskip(SKIP_2) | instid1(VALU_DEP_2)
	v_cndmask_b32_e64 v149, 0, v149, s13
	v_cmp_eq_u32_e64 s13, 0, v9
	v_add_nc_u32_e32 v9, 0xffffff89, v9
	v_cndmask_b32_e64 v149, v149, 0x77, s13
	v_cndmask_b32_e64 v148, v150, v148, s13
	s_delay_alu instid0(VALU_DEP_3) | instskip(NEXT) | instid1(VALU_DEP_3)
	v_cndmask_b32_e64 v9, v9, 0xffffff8a, s13
	v_lshl_add_u32 v150, 0x100000, v149, -1
	s_delay_alu instid0(VALU_DEP_3) | instskip(SKIP_1) | instid1(VALU_DEP_4)
	v_lshrrev_b32_e32 v151, v149, v148
	v_lshlrev_b32_e64 v161, v149, 0x80000
	v_add_nc_u32_e32 v149, v149, v9
	s_delay_alu instid0(VALU_DEP_4) | instskip(NEXT) | instid1(VALU_DEP_4)
	v_and_b32_e32 v148, v150, v148
	v_bfe_u32 v160, v151, 20, 1
	s_delay_alu instid0(VALU_DEP_2) | instskip(NEXT) | instid1(VALU_DEP_2)
	v_cmp_eq_u32_e64 s14, v148, v161
	v_add_nc_u32_e32 v150, -1, v160
	s_delay_alu instid0(VALU_DEP_1) | instskip(SKIP_2) | instid1(VALU_DEP_2)
	v_cndmask_b32_e64 v148, 0, v150, s14
	v_lshrrev_b32_e32 v150, 23, v151
	s_mov_b32 s14, exec_lo
	v_add_nc_u32_e32 v148, v148, v151
	s_delay_alu instid0(VALU_DEP_2) | instskip(NEXT) | instid1(VALU_DEP_2)
	v_xor_b32_e32 v150, 1, v150
	v_and_b32_e32 v9, 0xfffff, v148
	s_delay_alu instid0(VALU_DEP_1) | instskip(NEXT) | instid1(VALU_DEP_3)
	v_add_nc_u32_e32 v148, v9, v151
                                        ; implicit-def: $vgpr9
	v_cmpx_ne_u32_e64 v149, v150
	s_xor_b32 s14, exec_lo, s14
; %bb.2779:                             ;   in Loop: Header=BB2_2656 Depth=3
	s_delay_alu instid0(VALU_DEP_2) | instskip(SKIP_1) | instid1(VALU_DEP_2)
	v_cmp_lt_u32_e64 s13, 0xffffff, v148
	v_sub_nc_u32_e32 v9, v149, v150
	v_cndmask_b32_e64 v149, 0, 1, s13
	s_delay_alu instid0(VALU_DEP_2) | instskip(NEXT) | instid1(VALU_DEP_2)
	v_add_co_ci_u32_e64 v9, s13, 0, v9, s13
	v_lshrrev_b32_e32 v148, v149, v148
; %bb.2780:                             ;   in Loop: Header=BB2_2656 Depth=3
	s_and_not1_saveexec_b32 s13, s14
; %bb.2781:                             ;   in Loop: Header=BB2_2656 Depth=3
	s_delay_alu instid0(VALU_DEP_1)
	v_bfe_u32 v9, v148, 23, 1
; %bb.2782:                             ;   in Loop: Header=BB2_2656 Depth=3
	s_or_b32 exec_lo, exec_lo, s13
	v_lshrrev_b32_e32 v148, 20, v148
	s_delay_alu instid0(VALU_DEP_2) | instskip(SKIP_2) | instid1(VALU_DEP_3)
	v_min_i32_e32 v149, 15, v9
	v_cmp_gt_i32_e64 s13, 16, v9
	v_lshrrev_b32_e32 v13, 24, v13
	v_lshlrev_b32_e32 v149, 3, v149
	s_delay_alu instid0(VALU_DEP_3) | instskip(NEXT) | instid1(VALU_DEP_3)
	v_cndmask_b32_e64 v148, 7, v148, s13
	v_and_b32_e32 v13, 0x80, v13
	s_delay_alu instid0(VALU_DEP_3) | instskip(NEXT) | instid1(VALU_DEP_3)
	v_and_b32_e32 v149, 0xf8, v149
	v_and_b32_e32 v150, 7, v148
	v_or_b32_e32 v9, v9, v148
	s_delay_alu instid0(VALU_DEP_2) | instskip(NEXT) | instid1(VALU_DEP_2)
	v_or3_b32 v13, v13, v149, v150
	v_cmp_ne_u32_e64 s13, 0, v9
	s_delay_alu instid0(VALU_DEP_2) | instskip(NEXT) | instid1(VALU_DEP_1)
	v_lshlrev_b32_e32 v13, 8, v13
	v_cndmask_b32_e64 v9, 0, v13, s13
.LBB2_2783:                             ;   in Loop: Header=BB2_2656 Depth=3
	s_or_b32 exec_lo, exec_lo, s17
.LBB2_2784:                             ;   in Loop: Header=BB2_2656 Depth=3
	s_delay_alu instid0(SALU_CYCLE_1) | instskip(SKIP_3) | instid1(VALU_DEP_1)
	s_or_b32 exec_lo, exec_lo, s3
	v_and_b32_e32 v148, 0xff, v14
	s_mov_b32 s3, 0
	s_mov_b32 s17, exec_lo
                                        ; implicit-def: $sgpr14
	v_cmpx_lt_i16_e64 0x7f, v148
	s_xor_b32 s17, exec_lo, s17
	s_cbranch_execnz .LBB2_2974
; %bb.2785:                             ;   in Loop: Header=BB2_2656 Depth=3
	s_or_saveexec_b32 s17, s17
	v_mov_b32_e32 v13, s14
	s_xor_b32 exec_lo, exec_lo, s17
	s_cbranch_execnz .LBB2_2977
.LBB2_2786:                             ;   in Loop: Header=BB2_2656 Depth=3
	s_or_b32 exec_lo, exec_lo, s17
	s_and_saveexec_b32 s14, s3
	s_cbranch_execz .LBB2_2788
.LBB2_2787:                             ;   in Loop: Header=BB2_2656 Depth=3
	v_and_b32_e32 v13, 7, v14
	v_bfe_u32 v150, v14, 3, 4
	v_lshlrev_b32_e32 v151, 24, v14
	s_delay_alu instid0(VALU_DEP_3) | instskip(NEXT) | instid1(VALU_DEP_3)
	v_clz_i32_u32_e32 v148, v13
	v_cmp_eq_u32_e64 s13, 0, v150
	s_delay_alu instid0(VALU_DEP_2) | instskip(NEXT) | instid1(VALU_DEP_1)
	v_min_u32_e32 v148, 32, v148
	v_subrev_nc_u32_e32 v149, 28, v148
	v_sub_nc_u32_e32 v148, 29, v148
	s_delay_alu instid0(VALU_DEP_2) | instskip(NEXT) | instid1(VALU_DEP_2)
	v_lshlrev_b32_e32 v149, v149, v14
	v_cndmask_b32_e64 v148, v150, v148, s13
	s_delay_alu instid0(VALU_DEP_2) | instskip(NEXT) | instid1(VALU_DEP_2)
	v_and_b32_e32 v149, 7, v149
	v_lshl_add_u32 v148, v148, 23, 0x3b800000
	s_delay_alu instid0(VALU_DEP_2) | instskip(SKIP_1) | instid1(VALU_DEP_2)
	v_cndmask_b32_e64 v13, v13, v149, s13
	v_and_b32_e32 v149, 0x80000000, v151
	v_lshlrev_b32_e32 v13, 20, v13
	s_delay_alu instid0(VALU_DEP_1)
	v_or3_b32 v13, v149, v148, v13
.LBB2_2788:                             ;   in Loop: Header=BB2_2656 Depth=3
	s_or_b32 exec_lo, exec_lo, s14
	v_and_b32_e32 v149, 0xff, v10
	s_mov_b32 s3, 0
	s_mov_b32 s17, exec_lo
                                        ; implicit-def: $sgpr14
	s_delay_alu instid0(VALU_DEP_1)
	v_cmpx_lt_i16_e64 0x7f, v149
	s_xor_b32 s17, exec_lo, s17
	s_cbranch_execnz .LBB2_2978
; %bb.2789:                             ;   in Loop: Header=BB2_2656 Depth=3
	s_or_saveexec_b32 s17, s17
	v_mov_b32_e32 v148, s14
	s_xor_b32 exec_lo, exec_lo, s17
	s_cbranch_execnz .LBB2_2981
.LBB2_2790:                             ;   in Loop: Header=BB2_2656 Depth=3
	s_or_b32 exec_lo, exec_lo, s17
	s_and_saveexec_b32 s14, s3
	s_cbranch_execz .LBB2_2792
.LBB2_2791:                             ;   in Loop: Header=BB2_2656 Depth=3
	v_and_b32_e32 v148, 7, v10
	v_bfe_u32 v151, v10, 3, 4
	v_lshlrev_b32_e32 v160, 24, v10
	s_delay_alu instid0(VALU_DEP_3) | instskip(NEXT) | instid1(VALU_DEP_3)
	v_clz_i32_u32_e32 v149, v148
	v_cmp_eq_u32_e64 s13, 0, v151
	s_delay_alu instid0(VALU_DEP_2) | instskip(NEXT) | instid1(VALU_DEP_1)
	v_min_u32_e32 v149, 32, v149
	v_subrev_nc_u32_e32 v150, 28, v149
	v_sub_nc_u32_e32 v149, 29, v149
	s_delay_alu instid0(VALU_DEP_2) | instskip(NEXT) | instid1(VALU_DEP_2)
	v_lshlrev_b32_e32 v150, v150, v10
	v_cndmask_b32_e64 v149, v151, v149, s13
	s_delay_alu instid0(VALU_DEP_2) | instskip(NEXT) | instid1(VALU_DEP_2)
	v_and_b32_e32 v150, 7, v150
	v_lshl_add_u32 v149, v149, 23, 0x3b800000
	s_delay_alu instid0(VALU_DEP_2) | instskip(SKIP_1) | instid1(VALU_DEP_2)
	v_cndmask_b32_e64 v148, v148, v150, s13
	v_and_b32_e32 v150, 0x80000000, v160
	v_lshlrev_b32_e32 v148, 20, v148
	s_delay_alu instid0(VALU_DEP_1)
	v_or3_b32 v148, v150, v149, v148
.LBB2_2792:                             ;   in Loop: Header=BB2_2656 Depth=3
	s_or_b32 exec_lo, exec_lo, s14
	s_delay_alu instid0(VALU_DEP_1) | instskip(NEXT) | instid1(VALU_DEP_1)
	v_add_f32_e32 v148, v13, v148
	v_and_b32_e32 v13, 0x7f800000, v148
	s_delay_alu instid0(VALU_DEP_1) | instskip(SKIP_1) | instid1(VALU_DEP_2)
	v_cmp_ne_u32_e64 s13, 0x7f800000, v13
	v_mov_b32_e32 v13, 0x80
	s_and_saveexec_b32 s3, s13
	s_cbranch_execz .LBB2_2800
; %bb.2793:                             ;   in Loop: Header=BB2_2656 Depth=3
	v_mov_b32_e32 v13, 0
	s_mov_b32 s17, exec_lo
	v_cmpx_ne_u32_e32 0, v148
	s_cbranch_execz .LBB2_2799
; %bb.2794:                             ;   in Loop: Header=BB2_2656 Depth=3
	v_bfe_u32 v13, v148, 23, 8
	v_and_b32_e32 v149, 0x7fffff, v148
	s_delay_alu instid0(VALU_DEP_2) | instskip(SKIP_1) | instid1(VALU_DEP_3)
	v_sub_nc_u32_e32 v150, 0x78, v13
	v_cmp_gt_u32_e64 s13, 0x79, v13
	v_or_b32_e32 v151, 0x800000, v149
	s_delay_alu instid0(VALU_DEP_2) | instskip(SKIP_2) | instid1(VALU_DEP_2)
	v_cndmask_b32_e64 v150, 0, v150, s13
	v_cmp_eq_u32_e64 s13, 0, v13
	v_add_nc_u32_e32 v13, 0xffffff89, v13
	v_cndmask_b32_e64 v150, v150, 0x77, s13
	v_cndmask_b32_e64 v149, v151, v149, s13
	s_delay_alu instid0(VALU_DEP_3) | instskip(NEXT) | instid1(VALU_DEP_3)
	v_cndmask_b32_e64 v13, v13, 0xffffff8a, s13
	v_lshl_add_u32 v151, 0x100000, v150, -1
	s_delay_alu instid0(VALU_DEP_3) | instskip(SKIP_1) | instid1(VALU_DEP_4)
	v_lshrrev_b32_e32 v160, v150, v149
	v_lshlrev_b32_e64 v162, v150, 0x80000
	v_add_nc_u32_e32 v150, v150, v13
	s_delay_alu instid0(VALU_DEP_4) | instskip(NEXT) | instid1(VALU_DEP_4)
	v_and_b32_e32 v149, v151, v149
	v_bfe_u32 v161, v160, 20, 1
	s_delay_alu instid0(VALU_DEP_2) | instskip(NEXT) | instid1(VALU_DEP_2)
	v_cmp_eq_u32_e64 s14, v149, v162
	v_add_nc_u32_e32 v151, -1, v161
	s_delay_alu instid0(VALU_DEP_1) | instskip(SKIP_2) | instid1(VALU_DEP_2)
	v_cndmask_b32_e64 v149, 0, v151, s14
	v_lshrrev_b32_e32 v151, 23, v160
	s_mov_b32 s14, exec_lo
	v_add_nc_u32_e32 v149, v149, v160
	s_delay_alu instid0(VALU_DEP_2) | instskip(NEXT) | instid1(VALU_DEP_2)
	v_xor_b32_e32 v151, 1, v151
	v_and_b32_e32 v13, 0xfffff, v149
	s_delay_alu instid0(VALU_DEP_1) | instskip(NEXT) | instid1(VALU_DEP_3)
	v_add_nc_u32_e32 v149, v13, v160
                                        ; implicit-def: $vgpr13
	v_cmpx_ne_u32_e64 v150, v151
	s_xor_b32 s14, exec_lo, s14
; %bb.2795:                             ;   in Loop: Header=BB2_2656 Depth=3
	s_delay_alu instid0(VALU_DEP_2) | instskip(SKIP_1) | instid1(VALU_DEP_2)
	v_cmp_lt_u32_e64 s13, 0xffffff, v149
	v_sub_nc_u32_e32 v13, v150, v151
	v_cndmask_b32_e64 v150, 0, 1, s13
	s_delay_alu instid0(VALU_DEP_2) | instskip(NEXT) | instid1(VALU_DEP_2)
	v_add_co_ci_u32_e64 v13, s13, 0, v13, s13
	v_lshrrev_b32_e32 v149, v150, v149
; %bb.2796:                             ;   in Loop: Header=BB2_2656 Depth=3
	s_and_not1_saveexec_b32 s13, s14
; %bb.2797:                             ;   in Loop: Header=BB2_2656 Depth=3
	s_delay_alu instid0(VALU_DEP_1)
	v_bfe_u32 v13, v149, 23, 1
; %bb.2798:                             ;   in Loop: Header=BB2_2656 Depth=3
	s_or_b32 exec_lo, exec_lo, s13
	v_lshrrev_b32_e32 v149, 20, v149
	s_delay_alu instid0(VALU_DEP_2) | instskip(SKIP_2) | instid1(VALU_DEP_3)
	v_cmp_gt_i32_e64 s13, 16, v13
	v_lshrrev_b32_e32 v148, 24, v148
	v_min_i32_e32 v150, 15, v13
	v_cndmask_b32_e64 v149, 7, v149, s13
	s_delay_alu instid0(VALU_DEP_3) | instskip(NEXT) | instid1(VALU_DEP_3)
	v_and_b32_e32 v148, 0x80, v148
	v_lshlrev_b32_e32 v150, 3, v150
	s_delay_alu instid0(VALU_DEP_3) | instskip(SKIP_1) | instid1(VALU_DEP_2)
	v_and_b32_e32 v151, 7, v149
	v_or_b32_e32 v13, v13, v149
	v_or3_b32 v148, v150, v148, v151
	s_delay_alu instid0(VALU_DEP_2) | instskip(NEXT) | instid1(VALU_DEP_1)
	v_cmp_ne_u32_e64 s13, 0, v13
	v_cndmask_b32_e64 v13, 0, v148, s13
.LBB2_2799:                             ;   in Loop: Header=BB2_2656 Depth=3
	s_or_b32 exec_lo, exec_lo, s17
.LBB2_2800:                             ;   in Loop: Header=BB2_2656 Depth=3
	s_delay_alu instid0(SALU_CYCLE_1) | instskip(SKIP_3) | instid1(VALU_DEP_1)
	s_or_b32 exec_lo, exec_lo, s3
	v_lshrrev_b16 v149, 8, v14
	s_mov_b32 s3, 0
	s_mov_b32 s17, exec_lo
                                        ; implicit-def: $sgpr14
	v_cmpx_lt_i16_e64 0x7f, v149
	s_xor_b32 s17, exec_lo, s17
	s_cbranch_execnz .LBB2_2982
; %bb.2801:                             ;   in Loop: Header=BB2_2656 Depth=3
	s_or_saveexec_b32 s17, s17
	v_mov_b32_e32 v148, s14
	s_xor_b32 exec_lo, exec_lo, s17
	s_cbranch_execnz .LBB2_2985
.LBB2_2802:                             ;   in Loop: Header=BB2_2656 Depth=3
	s_or_b32 exec_lo, exec_lo, s17
	s_and_saveexec_b32 s14, s3
	s_cbranch_execz .LBB2_2804
.LBB2_2803:                             ;   in Loop: Header=BB2_2656 Depth=3
	v_and_b32_e32 v148, 0xffff, v149
	v_lshlrev_b32_e32 v149, 24, v149
	s_delay_alu instid0(VALU_DEP_2) | instskip(NEXT) | instid1(VALU_DEP_2)
	v_and_b32_e32 v150, 7, v148
	v_and_b32_e32 v149, 0x80000000, v149
	s_delay_alu instid0(VALU_DEP_2) | instskip(NEXT) | instid1(VALU_DEP_1)
	v_clz_i32_u32_e32 v151, v150
	v_min_u32_e32 v151, 32, v151
	s_delay_alu instid0(VALU_DEP_1) | instskip(SKIP_1) | instid1(VALU_DEP_2)
	v_subrev_nc_u32_e32 v160, 28, v151
	v_sub_nc_u32_e32 v151, 29, v151
	v_lshlrev_b32_e32 v160, v160, v148
	v_bfe_u32 v148, v148, 3, 4
	s_delay_alu instid0(VALU_DEP_2) | instskip(NEXT) | instid1(VALU_DEP_2)
	v_and_b32_e32 v160, 7, v160
	v_cmp_eq_u32_e64 s13, 0, v148
	s_delay_alu instid0(VALU_DEP_1) | instskip(NEXT) | instid1(VALU_DEP_3)
	v_cndmask_b32_e64 v148, v148, v151, s13
	v_cndmask_b32_e64 v150, v150, v160, s13
	s_delay_alu instid0(VALU_DEP_2) | instskip(NEXT) | instid1(VALU_DEP_2)
	v_lshl_add_u32 v148, v148, 23, 0x3b800000
	v_lshlrev_b32_e32 v150, 20, v150
	s_delay_alu instid0(VALU_DEP_1)
	v_or3_b32 v148, v149, v148, v150
.LBB2_2804:                             ;   in Loop: Header=BB2_2656 Depth=3
	s_or_b32 exec_lo, exec_lo, s14
	v_lshrrev_b16 v149, 8, v10
	s_mov_b32 s3, 0
	s_mov_b32 s17, exec_lo
                                        ; implicit-def: $sgpr14
	s_delay_alu instid0(VALU_DEP_1)
	v_cmpx_lt_i16_e64 0x7f, v149
	s_xor_b32 s17, exec_lo, s17
	s_cbranch_execnz .LBB2_2986
; %bb.2805:                             ;   in Loop: Header=BB2_2656 Depth=3
	s_or_saveexec_b32 s17, s17
	v_mov_b32_e32 v150, s14
	s_xor_b32 exec_lo, exec_lo, s17
	s_cbranch_execnz .LBB2_2989
.LBB2_2806:                             ;   in Loop: Header=BB2_2656 Depth=3
	s_or_b32 exec_lo, exec_lo, s17
	s_and_saveexec_b32 s14, s3
	s_cbranch_execz .LBB2_2808
.LBB2_2807:                             ;   in Loop: Header=BB2_2656 Depth=3
	v_and_b32_e32 v150, 0xffff, v149
	v_lshlrev_b32_e32 v149, 24, v149
	s_delay_alu instid0(VALU_DEP_2) | instskip(NEXT) | instid1(VALU_DEP_2)
	v_and_b32_e32 v151, 7, v150
	v_and_b32_e32 v149, 0x80000000, v149
	s_delay_alu instid0(VALU_DEP_2) | instskip(NEXT) | instid1(VALU_DEP_1)
	v_clz_i32_u32_e32 v160, v151
	v_min_u32_e32 v160, 32, v160
	s_delay_alu instid0(VALU_DEP_1) | instskip(SKIP_1) | instid1(VALU_DEP_2)
	v_subrev_nc_u32_e32 v161, 28, v160
	v_sub_nc_u32_e32 v160, 29, v160
	v_lshlrev_b32_e32 v161, v161, v150
	v_bfe_u32 v150, v150, 3, 4
	s_delay_alu instid0(VALU_DEP_2) | instskip(NEXT) | instid1(VALU_DEP_2)
	v_and_b32_e32 v161, 7, v161
	v_cmp_eq_u32_e64 s13, 0, v150
	s_delay_alu instid0(VALU_DEP_1) | instskip(NEXT) | instid1(VALU_DEP_3)
	v_cndmask_b32_e64 v150, v150, v160, s13
	v_cndmask_b32_e64 v151, v151, v161, s13
	s_delay_alu instid0(VALU_DEP_2) | instskip(NEXT) | instid1(VALU_DEP_2)
	v_lshl_add_u32 v150, v150, 23, 0x3b800000
	v_lshlrev_b32_e32 v151, 20, v151
	s_delay_alu instid0(VALU_DEP_1)
	v_or3_b32 v150, v149, v150, v151
.LBB2_2808:                             ;   in Loop: Header=BB2_2656 Depth=3
	s_or_b32 exec_lo, exec_lo, s14
	s_delay_alu instid0(VALU_DEP_1) | instskip(NEXT) | instid1(VALU_DEP_1)
	v_add_f32_e32 v149, v148, v150
	v_and_b32_e32 v148, 0x7f800000, v149
	s_delay_alu instid0(VALU_DEP_1) | instskip(SKIP_1) | instid1(VALU_DEP_2)
	v_cmp_ne_u32_e64 s13, 0x7f800000, v148
	v_mov_b32_e32 v148, 0x80
	s_and_saveexec_b32 s3, s13
	s_cbranch_execz .LBB2_2816
; %bb.2809:                             ;   in Loop: Header=BB2_2656 Depth=3
	v_mov_b32_e32 v148, 0
	s_mov_b32 s17, exec_lo
	v_cmpx_ne_u32_e32 0, v149
	s_cbranch_execz .LBB2_2815
; %bb.2810:                             ;   in Loop: Header=BB2_2656 Depth=3
	v_bfe_u32 v148, v149, 23, 8
	v_and_b32_e32 v150, 0x7fffff, v149
	s_delay_alu instid0(VALU_DEP_2) | instskip(SKIP_1) | instid1(VALU_DEP_3)
	v_sub_nc_u32_e32 v151, 0x78, v148
	v_cmp_gt_u32_e64 s13, 0x79, v148
	v_or_b32_e32 v160, 0x800000, v150
	s_delay_alu instid0(VALU_DEP_2) | instskip(SKIP_2) | instid1(VALU_DEP_2)
	v_cndmask_b32_e64 v151, 0, v151, s13
	v_cmp_eq_u32_e64 s13, 0, v148
	v_add_nc_u32_e32 v148, 0xffffff89, v148
	v_cndmask_b32_e64 v151, v151, 0x77, s13
	v_cndmask_b32_e64 v150, v160, v150, s13
	s_delay_alu instid0(VALU_DEP_3) | instskip(NEXT) | instid1(VALU_DEP_3)
	v_cndmask_b32_e64 v148, v148, 0xffffff8a, s13
	v_lshl_add_u32 v160, 0x100000, v151, -1
	s_delay_alu instid0(VALU_DEP_3) | instskip(SKIP_1) | instid1(VALU_DEP_4)
	v_lshrrev_b32_e32 v161, v151, v150
	v_lshlrev_b32_e64 v163, v151, 0x80000
	v_add_nc_u32_e32 v151, v151, v148
	s_delay_alu instid0(VALU_DEP_4) | instskip(NEXT) | instid1(VALU_DEP_4)
	v_and_b32_e32 v150, v160, v150
	v_bfe_u32 v162, v161, 20, 1
	s_delay_alu instid0(VALU_DEP_2) | instskip(NEXT) | instid1(VALU_DEP_2)
	v_cmp_eq_u32_e64 s14, v150, v163
	v_add_nc_u32_e32 v160, -1, v162
	s_delay_alu instid0(VALU_DEP_1) | instskip(SKIP_2) | instid1(VALU_DEP_2)
	v_cndmask_b32_e64 v150, 0, v160, s14
	v_lshrrev_b32_e32 v160, 23, v161
	s_mov_b32 s14, exec_lo
	v_add_nc_u32_e32 v150, v150, v161
	s_delay_alu instid0(VALU_DEP_2) | instskip(NEXT) | instid1(VALU_DEP_2)
	v_xor_b32_e32 v160, 1, v160
	v_and_b32_e32 v148, 0xfffff, v150
	s_delay_alu instid0(VALU_DEP_1) | instskip(NEXT) | instid1(VALU_DEP_3)
	v_add_nc_u32_e32 v150, v148, v161
                                        ; implicit-def: $vgpr148
	v_cmpx_ne_u32_e64 v151, v160
	s_xor_b32 s14, exec_lo, s14
; %bb.2811:                             ;   in Loop: Header=BB2_2656 Depth=3
	s_delay_alu instid0(VALU_DEP_2) | instskip(SKIP_1) | instid1(VALU_DEP_2)
	v_cmp_lt_u32_e64 s13, 0xffffff, v150
	v_sub_nc_u32_e32 v148, v151, v160
	v_cndmask_b32_e64 v151, 0, 1, s13
	s_delay_alu instid0(VALU_DEP_2) | instskip(NEXT) | instid1(VALU_DEP_2)
	v_add_co_ci_u32_e64 v148, s13, 0, v148, s13
	v_lshrrev_b32_e32 v150, v151, v150
; %bb.2812:                             ;   in Loop: Header=BB2_2656 Depth=3
	s_and_not1_saveexec_b32 s13, s14
; %bb.2813:                             ;   in Loop: Header=BB2_2656 Depth=3
	s_delay_alu instid0(VALU_DEP_1)
	v_bfe_u32 v148, v150, 23, 1
; %bb.2814:                             ;   in Loop: Header=BB2_2656 Depth=3
	s_or_b32 exec_lo, exec_lo, s13
	v_lshrrev_b32_e32 v150, 20, v150
	s_delay_alu instid0(VALU_DEP_2) | instskip(SKIP_2) | instid1(VALU_DEP_3)
	v_cmp_gt_i32_e64 s13, 16, v148
	v_lshrrev_b32_e32 v149, 24, v149
	v_min_i32_e32 v151, 15, v148
	v_cndmask_b32_e64 v150, 7, v150, s13
	s_delay_alu instid0(VALU_DEP_3) | instskip(NEXT) | instid1(VALU_DEP_3)
	v_and_b32_e32 v149, 0x80, v149
	v_lshlrev_b32_e32 v151, 3, v151
	s_delay_alu instid0(VALU_DEP_3) | instskip(SKIP_1) | instid1(VALU_DEP_2)
	v_and_b32_e32 v160, 7, v150
	v_or_b32_e32 v148, v148, v150
	v_or3_b32 v149, v151, v149, v160
	s_delay_alu instid0(VALU_DEP_2) | instskip(NEXT) | instid1(VALU_DEP_1)
	v_cmp_ne_u32_e64 s13, 0, v148
	v_cndmask_b32_e64 v148, 0, v149, s13
.LBB2_2815:                             ;   in Loop: Header=BB2_2656 Depth=3
	s_or_b32 exec_lo, exec_lo, s17
.LBB2_2816:                             ;   in Loop: Header=BB2_2656 Depth=3
	s_delay_alu instid0(SALU_CYCLE_1) | instskip(SKIP_3) | instid1(VALU_DEP_1)
	s_or_b32 exec_lo, exec_lo, s3
	v_lshrrev_b32_e32 v150, 16, v14
	s_mov_b32 s3, 0
	s_mov_b32 s17, exec_lo
                                        ; implicit-def: $sgpr14
	v_and_b32_e32 v151, 0xff, v150
	s_delay_alu instid0(VALU_DEP_1)
	v_cmpx_lt_i16_e64 0x7f, v151
	s_xor_b32 s17, exec_lo, s17
	s_cbranch_execnz .LBB2_2990
; %bb.2817:                             ;   in Loop: Header=BB2_2656 Depth=3
	s_or_saveexec_b32 s17, s17
	v_mov_b32_e32 v149, s14
	s_xor_b32 exec_lo, exec_lo, s17
	s_cbranch_execnz .LBB2_2993
.LBB2_2818:                             ;   in Loop: Header=BB2_2656 Depth=3
	s_or_b32 exec_lo, exec_lo, s17
	s_and_saveexec_b32 s14, s3
	s_cbranch_execz .LBB2_2820
.LBB2_2819:                             ;   in Loop: Header=BB2_2656 Depth=3
	v_bfe_u32 v149, v14, 16, 3
	v_lshlrev_b32_e32 v161, 8, v14
	s_delay_alu instid0(VALU_DEP_2) | instskip(NEXT) | instid1(VALU_DEP_1)
	v_clz_i32_u32_e32 v151, v149
	v_min_u32_e32 v151, 32, v151
	s_delay_alu instid0(VALU_DEP_1) | instskip(SKIP_1) | instid1(VALU_DEP_2)
	v_subrev_nc_u32_e32 v160, 28, v151
	v_sub_nc_u32_e32 v151, 29, v151
	v_lshlrev_b32_e32 v150, v160, v150
	v_bfe_u32 v160, v14, 19, 4
	s_delay_alu instid0(VALU_DEP_2) | instskip(NEXT) | instid1(VALU_DEP_2)
	v_and_b32_e32 v150, 7, v150
	v_cmp_eq_u32_e64 s13, 0, v160
	s_delay_alu instid0(VALU_DEP_1) | instskip(NEXT) | instid1(VALU_DEP_3)
	v_cndmask_b32_e64 v151, v160, v151, s13
	v_cndmask_b32_e64 v149, v149, v150, s13
	v_and_b32_e32 v150, 0x80000000, v161
	s_delay_alu instid0(VALU_DEP_3) | instskip(NEXT) | instid1(VALU_DEP_3)
	v_lshl_add_u32 v151, v151, 23, 0x3b800000
	v_lshlrev_b32_e32 v149, 20, v149
	s_delay_alu instid0(VALU_DEP_1)
	v_or3_b32 v149, v150, v151, v149
.LBB2_2820:                             ;   in Loop: Header=BB2_2656 Depth=3
	s_or_b32 exec_lo, exec_lo, s14
	v_lshrrev_b32_e32 v150, 16, v10
	s_mov_b32 s3, 0
	s_mov_b32 s17, exec_lo
                                        ; implicit-def: $sgpr14
	s_delay_alu instid0(VALU_DEP_1) | instskip(NEXT) | instid1(VALU_DEP_1)
	v_and_b32_e32 v160, 0xff, v150
	v_cmpx_lt_i16_e64 0x7f, v160
	s_xor_b32 s17, exec_lo, s17
	s_cbranch_execnz .LBB2_2994
; %bb.2821:                             ;   in Loop: Header=BB2_2656 Depth=3
	s_or_saveexec_b32 s17, s17
	v_mov_b32_e32 v151, s14
	s_xor_b32 exec_lo, exec_lo, s17
	s_cbranch_execnz .LBB2_2997
.LBB2_2822:                             ;   in Loop: Header=BB2_2656 Depth=3
	s_or_b32 exec_lo, exec_lo, s17
	s_and_saveexec_b32 s14, s3
	s_cbranch_execz .LBB2_2824
.LBB2_2823:                             ;   in Loop: Header=BB2_2656 Depth=3
	v_bfe_u32 v151, v10, 16, 3
	v_lshlrev_b32_e32 v162, 8, v10
	s_delay_alu instid0(VALU_DEP_2) | instskip(NEXT) | instid1(VALU_DEP_1)
	v_clz_i32_u32_e32 v160, v151
	v_min_u32_e32 v160, 32, v160
	s_delay_alu instid0(VALU_DEP_1) | instskip(SKIP_1) | instid1(VALU_DEP_2)
	v_subrev_nc_u32_e32 v161, 28, v160
	v_sub_nc_u32_e32 v160, 29, v160
	v_lshlrev_b32_e32 v150, v161, v150
	v_bfe_u32 v161, v10, 19, 4
	s_delay_alu instid0(VALU_DEP_2) | instskip(NEXT) | instid1(VALU_DEP_2)
	v_and_b32_e32 v150, 7, v150
	v_cmp_eq_u32_e64 s13, 0, v161
	s_delay_alu instid0(VALU_DEP_1) | instskip(NEXT) | instid1(VALU_DEP_3)
	v_cndmask_b32_e64 v160, v161, v160, s13
	v_cndmask_b32_e64 v150, v151, v150, s13
	v_and_b32_e32 v151, 0x80000000, v162
	s_delay_alu instid0(VALU_DEP_3) | instskip(NEXT) | instid1(VALU_DEP_3)
	v_lshl_add_u32 v160, v160, 23, 0x3b800000
	v_lshlrev_b32_e32 v150, 20, v150
	s_delay_alu instid0(VALU_DEP_1)
	v_or3_b32 v151, v151, v160, v150
.LBB2_2824:                             ;   in Loop: Header=BB2_2656 Depth=3
	s_or_b32 exec_lo, exec_lo, s14
	s_delay_alu instid0(VALU_DEP_1) | instskip(NEXT) | instid1(VALU_DEP_1)
	v_add_f32_e32 v150, v149, v151
	v_and_b32_e32 v149, 0x7f800000, v150
	s_delay_alu instid0(VALU_DEP_1) | instskip(SKIP_1) | instid1(VALU_DEP_2)
	v_cmp_ne_u32_e64 s13, 0x7f800000, v149
	v_mov_b32_e32 v149, 0x80
	s_and_saveexec_b32 s3, s13
	s_cbranch_execz .LBB2_2832
; %bb.2825:                             ;   in Loop: Header=BB2_2656 Depth=3
	v_mov_b32_e32 v149, 0
	s_mov_b32 s17, exec_lo
	v_cmpx_ne_u32_e32 0, v150
	s_cbranch_execz .LBB2_2831
; %bb.2826:                             ;   in Loop: Header=BB2_2656 Depth=3
	v_bfe_u32 v149, v150, 23, 8
	v_and_b32_e32 v151, 0x7fffff, v150
	s_delay_alu instid0(VALU_DEP_2) | instskip(SKIP_1) | instid1(VALU_DEP_3)
	v_sub_nc_u32_e32 v160, 0x78, v149
	v_cmp_gt_u32_e64 s13, 0x79, v149
	v_or_b32_e32 v161, 0x800000, v151
	s_delay_alu instid0(VALU_DEP_2) | instskip(SKIP_2) | instid1(VALU_DEP_2)
	v_cndmask_b32_e64 v160, 0, v160, s13
	v_cmp_eq_u32_e64 s13, 0, v149
	v_add_nc_u32_e32 v149, 0xffffff89, v149
	v_cndmask_b32_e64 v160, v160, 0x77, s13
	v_cndmask_b32_e64 v151, v161, v151, s13
	s_delay_alu instid0(VALU_DEP_3) | instskip(NEXT) | instid1(VALU_DEP_3)
	v_cndmask_b32_e64 v149, v149, 0xffffff8a, s13
	v_lshl_add_u32 v161, 0x100000, v160, -1
	s_delay_alu instid0(VALU_DEP_3) | instskip(SKIP_1) | instid1(VALU_DEP_4)
	v_lshrrev_b32_e32 v162, v160, v151
	v_lshlrev_b32_e64 v164, v160, 0x80000
	v_add_nc_u32_e32 v160, v160, v149
	s_delay_alu instid0(VALU_DEP_4) | instskip(NEXT) | instid1(VALU_DEP_4)
	v_and_b32_e32 v151, v161, v151
	v_bfe_u32 v163, v162, 20, 1
	s_delay_alu instid0(VALU_DEP_2) | instskip(NEXT) | instid1(VALU_DEP_2)
	v_cmp_eq_u32_e64 s14, v151, v164
	v_add_nc_u32_e32 v161, -1, v163
	s_delay_alu instid0(VALU_DEP_1) | instskip(SKIP_2) | instid1(VALU_DEP_2)
	v_cndmask_b32_e64 v151, 0, v161, s14
	v_lshrrev_b32_e32 v161, 23, v162
	s_mov_b32 s14, exec_lo
	v_add_nc_u32_e32 v151, v151, v162
	s_delay_alu instid0(VALU_DEP_2) | instskip(NEXT) | instid1(VALU_DEP_2)
	v_xor_b32_e32 v161, 1, v161
	v_and_b32_e32 v149, 0xfffff, v151
	s_delay_alu instid0(VALU_DEP_1) | instskip(NEXT) | instid1(VALU_DEP_3)
	v_add_nc_u32_e32 v151, v149, v162
                                        ; implicit-def: $vgpr149
	v_cmpx_ne_u32_e64 v160, v161
	s_xor_b32 s14, exec_lo, s14
; %bb.2827:                             ;   in Loop: Header=BB2_2656 Depth=3
	s_delay_alu instid0(VALU_DEP_2) | instskip(SKIP_1) | instid1(VALU_DEP_2)
	v_cmp_lt_u32_e64 s13, 0xffffff, v151
	v_sub_nc_u32_e32 v149, v160, v161
	v_cndmask_b32_e64 v160, 0, 1, s13
	s_delay_alu instid0(VALU_DEP_2) | instskip(NEXT) | instid1(VALU_DEP_2)
	v_add_co_ci_u32_e64 v149, s13, 0, v149, s13
	v_lshrrev_b32_e32 v151, v160, v151
; %bb.2828:                             ;   in Loop: Header=BB2_2656 Depth=3
	s_and_not1_saveexec_b32 s13, s14
; %bb.2829:                             ;   in Loop: Header=BB2_2656 Depth=3
	s_delay_alu instid0(VALU_DEP_1)
	v_bfe_u32 v149, v151, 23, 1
; %bb.2830:                             ;   in Loop: Header=BB2_2656 Depth=3
	s_or_b32 exec_lo, exec_lo, s13
	v_lshrrev_b32_e32 v151, 20, v151
	s_delay_alu instid0(VALU_DEP_2) | instskip(SKIP_2) | instid1(VALU_DEP_3)
	v_cmp_gt_i32_e64 s13, 16, v149
	v_lshrrev_b32_e32 v150, 24, v150
	v_min_i32_e32 v160, 15, v149
	v_cndmask_b32_e64 v151, 7, v151, s13
	s_delay_alu instid0(VALU_DEP_3) | instskip(NEXT) | instid1(VALU_DEP_3)
	v_and_b32_e32 v150, 0x80, v150
	v_lshlrev_b32_e32 v160, 3, v160
	s_delay_alu instid0(VALU_DEP_3) | instskip(SKIP_1) | instid1(VALU_DEP_2)
	v_and_b32_e32 v161, 7, v151
	v_or_b32_e32 v149, v149, v151
	v_or3_b32 v150, v160, v150, v161
	s_delay_alu instid0(VALU_DEP_2) | instskip(NEXT) | instid1(VALU_DEP_1)
	v_cmp_ne_u32_e64 s13, 0, v149
	v_cndmask_b32_e64 v149, 0, v150, s13
.LBB2_2831:                             ;   in Loop: Header=BB2_2656 Depth=3
	s_or_b32 exec_lo, exec_lo, s17
.LBB2_2832:                             ;   in Loop: Header=BB2_2656 Depth=3
	s_delay_alu instid0(SALU_CYCLE_1) | instskip(SKIP_3) | instid1(VALU_DEP_1)
	s_or_b32 exec_lo, exec_lo, s3
	v_lshrrev_b32_e32 v151, 24, v14
	s_mov_b32 s3, 0
	s_mov_b32 s17, exec_lo
                                        ; implicit-def: $sgpr14
	v_cmpx_lt_i16_e64 0x7f, v151
	s_xor_b32 s17, exec_lo, s17
	s_cbranch_execnz .LBB2_2998
; %bb.2833:                             ;   in Loop: Header=BB2_2656 Depth=3
	s_or_saveexec_b32 s17, s17
	v_mov_b32_e32 v150, s14
	s_xor_b32 exec_lo, exec_lo, s17
	s_cbranch_execnz .LBB2_3001
.LBB2_2834:                             ;   in Loop: Header=BB2_2656 Depth=3
	s_or_b32 exec_lo, exec_lo, s17
	s_and_saveexec_b32 s14, s3
	s_cbranch_execz .LBB2_2836
.LBB2_2835:                             ;   in Loop: Header=BB2_2656 Depth=3
	v_bfe_u32 v150, v14, 24, 3
	s_delay_alu instid0(VALU_DEP_1) | instskip(NEXT) | instid1(VALU_DEP_1)
	v_clz_i32_u32_e32 v160, v150
	v_min_u32_e32 v160, 32, v160
	s_delay_alu instid0(VALU_DEP_1) | instskip(SKIP_1) | instid1(VALU_DEP_2)
	v_subrev_nc_u32_e32 v161, 28, v160
	v_sub_nc_u32_e32 v160, 29, v160
	v_lshlrev_b32_e32 v151, v161, v151
	v_bfe_u32 v161, v14, 27, 4
	v_and_b32_e32 v14, 0x80000000, v14
	s_delay_alu instid0(VALU_DEP_3) | instskip(NEXT) | instid1(VALU_DEP_3)
	v_and_b32_e32 v151, 7, v151
	v_cmp_eq_u32_e64 s13, 0, v161
	s_delay_alu instid0(VALU_DEP_1) | instskip(NEXT) | instid1(VALU_DEP_3)
	v_cndmask_b32_e64 v160, v161, v160, s13
	v_cndmask_b32_e64 v150, v150, v151, s13
	s_delay_alu instid0(VALU_DEP_2) | instskip(NEXT) | instid1(VALU_DEP_2)
	v_lshl_add_u32 v151, v160, 23, 0x3b800000
	v_lshlrev_b32_e32 v150, 20, v150
	s_delay_alu instid0(VALU_DEP_1)
	v_or3_b32 v150, v14, v151, v150
.LBB2_2836:                             ;   in Loop: Header=BB2_2656 Depth=3
	s_or_b32 exec_lo, exec_lo, s14
	v_lshrrev_b32_e32 v14, 24, v10
	s_mov_b32 s3, 0
	s_mov_b32 s17, exec_lo
                                        ; implicit-def: $sgpr14
	s_delay_alu instid0(VALU_DEP_1)
	v_cmpx_lt_i16_e32 0x7f, v14
	s_xor_b32 s17, exec_lo, s17
	s_cbranch_execnz .LBB2_3002
; %bb.2837:                             ;   in Loop: Header=BB2_2656 Depth=3
	s_or_saveexec_b32 s17, s17
	v_mov_b32_e32 v151, s14
	s_xor_b32 exec_lo, exec_lo, s17
	s_cbranch_execnz .LBB2_3005
.LBB2_2838:                             ;   in Loop: Header=BB2_2656 Depth=3
	s_or_b32 exec_lo, exec_lo, s17
	s_and_saveexec_b32 s14, s3
	s_cbranch_execz .LBB2_2840
.LBB2_2839:                             ;   in Loop: Header=BB2_2656 Depth=3
	v_bfe_u32 v151, v10, 24, 3
	s_delay_alu instid0(VALU_DEP_1) | instskip(NEXT) | instid1(VALU_DEP_1)
	v_clz_i32_u32_e32 v160, v151
	v_min_u32_e32 v160, 32, v160
	s_delay_alu instid0(VALU_DEP_1) | instskip(SKIP_1) | instid1(VALU_DEP_2)
	v_subrev_nc_u32_e32 v161, 28, v160
	v_sub_nc_u32_e32 v160, 29, v160
	v_lshlrev_b32_e32 v14, v161, v14
	v_bfe_u32 v161, v10, 27, 4
	v_and_b32_e32 v10, 0x80000000, v10
	s_delay_alu instid0(VALU_DEP_3) | instskip(NEXT) | instid1(VALU_DEP_3)
	v_and_b32_e32 v14, 7, v14
	v_cmp_eq_u32_e64 s13, 0, v161
	s_delay_alu instid0(VALU_DEP_1) | instskip(NEXT) | instid1(VALU_DEP_3)
	v_cndmask_b32_e64 v160, v161, v160, s13
	v_cndmask_b32_e64 v14, v151, v14, s13
	s_delay_alu instid0(VALU_DEP_2) | instskip(NEXT) | instid1(VALU_DEP_2)
	v_lshl_add_u32 v151, v160, 23, 0x3b800000
	v_lshlrev_b32_e32 v14, 20, v14
	s_delay_alu instid0(VALU_DEP_1)
	v_or3_b32 v151, v10, v151, v14
.LBB2_2840:                             ;   in Loop: Header=BB2_2656 Depth=3
	s_or_b32 exec_lo, exec_lo, s14
	s_delay_alu instid0(VALU_DEP_1) | instskip(NEXT) | instid1(VALU_DEP_1)
	v_add_f32_e32 v14, v150, v151
	v_and_b32_e32 v10, 0x7f800000, v14
	s_delay_alu instid0(VALU_DEP_1) | instskip(SKIP_1) | instid1(VALU_DEP_2)
	v_cmp_ne_u32_e64 s13, 0x7f800000, v10
	v_mov_b32_e32 v10, 0x80
	s_and_saveexec_b32 s3, s13
	s_cbranch_execz .LBB2_2848
; %bb.2841:                             ;   in Loop: Header=BB2_2656 Depth=3
	v_mov_b32_e32 v10, 0
	s_mov_b32 s17, exec_lo
	v_cmpx_ne_u32_e32 0, v14
	s_cbranch_execz .LBB2_2847
; %bb.2842:                             ;   in Loop: Header=BB2_2656 Depth=3
	v_bfe_u32 v10, v14, 23, 8
	v_and_b32_e32 v150, 0x7fffff, v14
	s_delay_alu instid0(VALU_DEP_2) | instskip(SKIP_1) | instid1(VALU_DEP_3)
	v_sub_nc_u32_e32 v151, 0x78, v10
	v_cmp_gt_u32_e64 s13, 0x79, v10
	v_or_b32_e32 v160, 0x800000, v150
	s_delay_alu instid0(VALU_DEP_2) | instskip(SKIP_2) | instid1(VALU_DEP_2)
	v_cndmask_b32_e64 v151, 0, v151, s13
	v_cmp_eq_u32_e64 s13, 0, v10
	v_add_nc_u32_e32 v10, 0xffffff89, v10
	v_cndmask_b32_e64 v151, v151, 0x77, s13
	v_cndmask_b32_e64 v150, v160, v150, s13
	s_delay_alu instid0(VALU_DEP_3) | instskip(NEXT) | instid1(VALU_DEP_3)
	v_cndmask_b32_e64 v10, v10, 0xffffff8a, s13
	v_lshl_add_u32 v160, 0x100000, v151, -1
	s_delay_alu instid0(VALU_DEP_3) | instskip(SKIP_1) | instid1(VALU_DEP_4)
	v_lshrrev_b32_e32 v161, v151, v150
	v_lshlrev_b32_e64 v163, v151, 0x80000
	v_add_nc_u32_e32 v151, v151, v10
	s_delay_alu instid0(VALU_DEP_4) | instskip(NEXT) | instid1(VALU_DEP_4)
	v_and_b32_e32 v150, v160, v150
	v_bfe_u32 v162, v161, 20, 1
	s_delay_alu instid0(VALU_DEP_2) | instskip(NEXT) | instid1(VALU_DEP_2)
	v_cmp_eq_u32_e64 s14, v150, v163
	v_add_nc_u32_e32 v160, -1, v162
	s_delay_alu instid0(VALU_DEP_1) | instskip(SKIP_2) | instid1(VALU_DEP_2)
	v_cndmask_b32_e64 v150, 0, v160, s14
	v_lshrrev_b32_e32 v160, 23, v161
	s_mov_b32 s14, exec_lo
	v_add_nc_u32_e32 v150, v150, v161
	s_delay_alu instid0(VALU_DEP_2) | instskip(NEXT) | instid1(VALU_DEP_2)
	v_xor_b32_e32 v160, 1, v160
	v_and_b32_e32 v10, 0xfffff, v150
	s_delay_alu instid0(VALU_DEP_1) | instskip(NEXT) | instid1(VALU_DEP_3)
	v_add_nc_u32_e32 v150, v10, v161
                                        ; implicit-def: $vgpr10
	v_cmpx_ne_u32_e64 v151, v160
	s_xor_b32 s14, exec_lo, s14
; %bb.2843:                             ;   in Loop: Header=BB2_2656 Depth=3
	s_delay_alu instid0(VALU_DEP_2) | instskip(SKIP_1) | instid1(VALU_DEP_2)
	v_cmp_lt_u32_e64 s13, 0xffffff, v150
	v_sub_nc_u32_e32 v10, v151, v160
	v_cndmask_b32_e64 v151, 0, 1, s13
	s_delay_alu instid0(VALU_DEP_2) | instskip(NEXT) | instid1(VALU_DEP_2)
	v_add_co_ci_u32_e64 v10, s13, 0, v10, s13
	v_lshrrev_b32_e32 v150, v151, v150
; %bb.2844:                             ;   in Loop: Header=BB2_2656 Depth=3
	s_and_not1_saveexec_b32 s13, s14
; %bb.2845:                             ;   in Loop: Header=BB2_2656 Depth=3
	s_delay_alu instid0(VALU_DEP_1)
	v_bfe_u32 v10, v150, 23, 1
; %bb.2846:                             ;   in Loop: Header=BB2_2656 Depth=3
	s_or_b32 exec_lo, exec_lo, s13
	v_lshrrev_b32_e32 v150, 20, v150
	s_delay_alu instid0(VALU_DEP_2) | instskip(SKIP_2) | instid1(VALU_DEP_3)
	v_cmp_gt_i32_e64 s13, 16, v10
	v_lshrrev_b32_e32 v14, 24, v14
	v_min_i32_e32 v151, 15, v10
	v_cndmask_b32_e64 v150, 7, v150, s13
	s_delay_alu instid0(VALU_DEP_3) | instskip(NEXT) | instid1(VALU_DEP_3)
	v_and_b32_e32 v14, 0x80, v14
	v_lshlrev_b32_e32 v151, 3, v151
	s_delay_alu instid0(VALU_DEP_3) | instskip(SKIP_1) | instid1(VALU_DEP_2)
	v_and_b32_e32 v160, 7, v150
	v_or_b32_e32 v10, v10, v150
	v_or3_b32 v14, v151, v14, v160
	s_delay_alu instid0(VALU_DEP_2) | instskip(NEXT) | instid1(VALU_DEP_1)
	v_cmp_ne_u32_e64 s13, 0, v10
	v_cndmask_b32_e64 v10, 0, v14, s13
.LBB2_2847:                             ;   in Loop: Header=BB2_2656 Depth=3
	s_or_b32 exec_lo, exec_lo, s17
.LBB2_2848:                             ;   in Loop: Header=BB2_2656 Depth=3
	s_delay_alu instid0(SALU_CYCLE_1) | instskip(SKIP_3) | instid1(VALU_DEP_1)
	s_or_b32 exec_lo, exec_lo, s3
	v_and_b32_e32 v150, 0xff, v15
	s_mov_b32 s3, 0
	s_mov_b32 s17, exec_lo
                                        ; implicit-def: $sgpr14
	v_cmpx_lt_i16_e64 0x7f, v150
	s_xor_b32 s17, exec_lo, s17
	s_cbranch_execnz .LBB2_3006
; %bb.2849:                             ;   in Loop: Header=BB2_2656 Depth=3
	s_or_saveexec_b32 s17, s17
	v_mov_b32_e32 v14, s14
	s_xor_b32 exec_lo, exec_lo, s17
	s_cbranch_execnz .LBB2_3009
.LBB2_2850:                             ;   in Loop: Header=BB2_2656 Depth=3
	s_or_b32 exec_lo, exec_lo, s17
	s_and_saveexec_b32 s14, s3
	s_cbranch_execz .LBB2_2852
.LBB2_2851:                             ;   in Loop: Header=BB2_2656 Depth=3
	v_and_b32_e32 v14, 7, v15
	v_bfe_u32 v160, v15, 3, 4
	v_lshlrev_b32_e32 v161, 24, v15
	s_delay_alu instid0(VALU_DEP_3) | instskip(NEXT) | instid1(VALU_DEP_3)
	v_clz_i32_u32_e32 v150, v14
	v_cmp_eq_u32_e64 s13, 0, v160
	s_delay_alu instid0(VALU_DEP_2) | instskip(NEXT) | instid1(VALU_DEP_1)
	v_min_u32_e32 v150, 32, v150
	v_subrev_nc_u32_e32 v151, 28, v150
	v_sub_nc_u32_e32 v150, 29, v150
	s_delay_alu instid0(VALU_DEP_2) | instskip(NEXT) | instid1(VALU_DEP_2)
	v_lshlrev_b32_e32 v151, v151, v15
	v_cndmask_b32_e64 v150, v160, v150, s13
	s_delay_alu instid0(VALU_DEP_2) | instskip(NEXT) | instid1(VALU_DEP_2)
	v_and_b32_e32 v151, 7, v151
	v_lshl_add_u32 v150, v150, 23, 0x3b800000
	s_delay_alu instid0(VALU_DEP_2) | instskip(SKIP_1) | instid1(VALU_DEP_2)
	v_cndmask_b32_e64 v14, v14, v151, s13
	v_and_b32_e32 v151, 0x80000000, v161
	v_lshlrev_b32_e32 v14, 20, v14
	s_delay_alu instid0(VALU_DEP_1)
	v_or3_b32 v14, v151, v150, v14
.LBB2_2852:                             ;   in Loop: Header=BB2_2656 Depth=3
	s_or_b32 exec_lo, exec_lo, s14
	v_and_b32_e32 v151, 0xff, v11
	s_mov_b32 s3, 0
	s_mov_b32 s17, exec_lo
                                        ; implicit-def: $sgpr14
	s_delay_alu instid0(VALU_DEP_1)
	v_cmpx_lt_i16_e64 0x7f, v151
	s_xor_b32 s17, exec_lo, s17
	s_cbranch_execnz .LBB2_3010
; %bb.2853:                             ;   in Loop: Header=BB2_2656 Depth=3
	s_or_saveexec_b32 s17, s17
	v_mov_b32_e32 v150, s14
	s_xor_b32 exec_lo, exec_lo, s17
	s_cbranch_execnz .LBB2_3013
.LBB2_2854:                             ;   in Loop: Header=BB2_2656 Depth=3
	s_or_b32 exec_lo, exec_lo, s17
	s_and_saveexec_b32 s14, s3
	s_cbranch_execz .LBB2_2856
.LBB2_2855:                             ;   in Loop: Header=BB2_2656 Depth=3
	v_and_b32_e32 v150, 7, v11
	v_bfe_u32 v161, v11, 3, 4
	v_lshlrev_b32_e32 v162, 24, v11
	s_delay_alu instid0(VALU_DEP_3) | instskip(NEXT) | instid1(VALU_DEP_3)
	v_clz_i32_u32_e32 v151, v150
	v_cmp_eq_u32_e64 s13, 0, v161
	s_delay_alu instid0(VALU_DEP_2) | instskip(NEXT) | instid1(VALU_DEP_1)
	v_min_u32_e32 v151, 32, v151
	v_subrev_nc_u32_e32 v160, 28, v151
	v_sub_nc_u32_e32 v151, 29, v151
	s_delay_alu instid0(VALU_DEP_2) | instskip(NEXT) | instid1(VALU_DEP_2)
	v_lshlrev_b32_e32 v160, v160, v11
	v_cndmask_b32_e64 v151, v161, v151, s13
	s_delay_alu instid0(VALU_DEP_2) | instskip(NEXT) | instid1(VALU_DEP_2)
	v_and_b32_e32 v160, 7, v160
	v_lshl_add_u32 v151, v151, 23, 0x3b800000
	s_delay_alu instid0(VALU_DEP_2) | instskip(SKIP_1) | instid1(VALU_DEP_2)
	v_cndmask_b32_e64 v150, v150, v160, s13
	v_and_b32_e32 v160, 0x80000000, v162
	v_lshlrev_b32_e32 v150, 20, v150
	s_delay_alu instid0(VALU_DEP_1)
	v_or3_b32 v150, v160, v151, v150
.LBB2_2856:                             ;   in Loop: Header=BB2_2656 Depth=3
	s_or_b32 exec_lo, exec_lo, s14
	s_delay_alu instid0(VALU_DEP_1) | instskip(NEXT) | instid1(VALU_DEP_1)
	v_add_f32_e32 v150, v14, v150
	v_and_b32_e32 v14, 0x7f800000, v150
	s_delay_alu instid0(VALU_DEP_1) | instskip(SKIP_1) | instid1(VALU_DEP_2)
	v_cmp_ne_u32_e64 s13, 0x7f800000, v14
	v_mov_b32_e32 v14, 0x80
	s_and_saveexec_b32 s3, s13
	s_cbranch_execz .LBB2_2864
; %bb.2857:                             ;   in Loop: Header=BB2_2656 Depth=3
	v_mov_b32_e32 v14, 0
	s_mov_b32 s17, exec_lo
	v_cmpx_ne_u32_e32 0, v150
	s_cbranch_execz .LBB2_2863
; %bb.2858:                             ;   in Loop: Header=BB2_2656 Depth=3
	v_bfe_u32 v14, v150, 23, 8
	v_and_b32_e32 v151, 0x7fffff, v150
	s_delay_alu instid0(VALU_DEP_2) | instskip(SKIP_1) | instid1(VALU_DEP_3)
	v_sub_nc_u32_e32 v160, 0x78, v14
	v_cmp_gt_u32_e64 s13, 0x79, v14
	v_or_b32_e32 v161, 0x800000, v151
	s_delay_alu instid0(VALU_DEP_2) | instskip(SKIP_2) | instid1(VALU_DEP_2)
	v_cndmask_b32_e64 v160, 0, v160, s13
	v_cmp_eq_u32_e64 s13, 0, v14
	v_add_nc_u32_e32 v14, 0xffffff89, v14
	v_cndmask_b32_e64 v160, v160, 0x77, s13
	v_cndmask_b32_e64 v151, v161, v151, s13
	s_delay_alu instid0(VALU_DEP_3) | instskip(NEXT) | instid1(VALU_DEP_3)
	v_cndmask_b32_e64 v14, v14, 0xffffff8a, s13
	v_lshl_add_u32 v161, 0x100000, v160, -1
	s_delay_alu instid0(VALU_DEP_3) | instskip(SKIP_1) | instid1(VALU_DEP_4)
	v_lshrrev_b32_e32 v162, v160, v151
	v_lshlrev_b32_e64 v164, v160, 0x80000
	v_add_nc_u32_e32 v160, v160, v14
	s_delay_alu instid0(VALU_DEP_4) | instskip(NEXT) | instid1(VALU_DEP_4)
	v_and_b32_e32 v151, v161, v151
	v_bfe_u32 v163, v162, 20, 1
	s_delay_alu instid0(VALU_DEP_2) | instskip(NEXT) | instid1(VALU_DEP_2)
	v_cmp_eq_u32_e64 s14, v151, v164
	v_add_nc_u32_e32 v161, -1, v163
	s_delay_alu instid0(VALU_DEP_1) | instskip(SKIP_2) | instid1(VALU_DEP_2)
	v_cndmask_b32_e64 v151, 0, v161, s14
	v_lshrrev_b32_e32 v161, 23, v162
	s_mov_b32 s14, exec_lo
	v_add_nc_u32_e32 v151, v151, v162
	s_delay_alu instid0(VALU_DEP_2) | instskip(NEXT) | instid1(VALU_DEP_2)
	v_xor_b32_e32 v161, 1, v161
	v_and_b32_e32 v14, 0xfffff, v151
	s_delay_alu instid0(VALU_DEP_1) | instskip(NEXT) | instid1(VALU_DEP_3)
	v_add_nc_u32_e32 v151, v14, v162
                                        ; implicit-def: $vgpr14
	v_cmpx_ne_u32_e64 v160, v161
	s_xor_b32 s14, exec_lo, s14
; %bb.2859:                             ;   in Loop: Header=BB2_2656 Depth=3
	s_delay_alu instid0(VALU_DEP_2) | instskip(SKIP_1) | instid1(VALU_DEP_2)
	v_cmp_lt_u32_e64 s13, 0xffffff, v151
	v_sub_nc_u32_e32 v14, v160, v161
	v_cndmask_b32_e64 v160, 0, 1, s13
	s_delay_alu instid0(VALU_DEP_2) | instskip(NEXT) | instid1(VALU_DEP_2)
	v_add_co_ci_u32_e64 v14, s13, 0, v14, s13
	v_lshrrev_b32_e32 v151, v160, v151
; %bb.2860:                             ;   in Loop: Header=BB2_2656 Depth=3
	s_and_not1_saveexec_b32 s13, s14
; %bb.2861:                             ;   in Loop: Header=BB2_2656 Depth=3
	s_delay_alu instid0(VALU_DEP_1)
	v_bfe_u32 v14, v151, 23, 1
; %bb.2862:                             ;   in Loop: Header=BB2_2656 Depth=3
	s_or_b32 exec_lo, exec_lo, s13
	v_lshrrev_b32_e32 v151, 20, v151
	s_delay_alu instid0(VALU_DEP_2) | instskip(SKIP_2) | instid1(VALU_DEP_3)
	v_cmp_gt_i32_e64 s13, 16, v14
	v_lshrrev_b32_e32 v150, 24, v150
	v_min_i32_e32 v160, 15, v14
	v_cndmask_b32_e64 v151, 7, v151, s13
	s_delay_alu instid0(VALU_DEP_3) | instskip(NEXT) | instid1(VALU_DEP_3)
	v_and_b32_e32 v150, 0x80, v150
	v_lshlrev_b32_e32 v160, 3, v160
	s_delay_alu instid0(VALU_DEP_3) | instskip(SKIP_1) | instid1(VALU_DEP_2)
	v_and_b32_e32 v161, 7, v151
	v_or_b32_e32 v14, v14, v151
	v_or3_b32 v150, v160, v150, v161
	s_delay_alu instid0(VALU_DEP_2) | instskip(NEXT) | instid1(VALU_DEP_1)
	v_cmp_ne_u32_e64 s13, 0, v14
	v_cndmask_b32_e64 v14, 0, v150, s13
.LBB2_2863:                             ;   in Loop: Header=BB2_2656 Depth=3
	s_or_b32 exec_lo, exec_lo, s17
.LBB2_2864:                             ;   in Loop: Header=BB2_2656 Depth=3
	s_delay_alu instid0(SALU_CYCLE_1) | instskip(SKIP_3) | instid1(VALU_DEP_1)
	s_or_b32 exec_lo, exec_lo, s3
	v_lshrrev_b16 v151, 8, v15
	s_mov_b32 s3, 0
	s_mov_b32 s17, exec_lo
                                        ; implicit-def: $sgpr14
	v_cmpx_lt_i16_e64 0x7f, v151
	s_xor_b32 s17, exec_lo, s17
	s_cbranch_execnz .LBB2_3014
; %bb.2865:                             ;   in Loop: Header=BB2_2656 Depth=3
	s_or_saveexec_b32 s17, s17
	v_mov_b32_e32 v150, s14
	s_xor_b32 exec_lo, exec_lo, s17
	s_cbranch_execnz .LBB2_3017
.LBB2_2866:                             ;   in Loop: Header=BB2_2656 Depth=3
	s_or_b32 exec_lo, exec_lo, s17
	s_and_saveexec_b32 s14, s3
	s_cbranch_execz .LBB2_2868
.LBB2_2867:                             ;   in Loop: Header=BB2_2656 Depth=3
	v_and_b32_e32 v150, 0xffff, v151
	v_lshlrev_b32_e32 v151, 24, v151
	s_delay_alu instid0(VALU_DEP_2) | instskip(NEXT) | instid1(VALU_DEP_2)
	v_and_b32_e32 v160, 7, v150
	v_and_b32_e32 v151, 0x80000000, v151
	s_delay_alu instid0(VALU_DEP_2) | instskip(NEXT) | instid1(VALU_DEP_1)
	v_clz_i32_u32_e32 v161, v160
	v_min_u32_e32 v161, 32, v161
	s_delay_alu instid0(VALU_DEP_1) | instskip(SKIP_1) | instid1(VALU_DEP_2)
	v_subrev_nc_u32_e32 v162, 28, v161
	v_sub_nc_u32_e32 v161, 29, v161
	v_lshlrev_b32_e32 v162, v162, v150
	v_bfe_u32 v150, v150, 3, 4
	s_delay_alu instid0(VALU_DEP_2) | instskip(NEXT) | instid1(VALU_DEP_2)
	v_and_b32_e32 v162, 7, v162
	v_cmp_eq_u32_e64 s13, 0, v150
	s_delay_alu instid0(VALU_DEP_1) | instskip(NEXT) | instid1(VALU_DEP_3)
	v_cndmask_b32_e64 v150, v150, v161, s13
	v_cndmask_b32_e64 v160, v160, v162, s13
	s_delay_alu instid0(VALU_DEP_2) | instskip(NEXT) | instid1(VALU_DEP_2)
	v_lshl_add_u32 v150, v150, 23, 0x3b800000
	v_lshlrev_b32_e32 v160, 20, v160
	s_delay_alu instid0(VALU_DEP_1)
	v_or3_b32 v150, v151, v150, v160
.LBB2_2868:                             ;   in Loop: Header=BB2_2656 Depth=3
	s_or_b32 exec_lo, exec_lo, s14
	v_lshrrev_b16 v151, 8, v11
	s_mov_b32 s3, 0
	s_mov_b32 s17, exec_lo
                                        ; implicit-def: $sgpr14
	s_delay_alu instid0(VALU_DEP_1)
	v_cmpx_lt_i16_e64 0x7f, v151
	s_xor_b32 s17, exec_lo, s17
	s_cbranch_execnz .LBB2_3018
; %bb.2869:                             ;   in Loop: Header=BB2_2656 Depth=3
	s_or_saveexec_b32 s17, s17
	v_mov_b32_e32 v160, s14
	s_xor_b32 exec_lo, exec_lo, s17
	s_cbranch_execnz .LBB2_3021
.LBB2_2870:                             ;   in Loop: Header=BB2_2656 Depth=3
	s_or_b32 exec_lo, exec_lo, s17
	s_and_saveexec_b32 s14, s3
	s_cbranch_execz .LBB2_2872
.LBB2_2871:                             ;   in Loop: Header=BB2_2656 Depth=3
	v_and_b32_e32 v160, 0xffff, v151
	v_lshlrev_b32_e32 v151, 24, v151
	s_delay_alu instid0(VALU_DEP_2) | instskip(NEXT) | instid1(VALU_DEP_2)
	v_and_b32_e32 v161, 7, v160
	v_and_b32_e32 v151, 0x80000000, v151
	s_delay_alu instid0(VALU_DEP_2) | instskip(NEXT) | instid1(VALU_DEP_1)
	v_clz_i32_u32_e32 v162, v161
	v_min_u32_e32 v162, 32, v162
	s_delay_alu instid0(VALU_DEP_1) | instskip(SKIP_1) | instid1(VALU_DEP_2)
	v_subrev_nc_u32_e32 v163, 28, v162
	v_sub_nc_u32_e32 v162, 29, v162
	v_lshlrev_b32_e32 v163, v163, v160
	v_bfe_u32 v160, v160, 3, 4
	s_delay_alu instid0(VALU_DEP_2) | instskip(NEXT) | instid1(VALU_DEP_2)
	v_and_b32_e32 v163, 7, v163
	v_cmp_eq_u32_e64 s13, 0, v160
	s_delay_alu instid0(VALU_DEP_1) | instskip(NEXT) | instid1(VALU_DEP_3)
	v_cndmask_b32_e64 v160, v160, v162, s13
	v_cndmask_b32_e64 v161, v161, v163, s13
	s_delay_alu instid0(VALU_DEP_2) | instskip(NEXT) | instid1(VALU_DEP_2)
	v_lshl_add_u32 v160, v160, 23, 0x3b800000
	v_lshlrev_b32_e32 v161, 20, v161
	s_delay_alu instid0(VALU_DEP_1)
	v_or3_b32 v160, v151, v160, v161
.LBB2_2872:                             ;   in Loop: Header=BB2_2656 Depth=3
	s_or_b32 exec_lo, exec_lo, s14
	s_delay_alu instid0(VALU_DEP_1) | instskip(NEXT) | instid1(VALU_DEP_1)
	v_add_f32_e32 v151, v150, v160
	v_and_b32_e32 v150, 0x7f800000, v151
	s_delay_alu instid0(VALU_DEP_1) | instskip(SKIP_1) | instid1(VALU_DEP_2)
	v_cmp_ne_u32_e64 s13, 0x7f800000, v150
	v_mov_b32_e32 v150, 0x8000
	s_and_saveexec_b32 s3, s13
	s_cbranch_execz .LBB2_2880
; %bb.2873:                             ;   in Loop: Header=BB2_2656 Depth=3
	v_mov_b32_e32 v150, 0
	s_mov_b32 s17, exec_lo
	v_cmpx_ne_u32_e32 0, v151
	s_cbranch_execz .LBB2_2879
; %bb.2874:                             ;   in Loop: Header=BB2_2656 Depth=3
	v_bfe_u32 v150, v151, 23, 8
	v_and_b32_e32 v160, 0x7fffff, v151
	s_delay_alu instid0(VALU_DEP_2) | instskip(SKIP_1) | instid1(VALU_DEP_3)
	v_sub_nc_u32_e32 v161, 0x78, v150
	v_cmp_gt_u32_e64 s13, 0x79, v150
	v_or_b32_e32 v162, 0x800000, v160
	s_delay_alu instid0(VALU_DEP_2) | instskip(SKIP_2) | instid1(VALU_DEP_2)
	v_cndmask_b32_e64 v161, 0, v161, s13
	v_cmp_eq_u32_e64 s13, 0, v150
	v_add_nc_u32_e32 v150, 0xffffff89, v150
	v_cndmask_b32_e64 v161, v161, 0x77, s13
	v_cndmask_b32_e64 v160, v162, v160, s13
	s_delay_alu instid0(VALU_DEP_3) | instskip(NEXT) | instid1(VALU_DEP_3)
	v_cndmask_b32_e64 v150, v150, 0xffffff8a, s13
	v_lshl_add_u32 v162, 0x100000, v161, -1
	s_delay_alu instid0(VALU_DEP_3) | instskip(SKIP_1) | instid1(VALU_DEP_4)
	v_lshrrev_b32_e32 v163, v161, v160
	v_lshlrev_b32_e64 v165, v161, 0x80000
	v_add_nc_u32_e32 v161, v161, v150
	s_delay_alu instid0(VALU_DEP_4) | instskip(NEXT) | instid1(VALU_DEP_4)
	v_and_b32_e32 v160, v162, v160
	v_bfe_u32 v164, v163, 20, 1
	s_delay_alu instid0(VALU_DEP_2) | instskip(NEXT) | instid1(VALU_DEP_2)
	v_cmp_eq_u32_e64 s14, v160, v165
	v_add_nc_u32_e32 v162, -1, v164
	s_delay_alu instid0(VALU_DEP_1) | instskip(SKIP_2) | instid1(VALU_DEP_2)
	v_cndmask_b32_e64 v160, 0, v162, s14
	v_lshrrev_b32_e32 v162, 23, v163
	s_mov_b32 s14, exec_lo
	v_add_nc_u32_e32 v160, v160, v163
	s_delay_alu instid0(VALU_DEP_2) | instskip(NEXT) | instid1(VALU_DEP_2)
	v_xor_b32_e32 v162, 1, v162
	v_and_b32_e32 v150, 0xfffff, v160
	s_delay_alu instid0(VALU_DEP_1) | instskip(NEXT) | instid1(VALU_DEP_3)
	v_add_nc_u32_e32 v160, v150, v163
                                        ; implicit-def: $vgpr150
	v_cmpx_ne_u32_e64 v161, v162
	s_xor_b32 s14, exec_lo, s14
; %bb.2875:                             ;   in Loop: Header=BB2_2656 Depth=3
	s_delay_alu instid0(VALU_DEP_2) | instskip(SKIP_1) | instid1(VALU_DEP_2)
	v_cmp_lt_u32_e64 s13, 0xffffff, v160
	v_sub_nc_u32_e32 v150, v161, v162
	v_cndmask_b32_e64 v161, 0, 1, s13
	s_delay_alu instid0(VALU_DEP_2) | instskip(NEXT) | instid1(VALU_DEP_2)
	v_add_co_ci_u32_e64 v150, s13, 0, v150, s13
	v_lshrrev_b32_e32 v160, v161, v160
; %bb.2876:                             ;   in Loop: Header=BB2_2656 Depth=3
	s_and_not1_saveexec_b32 s13, s14
; %bb.2877:                             ;   in Loop: Header=BB2_2656 Depth=3
	s_delay_alu instid0(VALU_DEP_1)
	v_bfe_u32 v150, v160, 23, 1
; %bb.2878:                             ;   in Loop: Header=BB2_2656 Depth=3
	s_or_b32 exec_lo, exec_lo, s13
	v_lshrrev_b32_e32 v160, 20, v160
	s_delay_alu instid0(VALU_DEP_2) | instskip(SKIP_2) | instid1(VALU_DEP_3)
	v_min_i32_e32 v161, 15, v150
	v_cmp_gt_i32_e64 s13, 16, v150
	v_lshrrev_b32_e32 v151, 24, v151
	v_lshlrev_b32_e32 v161, 3, v161
	s_delay_alu instid0(VALU_DEP_3) | instskip(NEXT) | instid1(VALU_DEP_3)
	v_cndmask_b32_e64 v160, 7, v160, s13
	v_and_b32_e32 v151, 0x80, v151
	s_delay_alu instid0(VALU_DEP_3) | instskip(NEXT) | instid1(VALU_DEP_3)
	v_and_b32_e32 v161, 0xf8, v161
	v_and_b32_e32 v162, 7, v160
	v_or_b32_e32 v150, v150, v160
	s_delay_alu instid0(VALU_DEP_2) | instskip(NEXT) | instid1(VALU_DEP_2)
	v_or3_b32 v151, v151, v161, v162
	v_cmp_ne_u32_e64 s13, 0, v150
	s_delay_alu instid0(VALU_DEP_2) | instskip(NEXT) | instid1(VALU_DEP_1)
	v_lshlrev_b32_e32 v151, 8, v151
	v_cndmask_b32_e64 v150, 0, v151, s13
.LBB2_2879:                             ;   in Loop: Header=BB2_2656 Depth=3
	s_or_b32 exec_lo, exec_lo, s17
.LBB2_2880:                             ;   in Loop: Header=BB2_2656 Depth=3
	s_delay_alu instid0(SALU_CYCLE_1) | instskip(SKIP_3) | instid1(VALU_DEP_1)
	s_or_b32 exec_lo, exec_lo, s3
	v_lshrrev_b32_e32 v160, 16, v15
	s_mov_b32 s3, 0
	s_mov_b32 s17, exec_lo
                                        ; implicit-def: $sgpr14
	v_and_b32_e32 v161, 0xff, v160
	s_delay_alu instid0(VALU_DEP_1)
	v_cmpx_lt_i16_e64 0x7f, v161
	s_xor_b32 s17, exec_lo, s17
	s_cbranch_execnz .LBB2_3022
; %bb.2881:                             ;   in Loop: Header=BB2_2656 Depth=3
	s_or_saveexec_b32 s17, s17
	v_mov_b32_e32 v151, s14
	s_xor_b32 exec_lo, exec_lo, s17
	s_cbranch_execnz .LBB2_3025
.LBB2_2882:                             ;   in Loop: Header=BB2_2656 Depth=3
	s_or_b32 exec_lo, exec_lo, s17
	s_and_saveexec_b32 s14, s3
	s_cbranch_execz .LBB2_2884
.LBB2_2883:                             ;   in Loop: Header=BB2_2656 Depth=3
	v_bfe_u32 v151, v15, 16, 3
	v_lshlrev_b32_e32 v163, 8, v15
	s_delay_alu instid0(VALU_DEP_2) | instskip(NEXT) | instid1(VALU_DEP_1)
	v_clz_i32_u32_e32 v161, v151
	v_min_u32_e32 v161, 32, v161
	s_delay_alu instid0(VALU_DEP_1) | instskip(SKIP_1) | instid1(VALU_DEP_2)
	v_subrev_nc_u32_e32 v162, 28, v161
	v_sub_nc_u32_e32 v161, 29, v161
	v_lshlrev_b32_e32 v160, v162, v160
	v_bfe_u32 v162, v15, 19, 4
	s_delay_alu instid0(VALU_DEP_2) | instskip(NEXT) | instid1(VALU_DEP_2)
	v_and_b32_e32 v160, 7, v160
	v_cmp_eq_u32_e64 s13, 0, v162
	s_delay_alu instid0(VALU_DEP_1) | instskip(NEXT) | instid1(VALU_DEP_3)
	v_cndmask_b32_e64 v161, v162, v161, s13
	v_cndmask_b32_e64 v151, v151, v160, s13
	v_and_b32_e32 v160, 0x80000000, v163
	s_delay_alu instid0(VALU_DEP_3) | instskip(NEXT) | instid1(VALU_DEP_3)
	v_lshl_add_u32 v161, v161, 23, 0x3b800000
	v_lshlrev_b32_e32 v151, 20, v151
	s_delay_alu instid0(VALU_DEP_1)
	v_or3_b32 v151, v160, v161, v151
.LBB2_2884:                             ;   in Loop: Header=BB2_2656 Depth=3
	s_or_b32 exec_lo, exec_lo, s14
	v_lshrrev_b32_e32 v160, 16, v11
	s_mov_b32 s3, 0
	s_mov_b32 s17, exec_lo
                                        ; implicit-def: $sgpr14
	s_delay_alu instid0(VALU_DEP_1) | instskip(NEXT) | instid1(VALU_DEP_1)
	v_and_b32_e32 v162, 0xff, v160
	v_cmpx_lt_i16_e64 0x7f, v162
	s_xor_b32 s17, exec_lo, s17
	s_cbranch_execnz .LBB2_3026
; %bb.2885:                             ;   in Loop: Header=BB2_2656 Depth=3
	s_or_saveexec_b32 s17, s17
	v_mov_b32_e32 v161, s14
	s_xor_b32 exec_lo, exec_lo, s17
	s_cbranch_execnz .LBB2_3029
.LBB2_2886:                             ;   in Loop: Header=BB2_2656 Depth=3
	s_or_b32 exec_lo, exec_lo, s17
	s_and_saveexec_b32 s14, s3
	s_cbranch_execz .LBB2_2888
.LBB2_2887:                             ;   in Loop: Header=BB2_2656 Depth=3
	v_bfe_u32 v161, v11, 16, 3
	v_lshlrev_b32_e32 v164, 8, v11
	s_delay_alu instid0(VALU_DEP_2) | instskip(NEXT) | instid1(VALU_DEP_1)
	v_clz_i32_u32_e32 v162, v161
	v_min_u32_e32 v162, 32, v162
	s_delay_alu instid0(VALU_DEP_1) | instskip(SKIP_1) | instid1(VALU_DEP_2)
	v_subrev_nc_u32_e32 v163, 28, v162
	v_sub_nc_u32_e32 v162, 29, v162
	v_lshlrev_b32_e32 v160, v163, v160
	v_bfe_u32 v163, v11, 19, 4
	s_delay_alu instid0(VALU_DEP_2) | instskip(NEXT) | instid1(VALU_DEP_2)
	v_and_b32_e32 v160, 7, v160
	v_cmp_eq_u32_e64 s13, 0, v163
	s_delay_alu instid0(VALU_DEP_1) | instskip(NEXT) | instid1(VALU_DEP_3)
	v_cndmask_b32_e64 v162, v163, v162, s13
	v_cndmask_b32_e64 v160, v161, v160, s13
	v_and_b32_e32 v161, 0x80000000, v164
	s_delay_alu instid0(VALU_DEP_3) | instskip(NEXT) | instid1(VALU_DEP_3)
	v_lshl_add_u32 v162, v162, 23, 0x3b800000
	v_lshlrev_b32_e32 v160, 20, v160
	s_delay_alu instid0(VALU_DEP_1)
	v_or3_b32 v161, v161, v162, v160
.LBB2_2888:                             ;   in Loop: Header=BB2_2656 Depth=3
	s_or_b32 exec_lo, exec_lo, s14
	s_delay_alu instid0(VALU_DEP_1) | instskip(NEXT) | instid1(VALU_DEP_1)
	v_add_f32_e32 v160, v151, v161
	v_and_b32_e32 v151, 0x7f800000, v160
	s_delay_alu instid0(VALU_DEP_1) | instskip(SKIP_1) | instid1(VALU_DEP_2)
	v_cmp_ne_u32_e64 s13, 0x7f800000, v151
	v_mov_b32_e32 v151, 0x80
	s_and_saveexec_b32 s3, s13
	s_cbranch_execz .LBB2_2896
; %bb.2889:                             ;   in Loop: Header=BB2_2656 Depth=3
	v_mov_b32_e32 v151, 0
	s_mov_b32 s17, exec_lo
	v_cmpx_ne_u32_e32 0, v160
	s_cbranch_execz .LBB2_2895
; %bb.2890:                             ;   in Loop: Header=BB2_2656 Depth=3
	v_bfe_u32 v151, v160, 23, 8
	v_and_b32_e32 v161, 0x7fffff, v160
	s_delay_alu instid0(VALU_DEP_2) | instskip(SKIP_1) | instid1(VALU_DEP_3)
	v_sub_nc_u32_e32 v162, 0x78, v151
	v_cmp_gt_u32_e64 s13, 0x79, v151
	v_or_b32_e32 v163, 0x800000, v161
	s_delay_alu instid0(VALU_DEP_2) | instskip(SKIP_2) | instid1(VALU_DEP_2)
	v_cndmask_b32_e64 v162, 0, v162, s13
	v_cmp_eq_u32_e64 s13, 0, v151
	v_add_nc_u32_e32 v151, 0xffffff89, v151
	v_cndmask_b32_e64 v162, v162, 0x77, s13
	v_cndmask_b32_e64 v161, v163, v161, s13
	s_delay_alu instid0(VALU_DEP_3) | instskip(NEXT) | instid1(VALU_DEP_3)
	v_cndmask_b32_e64 v151, v151, 0xffffff8a, s13
	v_lshl_add_u32 v163, 0x100000, v162, -1
	s_delay_alu instid0(VALU_DEP_3) | instskip(SKIP_1) | instid1(VALU_DEP_4)
	v_lshrrev_b32_e32 v164, v162, v161
	v_lshlrev_b32_e64 v166, v162, 0x80000
	v_add_nc_u32_e32 v162, v162, v151
	s_delay_alu instid0(VALU_DEP_4) | instskip(NEXT) | instid1(VALU_DEP_4)
	v_and_b32_e32 v161, v163, v161
	v_bfe_u32 v165, v164, 20, 1
	s_delay_alu instid0(VALU_DEP_2) | instskip(NEXT) | instid1(VALU_DEP_2)
	v_cmp_eq_u32_e64 s14, v161, v166
	v_add_nc_u32_e32 v163, -1, v165
	s_delay_alu instid0(VALU_DEP_1) | instskip(SKIP_2) | instid1(VALU_DEP_2)
	v_cndmask_b32_e64 v161, 0, v163, s14
	v_lshrrev_b32_e32 v163, 23, v164
	s_mov_b32 s14, exec_lo
	v_add_nc_u32_e32 v161, v161, v164
	s_delay_alu instid0(VALU_DEP_2) | instskip(NEXT) | instid1(VALU_DEP_2)
	v_xor_b32_e32 v163, 1, v163
	v_and_b32_e32 v151, 0xfffff, v161
	s_delay_alu instid0(VALU_DEP_1) | instskip(NEXT) | instid1(VALU_DEP_3)
	v_add_nc_u32_e32 v161, v151, v164
                                        ; implicit-def: $vgpr151
	v_cmpx_ne_u32_e64 v162, v163
	s_xor_b32 s14, exec_lo, s14
; %bb.2891:                             ;   in Loop: Header=BB2_2656 Depth=3
	s_delay_alu instid0(VALU_DEP_2) | instskip(SKIP_1) | instid1(VALU_DEP_2)
	v_cmp_lt_u32_e64 s13, 0xffffff, v161
	v_sub_nc_u32_e32 v151, v162, v163
	v_cndmask_b32_e64 v162, 0, 1, s13
	s_delay_alu instid0(VALU_DEP_2) | instskip(NEXT) | instid1(VALU_DEP_2)
	v_add_co_ci_u32_e64 v151, s13, 0, v151, s13
	v_lshrrev_b32_e32 v161, v162, v161
; %bb.2892:                             ;   in Loop: Header=BB2_2656 Depth=3
	s_and_not1_saveexec_b32 s13, s14
; %bb.2893:                             ;   in Loop: Header=BB2_2656 Depth=3
	s_delay_alu instid0(VALU_DEP_1)
	v_bfe_u32 v151, v161, 23, 1
; %bb.2894:                             ;   in Loop: Header=BB2_2656 Depth=3
	s_or_b32 exec_lo, exec_lo, s13
	v_lshrrev_b32_e32 v161, 20, v161
	s_delay_alu instid0(VALU_DEP_2) | instskip(SKIP_2) | instid1(VALU_DEP_3)
	v_min_i32_e32 v162, 15, v151
	v_cmp_gt_i32_e64 s13, 16, v151
	v_lshrrev_b32_e32 v160, 24, v160
	v_lshlrev_b32_e32 v162, 3, v162
	s_delay_alu instid0(VALU_DEP_3) | instskip(NEXT) | instid1(VALU_DEP_3)
	v_cndmask_b32_e64 v161, 7, v161, s13
	v_and_b32_e32 v160, 0x80, v160
	s_delay_alu instid0(VALU_DEP_3) | instskip(NEXT) | instid1(VALU_DEP_3)
	v_and_b32_e32 v162, 0xf8, v162
	v_and_b32_e32 v163, 7, v161
	v_or_b32_e32 v151, v151, v161
	s_delay_alu instid0(VALU_DEP_2) | instskip(NEXT) | instid1(VALU_DEP_2)
	v_or3_b32 v160, v162, v160, v163
	v_cmp_ne_u32_e64 s13, 0, v151
	s_delay_alu instid0(VALU_DEP_1)
	v_cndmask_b32_e64 v151, 0, v160, s13
.LBB2_2895:                             ;   in Loop: Header=BB2_2656 Depth=3
	s_or_b32 exec_lo, exec_lo, s17
.LBB2_2896:                             ;   in Loop: Header=BB2_2656 Depth=3
	s_delay_alu instid0(SALU_CYCLE_1) | instskip(SKIP_3) | instid1(VALU_DEP_1)
	s_or_b32 exec_lo, exec_lo, s3
	v_lshrrev_b32_e32 v161, 24, v15
	s_mov_b32 s3, 0
	s_mov_b32 s17, exec_lo
                                        ; implicit-def: $sgpr14
	v_cmpx_lt_i16_e64 0x7f, v161
	s_xor_b32 s17, exec_lo, s17
	s_cbranch_execnz .LBB2_3030
; %bb.2897:                             ;   in Loop: Header=BB2_2656 Depth=3
	s_or_saveexec_b32 s17, s17
	v_mov_b32_e32 v160, s14
	s_xor_b32 exec_lo, exec_lo, s17
	s_cbranch_execnz .LBB2_3033
.LBB2_2898:                             ;   in Loop: Header=BB2_2656 Depth=3
	s_or_b32 exec_lo, exec_lo, s17
	s_and_saveexec_b32 s14, s3
	s_cbranch_execz .LBB2_2900
.LBB2_2899:                             ;   in Loop: Header=BB2_2656 Depth=3
	v_bfe_u32 v160, v15, 24, 3
	s_delay_alu instid0(VALU_DEP_1) | instskip(NEXT) | instid1(VALU_DEP_1)
	v_clz_i32_u32_e32 v162, v160
	v_min_u32_e32 v162, 32, v162
	s_delay_alu instid0(VALU_DEP_1) | instskip(SKIP_1) | instid1(VALU_DEP_2)
	v_subrev_nc_u32_e32 v163, 28, v162
	v_sub_nc_u32_e32 v162, 29, v162
	v_lshlrev_b32_e32 v161, v163, v161
	v_bfe_u32 v163, v15, 27, 4
	v_and_b32_e32 v15, 0x80000000, v15
	s_delay_alu instid0(VALU_DEP_3) | instskip(NEXT) | instid1(VALU_DEP_3)
	v_and_b32_e32 v161, 7, v161
	v_cmp_eq_u32_e64 s13, 0, v163
	s_delay_alu instid0(VALU_DEP_1) | instskip(NEXT) | instid1(VALU_DEP_3)
	v_cndmask_b32_e64 v162, v163, v162, s13
	v_cndmask_b32_e64 v160, v160, v161, s13
	s_delay_alu instid0(VALU_DEP_2) | instskip(NEXT) | instid1(VALU_DEP_2)
	v_lshl_add_u32 v161, v162, 23, 0x3b800000
	v_lshlrev_b32_e32 v160, 20, v160
	s_delay_alu instid0(VALU_DEP_1)
	v_or3_b32 v160, v15, v161, v160
.LBB2_2900:                             ;   in Loop: Header=BB2_2656 Depth=3
	s_or_b32 exec_lo, exec_lo, s14
	v_lshrrev_b32_e32 v15, 24, v11
	s_mov_b32 s3, 0
	s_mov_b32 s17, exec_lo
                                        ; implicit-def: $sgpr14
	s_delay_alu instid0(VALU_DEP_1)
	v_cmpx_lt_i16_e32 0x7f, v15
	s_xor_b32 s17, exec_lo, s17
	s_cbranch_execnz .LBB2_3034
; %bb.2901:                             ;   in Loop: Header=BB2_2656 Depth=3
	s_or_saveexec_b32 s17, s17
	v_mov_b32_e32 v161, s14
	s_xor_b32 exec_lo, exec_lo, s17
	s_cbranch_execnz .LBB2_3037
.LBB2_2902:                             ;   in Loop: Header=BB2_2656 Depth=3
	s_or_b32 exec_lo, exec_lo, s17
	s_and_saveexec_b32 s14, s3
	s_cbranch_execz .LBB2_2904
.LBB2_2903:                             ;   in Loop: Header=BB2_2656 Depth=3
	v_bfe_u32 v161, v11, 24, 3
	s_delay_alu instid0(VALU_DEP_1) | instskip(NEXT) | instid1(VALU_DEP_1)
	v_clz_i32_u32_e32 v162, v161
	v_min_u32_e32 v162, 32, v162
	s_delay_alu instid0(VALU_DEP_1) | instskip(SKIP_1) | instid1(VALU_DEP_2)
	v_subrev_nc_u32_e32 v163, 28, v162
	v_sub_nc_u32_e32 v162, 29, v162
	v_lshlrev_b32_e32 v15, v163, v15
	v_bfe_u32 v163, v11, 27, 4
	v_and_b32_e32 v11, 0x80000000, v11
	s_delay_alu instid0(VALU_DEP_3) | instskip(NEXT) | instid1(VALU_DEP_3)
	v_and_b32_e32 v15, 7, v15
	v_cmp_eq_u32_e64 s13, 0, v163
	s_delay_alu instid0(VALU_DEP_1) | instskip(NEXT) | instid1(VALU_DEP_3)
	v_cndmask_b32_e64 v162, v163, v162, s13
	v_cndmask_b32_e64 v15, v161, v15, s13
	s_delay_alu instid0(VALU_DEP_2) | instskip(NEXT) | instid1(VALU_DEP_2)
	v_lshl_add_u32 v161, v162, 23, 0x3b800000
	v_lshlrev_b32_e32 v15, 20, v15
	s_delay_alu instid0(VALU_DEP_1)
	v_or3_b32 v161, v11, v161, v15
.LBB2_2904:                             ;   in Loop: Header=BB2_2656 Depth=3
	s_or_b32 exec_lo, exec_lo, s14
	s_delay_alu instid0(VALU_DEP_1) | instskip(NEXT) | instid1(VALU_DEP_1)
	v_add_f32_e32 v11, v160, v161
	v_and_b32_e32 v15, 0x7f800000, v11
	s_delay_alu instid0(VALU_DEP_1) | instskip(SKIP_1) | instid1(VALU_DEP_2)
	v_cmp_ne_u32_e64 s13, 0x7f800000, v15
	v_mov_b32_e32 v15, 0x8000
	s_and_saveexec_b32 s3, s13
	s_cbranch_execz .LBB2_2655
; %bb.2905:                             ;   in Loop: Header=BB2_2656 Depth=3
	v_mov_b32_e32 v15, 0
	s_mov_b32 s17, exec_lo
	v_cmpx_ne_u32_e32 0, v11
	s_cbranch_execz .LBB2_2654
; %bb.2906:                             ;   in Loop: Header=BB2_2656 Depth=3
	v_bfe_u32 v15, v11, 23, 8
	v_and_b32_e32 v160, 0x7fffff, v11
	s_delay_alu instid0(VALU_DEP_2) | instskip(SKIP_1) | instid1(VALU_DEP_3)
	v_sub_nc_u32_e32 v161, 0x78, v15
	v_cmp_gt_u32_e64 s13, 0x79, v15
	v_or_b32_e32 v162, 0x800000, v160
	s_delay_alu instid0(VALU_DEP_2) | instskip(SKIP_2) | instid1(VALU_DEP_2)
	v_cndmask_b32_e64 v161, 0, v161, s13
	v_cmp_eq_u32_e64 s13, 0, v15
	v_add_nc_u32_e32 v15, 0xffffff89, v15
	v_cndmask_b32_e64 v161, v161, 0x77, s13
	v_cndmask_b32_e64 v160, v162, v160, s13
	s_delay_alu instid0(VALU_DEP_3) | instskip(NEXT) | instid1(VALU_DEP_3)
	v_cndmask_b32_e64 v15, v15, 0xffffff8a, s13
	v_lshl_add_u32 v162, 0x100000, v161, -1
	s_delay_alu instid0(VALU_DEP_3) | instskip(SKIP_1) | instid1(VALU_DEP_4)
	v_lshrrev_b32_e32 v163, v161, v160
	v_lshlrev_b32_e64 v165, v161, 0x80000
	v_add_nc_u32_e32 v161, v161, v15
	s_delay_alu instid0(VALU_DEP_4) | instskip(NEXT) | instid1(VALU_DEP_4)
	v_and_b32_e32 v160, v162, v160
	v_bfe_u32 v164, v163, 20, 1
	s_delay_alu instid0(VALU_DEP_2) | instskip(NEXT) | instid1(VALU_DEP_2)
	v_cmp_eq_u32_e64 s14, v160, v165
	v_add_nc_u32_e32 v162, -1, v164
	s_delay_alu instid0(VALU_DEP_1) | instskip(SKIP_2) | instid1(VALU_DEP_2)
	v_cndmask_b32_e64 v160, 0, v162, s14
	v_lshrrev_b32_e32 v162, 23, v163
	s_mov_b32 s14, exec_lo
	v_add_nc_u32_e32 v160, v160, v163
	s_delay_alu instid0(VALU_DEP_2) | instskip(NEXT) | instid1(VALU_DEP_2)
	v_xor_b32_e32 v162, 1, v162
	v_and_b32_e32 v15, 0xfffff, v160
	s_delay_alu instid0(VALU_DEP_1) | instskip(NEXT) | instid1(VALU_DEP_3)
	v_add_nc_u32_e32 v160, v15, v163
                                        ; implicit-def: $vgpr15
	v_cmpx_ne_u32_e64 v161, v162
	s_xor_b32 s14, exec_lo, s14
; %bb.2907:                             ;   in Loop: Header=BB2_2656 Depth=3
	s_delay_alu instid0(VALU_DEP_2) | instskip(SKIP_1) | instid1(VALU_DEP_2)
	v_cmp_lt_u32_e64 s13, 0xffffff, v160
	v_sub_nc_u32_e32 v15, v161, v162
	v_cndmask_b32_e64 v161, 0, 1, s13
	s_delay_alu instid0(VALU_DEP_2) | instskip(NEXT) | instid1(VALU_DEP_2)
	v_add_co_ci_u32_e64 v15, s13, 0, v15, s13
	v_lshrrev_b32_e32 v160, v161, v160
; %bb.2908:                             ;   in Loop: Header=BB2_2656 Depth=3
	s_and_not1_saveexec_b32 s13, s14
	s_cbranch_execz .LBB2_2653
; %bb.2909:                             ;   in Loop: Header=BB2_2656 Depth=3
	s_delay_alu instid0(VALU_DEP_1)
	v_bfe_u32 v15, v160, 23, 1
	s_branch .LBB2_2653
.LBB2_2910:                             ;   in Loop: Header=BB2_2656 Depth=3
	s_mov_b32 s3, -1
	s_mov_b32 s24, exec_lo
                                        ; implicit-def: $sgpr14
	v_cmpx_eq_u16_e64 0x80, v144
; %bb.2911:                             ;   in Loop: Header=BB2_2656 Depth=3
	s_mov_b32 s14, 0x7f800001
	s_xor_b32 s3, exec_lo, -1
; %bb.2912:                             ;   in Loop: Header=BB2_2656 Depth=3
	s_or_b32 exec_lo, exec_lo, s24
	s_delay_alu instid0(SALU_CYCLE_1)
	s_and_b32 s3, s3, exec_lo
                                        ; implicit-def: $vgpr144
	s_or_saveexec_b32 s17, s17
	v_mov_b32_e32 v135, s14
	s_xor_b32 exec_lo, exec_lo, s17
	s_cbranch_execz .LBB2_2658
.LBB2_2913:                             ;   in Loop: Header=BB2_2656 Depth=3
	v_cmp_ne_u16_e64 s13, 0, v144
	v_mov_b32_e32 v135, 0
	s_and_not1_b32 s3, s3, exec_lo
	s_delay_alu instid0(VALU_DEP_2) | instskip(NEXT) | instid1(SALU_CYCLE_1)
	s_and_b32 s13, s13, exec_lo
	s_or_b32 s3, s3, s13
	s_or_b32 exec_lo, exec_lo, s17
	s_and_saveexec_b32 s14, s3
	s_cbranch_execnz .LBB2_2659
	s_branch .LBB2_2660
.LBB2_2914:                             ;   in Loop: Header=BB2_2656 Depth=3
	s_mov_b32 s3, -1
	s_mov_b32 s24, exec_lo
                                        ; implicit-def: $sgpr14
	v_cmpx_eq_u16_e64 0x80, v145
; %bb.2915:                             ;   in Loop: Header=BB2_2656 Depth=3
	s_mov_b32 s14, 0x7f800001
	s_xor_b32 s3, exec_lo, -1
; %bb.2916:                             ;   in Loop: Header=BB2_2656 Depth=3
	s_or_b32 exec_lo, exec_lo, s24
	s_delay_alu instid0(SALU_CYCLE_1)
	s_and_b32 s3, s3, exec_lo
                                        ; implicit-def: $vgpr145
	s_or_saveexec_b32 s17, s17
	v_mov_b32_e32 v144, s14
	s_xor_b32 exec_lo, exec_lo, s17
	s_cbranch_execz .LBB2_2662
.LBB2_2917:                             ;   in Loop: Header=BB2_2656 Depth=3
	v_cmp_ne_u16_e64 s13, 0, v145
	v_mov_b32_e32 v144, 0
	s_and_not1_b32 s3, s3, exec_lo
	s_delay_alu instid0(VALU_DEP_2) | instskip(NEXT) | instid1(SALU_CYCLE_1)
	s_and_b32 s13, s13, exec_lo
	s_or_b32 s3, s3, s13
	s_or_b32 exec_lo, exec_lo, s17
	s_and_saveexec_b32 s14, s3
	s_cbranch_execnz .LBB2_2663
	s_branch .LBB2_2664
.LBB2_2918:                             ;   in Loop: Header=BB2_2656 Depth=3
	s_mov_b32 s3, -1
	s_mov_b32 s24, exec_lo
                                        ; implicit-def: $sgpr14
	v_cmpx_eq_u16_e64 0x80, v145
; %bb.2919:                             ;   in Loop: Header=BB2_2656 Depth=3
	s_mov_b32 s14, 0x7f800001
	s_xor_b32 s3, exec_lo, -1
; %bb.2920:                             ;   in Loop: Header=BB2_2656 Depth=3
	s_or_b32 exec_lo, exec_lo, s24
	s_delay_alu instid0(SALU_CYCLE_1)
	s_and_b32 s3, s3, exec_lo
	s_or_saveexec_b32 s17, s17
	v_mov_b32_e32 v144, s14
	s_xor_b32 exec_lo, exec_lo, s17
	s_cbranch_execz .LBB2_2674
.LBB2_2921:                             ;   in Loop: Header=BB2_2656 Depth=3
	v_cmp_ne_u16_e64 s13, 0, v145
	v_mov_b32_e32 v144, 0
	s_and_not1_b32 s3, s3, exec_lo
	s_delay_alu instid0(VALU_DEP_2) | instskip(NEXT) | instid1(SALU_CYCLE_1)
	s_and_b32 s13, s13, exec_lo
	s_or_b32 s3, s3, s13
	s_or_b32 exec_lo, exec_lo, s17
	s_and_saveexec_b32 s14, s3
	s_cbranch_execnz .LBB2_2675
	s_branch .LBB2_2676
.LBB2_2922:                             ;   in Loop: Header=BB2_2656 Depth=3
	s_mov_b32 s3, -1
	s_mov_b32 s24, exec_lo
                                        ; implicit-def: $sgpr14
	v_cmpx_eq_u16_e64 0x80, v145
; %bb.2923:                             ;   in Loop: Header=BB2_2656 Depth=3
	s_mov_b32 s14, 0x7f800001
	s_xor_b32 s3, exec_lo, -1
; %bb.2924:                             ;   in Loop: Header=BB2_2656 Depth=3
	s_or_b32 exec_lo, exec_lo, s24
	s_delay_alu instid0(SALU_CYCLE_1)
	s_and_b32 s3, s3, exec_lo
	s_or_saveexec_b32 s17, s17
	v_mov_b32_e32 v146, s14
	s_xor_b32 exec_lo, exec_lo, s17
	s_cbranch_execz .LBB2_2678
.LBB2_2925:                             ;   in Loop: Header=BB2_2656 Depth=3
	v_cmp_ne_u16_e64 s13, 0, v145
	v_mov_b32_e32 v146, 0
	s_and_not1_b32 s3, s3, exec_lo
	s_delay_alu instid0(VALU_DEP_2) | instskip(NEXT) | instid1(SALU_CYCLE_1)
	s_and_b32 s13, s13, exec_lo
	s_or_b32 s3, s3, s13
	s_or_b32 exec_lo, exec_lo, s17
	s_and_saveexec_b32 s14, s3
	s_cbranch_execnz .LBB2_2679
	s_branch .LBB2_2680
.LBB2_2926:                             ;   in Loop: Header=BB2_2656 Depth=3
	s_mov_b32 s3, -1
	s_mov_b32 s24, exec_lo
                                        ; implicit-def: $sgpr14
	v_cmpx_eq_u16_e64 0x80, v147
; %bb.2927:                             ;   in Loop: Header=BB2_2656 Depth=3
	s_mov_b32 s14, 0x7f800001
	s_xor_b32 s3, exec_lo, -1
; %bb.2928:                             ;   in Loop: Header=BB2_2656 Depth=3
	s_or_b32 exec_lo, exec_lo, s24
	s_delay_alu instid0(SALU_CYCLE_1)
	s_and_b32 s3, s3, exec_lo
                                        ; implicit-def: $vgpr147
	s_or_saveexec_b32 s17, s17
	v_mov_b32_e32 v145, s14
	s_xor_b32 exec_lo, exec_lo, s17
	s_cbranch_execz .LBB2_2690
.LBB2_2929:                             ;   in Loop: Header=BB2_2656 Depth=3
	v_cmp_ne_u16_e64 s13, 0, v147
	v_mov_b32_e32 v145, 0
	s_and_not1_b32 s3, s3, exec_lo
	s_delay_alu instid0(VALU_DEP_2) | instskip(NEXT) | instid1(SALU_CYCLE_1)
	s_and_b32 s13, s13, exec_lo
	s_or_b32 s3, s3, s13
	s_or_b32 exec_lo, exec_lo, s17
	s_and_saveexec_b32 s14, s3
	s_cbranch_execnz .LBB2_2691
	s_branch .LBB2_2692
.LBB2_2930:                             ;   in Loop: Header=BB2_2656 Depth=3
	s_mov_b32 s3, -1
	s_mov_b32 s24, exec_lo
                                        ; implicit-def: $sgpr14
	v_cmpx_eq_u16_e64 0x80, v148
; %bb.2931:                             ;   in Loop: Header=BB2_2656 Depth=3
	s_mov_b32 s14, 0x7f800001
	s_xor_b32 s3, exec_lo, -1
; %bb.2932:                             ;   in Loop: Header=BB2_2656 Depth=3
	s_or_b32 exec_lo, exec_lo, s24
	s_delay_alu instid0(SALU_CYCLE_1)
	s_and_b32 s3, s3, exec_lo
                                        ; implicit-def: $vgpr148
	s_or_saveexec_b32 s17, s17
	v_mov_b32_e32 v147, s14
	s_xor_b32 exec_lo, exec_lo, s17
	s_cbranch_execz .LBB2_2694
.LBB2_2933:                             ;   in Loop: Header=BB2_2656 Depth=3
	v_cmp_ne_u16_e64 s13, 0, v148
	v_mov_b32_e32 v147, 0
	s_and_not1_b32 s3, s3, exec_lo
	s_delay_alu instid0(VALU_DEP_2) | instskip(NEXT) | instid1(SALU_CYCLE_1)
	s_and_b32 s13, s13, exec_lo
	s_or_b32 s3, s3, s13
	s_or_b32 exec_lo, exec_lo, s17
	s_and_saveexec_b32 s14, s3
	s_cbranch_execnz .LBB2_2695
	s_branch .LBB2_2696
.LBB2_2934:                             ;   in Loop: Header=BB2_2656 Depth=3
	s_mov_b32 s3, -1
	s_mov_b32 s24, exec_lo
                                        ; implicit-def: $sgpr14
	v_cmpx_eq_u16_e64 0x80, v147
; %bb.2935:                             ;   in Loop: Header=BB2_2656 Depth=3
	s_mov_b32 s14, 0x7f800001
	s_xor_b32 s3, exec_lo, -1
; %bb.2936:                             ;   in Loop: Header=BB2_2656 Depth=3
	s_or_b32 exec_lo, exec_lo, s24
	s_delay_alu instid0(SALU_CYCLE_1)
	s_and_b32 s3, s3, exec_lo
	s_or_saveexec_b32 s17, s17
	v_mov_b32_e32 v146, s14
	s_xor_b32 exec_lo, exec_lo, s17
	s_cbranch_execz .LBB2_2706
.LBB2_2937:                             ;   in Loop: Header=BB2_2656 Depth=3
	v_cmp_ne_u16_e64 s13, 0, v147
	v_mov_b32_e32 v146, 0
	s_and_not1_b32 s3, s3, exec_lo
	s_delay_alu instid0(VALU_DEP_2) | instskip(NEXT) | instid1(SALU_CYCLE_1)
	s_and_b32 s13, s13, exec_lo
	s_or_b32 s3, s3, s13
	s_or_b32 exec_lo, exec_lo, s17
	s_and_saveexec_b32 s14, s3
	s_cbranch_execnz .LBB2_2707
	s_branch .LBB2_2708
.LBB2_2938:                             ;   in Loop: Header=BB2_2656 Depth=3
	s_mov_b32 s3, -1
	s_mov_b32 s24, exec_lo
                                        ; implicit-def: $sgpr14
	v_cmpx_eq_u16_e32 0x80, v12
; %bb.2939:                             ;   in Loop: Header=BB2_2656 Depth=3
	s_mov_b32 s14, 0x7f800001
	s_xor_b32 s3, exec_lo, -1
; %bb.2940:                             ;   in Loop: Header=BB2_2656 Depth=3
	s_or_b32 exec_lo, exec_lo, s24
	s_delay_alu instid0(SALU_CYCLE_1)
	s_and_b32 s3, s3, exec_lo
	s_or_saveexec_b32 s17, s17
	v_mov_b32_e32 v147, s14
	s_xor_b32 exec_lo, exec_lo, s17
	s_cbranch_execz .LBB2_2710
.LBB2_2941:                             ;   in Loop: Header=BB2_2656 Depth=3
	v_cmp_ne_u16_e64 s13, 0, v12
	v_mov_b32_e32 v147, 0
	s_and_not1_b32 s3, s3, exec_lo
	s_delay_alu instid0(VALU_DEP_2) | instskip(NEXT) | instid1(SALU_CYCLE_1)
	s_and_b32 s13, s13, exec_lo
	s_or_b32 s3, s3, s13
	s_or_b32 exec_lo, exec_lo, s17
	s_and_saveexec_b32 s14, s3
	s_cbranch_execnz .LBB2_2711
	s_branch .LBB2_2712
.LBB2_2942:                             ;   in Loop: Header=BB2_2656 Depth=3
	s_mov_b32 s3, -1
	s_mov_b32 s24, exec_lo
                                        ; implicit-def: $sgpr14
	v_cmpx_eq_u16_e64 0x80, v146
; %bb.2943:                             ;   in Loop: Header=BB2_2656 Depth=3
	s_mov_b32 s14, 0x7f800001
	s_xor_b32 s3, exec_lo, -1
; %bb.2944:                             ;   in Loop: Header=BB2_2656 Depth=3
	s_or_b32 exec_lo, exec_lo, s24
	s_delay_alu instid0(SALU_CYCLE_1)
	s_and_b32 s3, s3, exec_lo
                                        ; implicit-def: $vgpr146
	s_or_saveexec_b32 s17, s17
	v_mov_b32_e32 v12, s14
	s_xor_b32 exec_lo, exec_lo, s17
	s_cbranch_execz .LBB2_2722
.LBB2_2945:                             ;   in Loop: Header=BB2_2656 Depth=3
	v_cmp_ne_u16_e64 s13, 0, v146
	v_mov_b32_e32 v12, 0
	s_and_not1_b32 s3, s3, exec_lo
	s_delay_alu instid0(VALU_DEP_2) | instskip(NEXT) | instid1(SALU_CYCLE_1)
	s_and_b32 s13, s13, exec_lo
	s_or_b32 s3, s3, s13
	s_or_b32 exec_lo, exec_lo, s17
	s_and_saveexec_b32 s14, s3
	s_cbranch_execnz .LBB2_2723
	s_branch .LBB2_2724
.LBB2_2946:                             ;   in Loop: Header=BB2_2656 Depth=3
	s_mov_b32 s3, -1
	s_mov_b32 s24, exec_lo
                                        ; implicit-def: $sgpr14
	v_cmpx_eq_u16_e64 0x80, v147
; %bb.2947:                             ;   in Loop: Header=BB2_2656 Depth=3
	s_mov_b32 s14, 0x7f800001
	s_xor_b32 s3, exec_lo, -1
; %bb.2948:                             ;   in Loop: Header=BB2_2656 Depth=3
	s_or_b32 exec_lo, exec_lo, s24
	s_delay_alu instid0(SALU_CYCLE_1)
	s_and_b32 s3, s3, exec_lo
                                        ; implicit-def: $vgpr147
	s_or_saveexec_b32 s17, s17
	v_mov_b32_e32 v146, s14
	s_xor_b32 exec_lo, exec_lo, s17
	s_cbranch_execz .LBB2_2726
.LBB2_2949:                             ;   in Loop: Header=BB2_2656 Depth=3
	v_cmp_ne_u16_e64 s13, 0, v147
	v_mov_b32_e32 v146, 0
	s_and_not1_b32 s3, s3, exec_lo
	s_delay_alu instid0(VALU_DEP_2) | instskip(NEXT) | instid1(SALU_CYCLE_1)
	s_and_b32 s13, s13, exec_lo
	s_or_b32 s3, s3, s13
	s_or_b32 exec_lo, exec_lo, s17
	s_and_saveexec_b32 s14, s3
	s_cbranch_execnz .LBB2_2727
	s_branch .LBB2_2728
.LBB2_2950:                             ;   in Loop: Header=BB2_2656 Depth=3
	s_mov_b32 s3, -1
	s_mov_b32 s24, exec_lo
                                        ; implicit-def: $sgpr14
	v_cmpx_eq_u16_e64 0x80, v147
; %bb.2951:                             ;   in Loop: Header=BB2_2656 Depth=3
	s_mov_b32 s14, 0x7f800001
	s_xor_b32 s3, exec_lo, -1
; %bb.2952:                             ;   in Loop: Header=BB2_2656 Depth=3
	s_or_b32 exec_lo, exec_lo, s24
	s_delay_alu instid0(SALU_CYCLE_1)
	s_and_b32 s3, s3, exec_lo
	s_or_saveexec_b32 s17, s17
	v_mov_b32_e32 v146, s14
	s_xor_b32 exec_lo, exec_lo, s17
	s_cbranch_execz .LBB2_2738
.LBB2_2953:                             ;   in Loop: Header=BB2_2656 Depth=3
	v_cmp_ne_u16_e64 s13, 0, v147
	v_mov_b32_e32 v146, 0
	s_and_not1_b32 s3, s3, exec_lo
	s_delay_alu instid0(VALU_DEP_2) | instskip(NEXT) | instid1(SALU_CYCLE_1)
	s_and_b32 s13, s13, exec_lo
	s_or_b32 s3, s3, s13
	s_or_b32 exec_lo, exec_lo, s17
	s_and_saveexec_b32 s14, s3
	s_cbranch_execnz .LBB2_2739
	s_branch .LBB2_2740
.LBB2_2954:                             ;   in Loop: Header=BB2_2656 Depth=3
	s_mov_b32 s3, -1
	s_mov_b32 s24, exec_lo
                                        ; implicit-def: $sgpr14
	v_cmpx_eq_u16_e64 0x80, v147
; %bb.2955:                             ;   in Loop: Header=BB2_2656 Depth=3
	s_mov_b32 s14, 0x7f800001
	s_xor_b32 s3, exec_lo, -1
; %bb.2956:                             ;   in Loop: Header=BB2_2656 Depth=3
	s_or_b32 exec_lo, exec_lo, s24
	s_delay_alu instid0(SALU_CYCLE_1)
	s_and_b32 s3, s3, exec_lo
	s_or_saveexec_b32 s17, s17
	v_mov_b32_e32 v148, s14
	s_xor_b32 exec_lo, exec_lo, s17
	s_cbranch_execz .LBB2_2742
.LBB2_2957:                             ;   in Loop: Header=BB2_2656 Depth=3
	v_cmp_ne_u16_e64 s13, 0, v147
	v_mov_b32_e32 v148, 0
	s_and_not1_b32 s3, s3, exec_lo
	s_delay_alu instid0(VALU_DEP_2) | instskip(NEXT) | instid1(SALU_CYCLE_1)
	s_and_b32 s13, s13, exec_lo
	s_or_b32 s3, s3, s13
	s_or_b32 exec_lo, exec_lo, s17
	s_and_saveexec_b32 s14, s3
	s_cbranch_execnz .LBB2_2743
	s_branch .LBB2_2744
.LBB2_2958:                             ;   in Loop: Header=BB2_2656 Depth=3
	s_mov_b32 s3, -1
	s_mov_b32 s24, exec_lo
                                        ; implicit-def: $sgpr14
	v_cmpx_eq_u16_e64 0x80, v149
; %bb.2959:                             ;   in Loop: Header=BB2_2656 Depth=3
	s_mov_b32 s14, 0x7f800001
	s_xor_b32 s3, exec_lo, -1
; %bb.2960:                             ;   in Loop: Header=BB2_2656 Depth=3
	s_or_b32 exec_lo, exec_lo, s24
	s_delay_alu instid0(SALU_CYCLE_1)
	s_and_b32 s3, s3, exec_lo
                                        ; implicit-def: $vgpr149
	s_or_saveexec_b32 s17, s17
	v_mov_b32_e32 v147, s14
	s_xor_b32 exec_lo, exec_lo, s17
	s_cbranch_execz .LBB2_2754
.LBB2_2961:                             ;   in Loop: Header=BB2_2656 Depth=3
	v_cmp_ne_u16_e64 s13, 0, v149
	v_mov_b32_e32 v147, 0
	s_and_not1_b32 s3, s3, exec_lo
	s_delay_alu instid0(VALU_DEP_2) | instskip(NEXT) | instid1(SALU_CYCLE_1)
	s_and_b32 s13, s13, exec_lo
	s_or_b32 s3, s3, s13
	s_or_b32 exec_lo, exec_lo, s17
	s_and_saveexec_b32 s14, s3
	s_cbranch_execnz .LBB2_2755
	s_branch .LBB2_2756
.LBB2_2962:                             ;   in Loop: Header=BB2_2656 Depth=3
	s_mov_b32 s3, -1
	s_mov_b32 s24, exec_lo
                                        ; implicit-def: $sgpr14
	v_cmpx_eq_u16_e64 0x80, v150
; %bb.2963:                             ;   in Loop: Header=BB2_2656 Depth=3
	s_mov_b32 s14, 0x7f800001
	s_xor_b32 s3, exec_lo, -1
; %bb.2964:                             ;   in Loop: Header=BB2_2656 Depth=3
	s_or_b32 exec_lo, exec_lo, s24
	s_delay_alu instid0(SALU_CYCLE_1)
	s_and_b32 s3, s3, exec_lo
                                        ; implicit-def: $vgpr150
	s_or_saveexec_b32 s17, s17
	v_mov_b32_e32 v149, s14
	s_xor_b32 exec_lo, exec_lo, s17
	s_cbranch_execz .LBB2_2758
.LBB2_2965:                             ;   in Loop: Header=BB2_2656 Depth=3
	v_cmp_ne_u16_e64 s13, 0, v150
	v_mov_b32_e32 v149, 0
	s_and_not1_b32 s3, s3, exec_lo
	s_delay_alu instid0(VALU_DEP_2) | instskip(NEXT) | instid1(SALU_CYCLE_1)
	s_and_b32 s13, s13, exec_lo
	s_or_b32 s3, s3, s13
	s_or_b32 exec_lo, exec_lo, s17
	s_and_saveexec_b32 s14, s3
	s_cbranch_execnz .LBB2_2759
	s_branch .LBB2_2760
.LBB2_2966:                             ;   in Loop: Header=BB2_2656 Depth=3
	s_mov_b32 s3, -1
	s_mov_b32 s24, exec_lo
                                        ; implicit-def: $sgpr14
	v_cmpx_eq_u16_e64 0x80, v149
; %bb.2967:                             ;   in Loop: Header=BB2_2656 Depth=3
	s_mov_b32 s14, 0x7f800001
	s_xor_b32 s3, exec_lo, -1
; %bb.2968:                             ;   in Loop: Header=BB2_2656 Depth=3
	s_or_b32 exec_lo, exec_lo, s24
	s_delay_alu instid0(SALU_CYCLE_1)
	s_and_b32 s3, s3, exec_lo
	s_or_saveexec_b32 s17, s17
	v_mov_b32_e32 v148, s14
	s_xor_b32 exec_lo, exec_lo, s17
	s_cbranch_execz .LBB2_2770
.LBB2_2969:                             ;   in Loop: Header=BB2_2656 Depth=3
	v_cmp_ne_u16_e64 s13, 0, v149
	v_mov_b32_e32 v148, 0
	s_and_not1_b32 s3, s3, exec_lo
	s_delay_alu instid0(VALU_DEP_2) | instskip(NEXT) | instid1(SALU_CYCLE_1)
	s_and_b32 s13, s13, exec_lo
	s_or_b32 s3, s3, s13
	s_or_b32 exec_lo, exec_lo, s17
	s_and_saveexec_b32 s14, s3
	s_cbranch_execnz .LBB2_2771
	s_branch .LBB2_2772
.LBB2_2970:                             ;   in Loop: Header=BB2_2656 Depth=3
	s_mov_b32 s3, -1
	s_mov_b32 s24, exec_lo
                                        ; implicit-def: $sgpr14
	v_cmpx_eq_u16_e32 0x80, v13
; %bb.2971:                             ;   in Loop: Header=BB2_2656 Depth=3
	s_mov_b32 s14, 0x7f800001
	s_xor_b32 s3, exec_lo, -1
; %bb.2972:                             ;   in Loop: Header=BB2_2656 Depth=3
	s_or_b32 exec_lo, exec_lo, s24
	s_delay_alu instid0(SALU_CYCLE_1)
	s_and_b32 s3, s3, exec_lo
	s_or_saveexec_b32 s17, s17
	v_mov_b32_e32 v149, s14
	s_xor_b32 exec_lo, exec_lo, s17
	s_cbranch_execz .LBB2_2774
.LBB2_2973:                             ;   in Loop: Header=BB2_2656 Depth=3
	v_cmp_ne_u16_e64 s13, 0, v13
	v_mov_b32_e32 v149, 0
	s_and_not1_b32 s3, s3, exec_lo
	s_delay_alu instid0(VALU_DEP_2) | instskip(NEXT) | instid1(SALU_CYCLE_1)
	s_and_b32 s13, s13, exec_lo
	s_or_b32 s3, s3, s13
	s_or_b32 exec_lo, exec_lo, s17
	s_and_saveexec_b32 s14, s3
	s_cbranch_execnz .LBB2_2775
	s_branch .LBB2_2776
.LBB2_2974:                             ;   in Loop: Header=BB2_2656 Depth=3
	s_mov_b32 s3, -1
	s_mov_b32 s24, exec_lo
                                        ; implicit-def: $sgpr14
	v_cmpx_eq_u16_e64 0x80, v148
; %bb.2975:                             ;   in Loop: Header=BB2_2656 Depth=3
	s_mov_b32 s14, 0x7f800001
	s_xor_b32 s3, exec_lo, -1
; %bb.2976:                             ;   in Loop: Header=BB2_2656 Depth=3
	s_or_b32 exec_lo, exec_lo, s24
	s_delay_alu instid0(SALU_CYCLE_1)
	s_and_b32 s3, s3, exec_lo
                                        ; implicit-def: $vgpr148
	s_or_saveexec_b32 s17, s17
	v_mov_b32_e32 v13, s14
	s_xor_b32 exec_lo, exec_lo, s17
	s_cbranch_execz .LBB2_2786
.LBB2_2977:                             ;   in Loop: Header=BB2_2656 Depth=3
	v_cmp_ne_u16_e64 s13, 0, v148
	v_mov_b32_e32 v13, 0
	s_and_not1_b32 s3, s3, exec_lo
	s_delay_alu instid0(VALU_DEP_2) | instskip(NEXT) | instid1(SALU_CYCLE_1)
	s_and_b32 s13, s13, exec_lo
	s_or_b32 s3, s3, s13
	s_or_b32 exec_lo, exec_lo, s17
	s_and_saveexec_b32 s14, s3
	s_cbranch_execnz .LBB2_2787
	s_branch .LBB2_2788
.LBB2_2978:                             ;   in Loop: Header=BB2_2656 Depth=3
	s_mov_b32 s3, -1
	s_mov_b32 s24, exec_lo
                                        ; implicit-def: $sgpr14
	v_cmpx_eq_u16_e64 0x80, v149
; %bb.2979:                             ;   in Loop: Header=BB2_2656 Depth=3
	s_mov_b32 s14, 0x7f800001
	s_xor_b32 s3, exec_lo, -1
; %bb.2980:                             ;   in Loop: Header=BB2_2656 Depth=3
	s_or_b32 exec_lo, exec_lo, s24
	s_delay_alu instid0(SALU_CYCLE_1)
	s_and_b32 s3, s3, exec_lo
                                        ; implicit-def: $vgpr149
	s_or_saveexec_b32 s17, s17
	v_mov_b32_e32 v148, s14
	s_xor_b32 exec_lo, exec_lo, s17
	s_cbranch_execz .LBB2_2790
.LBB2_2981:                             ;   in Loop: Header=BB2_2656 Depth=3
	v_cmp_ne_u16_e64 s13, 0, v149
	v_mov_b32_e32 v148, 0
	s_and_not1_b32 s3, s3, exec_lo
	s_delay_alu instid0(VALU_DEP_2) | instskip(NEXT) | instid1(SALU_CYCLE_1)
	s_and_b32 s13, s13, exec_lo
	s_or_b32 s3, s3, s13
	s_or_b32 exec_lo, exec_lo, s17
	s_and_saveexec_b32 s14, s3
	s_cbranch_execnz .LBB2_2791
	s_branch .LBB2_2792
.LBB2_2982:                             ;   in Loop: Header=BB2_2656 Depth=3
	s_mov_b32 s3, -1
	s_mov_b32 s24, exec_lo
                                        ; implicit-def: $sgpr14
	v_cmpx_eq_u16_e64 0x80, v149
; %bb.2983:                             ;   in Loop: Header=BB2_2656 Depth=3
	s_mov_b32 s14, 0x7f800001
	s_xor_b32 s3, exec_lo, -1
; %bb.2984:                             ;   in Loop: Header=BB2_2656 Depth=3
	s_or_b32 exec_lo, exec_lo, s24
	s_delay_alu instid0(SALU_CYCLE_1)
	s_and_b32 s3, s3, exec_lo
	s_or_saveexec_b32 s17, s17
	v_mov_b32_e32 v148, s14
	s_xor_b32 exec_lo, exec_lo, s17
	s_cbranch_execz .LBB2_2802
.LBB2_2985:                             ;   in Loop: Header=BB2_2656 Depth=3
	v_cmp_ne_u16_e64 s13, 0, v149
	v_mov_b32_e32 v148, 0
	s_and_not1_b32 s3, s3, exec_lo
	s_delay_alu instid0(VALU_DEP_2) | instskip(NEXT) | instid1(SALU_CYCLE_1)
	s_and_b32 s13, s13, exec_lo
	s_or_b32 s3, s3, s13
	s_or_b32 exec_lo, exec_lo, s17
	s_and_saveexec_b32 s14, s3
	s_cbranch_execnz .LBB2_2803
	s_branch .LBB2_2804
.LBB2_2986:                             ;   in Loop: Header=BB2_2656 Depth=3
	s_mov_b32 s3, -1
	s_mov_b32 s24, exec_lo
                                        ; implicit-def: $sgpr14
	v_cmpx_eq_u16_e64 0x80, v149
; %bb.2987:                             ;   in Loop: Header=BB2_2656 Depth=3
	s_mov_b32 s14, 0x7f800001
	s_xor_b32 s3, exec_lo, -1
; %bb.2988:                             ;   in Loop: Header=BB2_2656 Depth=3
	s_or_b32 exec_lo, exec_lo, s24
	s_delay_alu instid0(SALU_CYCLE_1)
	s_and_b32 s3, s3, exec_lo
	s_or_saveexec_b32 s17, s17
	v_mov_b32_e32 v150, s14
	s_xor_b32 exec_lo, exec_lo, s17
	s_cbranch_execz .LBB2_2806
.LBB2_2989:                             ;   in Loop: Header=BB2_2656 Depth=3
	v_cmp_ne_u16_e64 s13, 0, v149
	v_mov_b32_e32 v150, 0
	s_and_not1_b32 s3, s3, exec_lo
	s_delay_alu instid0(VALU_DEP_2) | instskip(NEXT) | instid1(SALU_CYCLE_1)
	s_and_b32 s13, s13, exec_lo
	s_or_b32 s3, s3, s13
	s_or_b32 exec_lo, exec_lo, s17
	s_and_saveexec_b32 s14, s3
	s_cbranch_execnz .LBB2_2807
	s_branch .LBB2_2808
.LBB2_2990:                             ;   in Loop: Header=BB2_2656 Depth=3
	s_mov_b32 s3, -1
	s_mov_b32 s24, exec_lo
                                        ; implicit-def: $sgpr14
	v_cmpx_eq_u16_e64 0x80, v151
; %bb.2991:                             ;   in Loop: Header=BB2_2656 Depth=3
	s_mov_b32 s14, 0x7f800001
	s_xor_b32 s3, exec_lo, -1
; %bb.2992:                             ;   in Loop: Header=BB2_2656 Depth=3
	s_or_b32 exec_lo, exec_lo, s24
	s_delay_alu instid0(SALU_CYCLE_1)
	s_and_b32 s3, s3, exec_lo
                                        ; implicit-def: $vgpr151
	s_or_saveexec_b32 s17, s17
	v_mov_b32_e32 v149, s14
	s_xor_b32 exec_lo, exec_lo, s17
	s_cbranch_execz .LBB2_2818
.LBB2_2993:                             ;   in Loop: Header=BB2_2656 Depth=3
	v_cmp_ne_u16_e64 s13, 0, v151
	v_mov_b32_e32 v149, 0
	s_and_not1_b32 s3, s3, exec_lo
	s_delay_alu instid0(VALU_DEP_2) | instskip(NEXT) | instid1(SALU_CYCLE_1)
	s_and_b32 s13, s13, exec_lo
	s_or_b32 s3, s3, s13
	s_or_b32 exec_lo, exec_lo, s17
	s_and_saveexec_b32 s14, s3
	s_cbranch_execnz .LBB2_2819
	s_branch .LBB2_2820
.LBB2_2994:                             ;   in Loop: Header=BB2_2656 Depth=3
	s_mov_b32 s3, -1
	s_mov_b32 s24, exec_lo
                                        ; implicit-def: $sgpr14
	v_cmpx_eq_u16_e64 0x80, v160
; %bb.2995:                             ;   in Loop: Header=BB2_2656 Depth=3
	s_mov_b32 s14, 0x7f800001
	s_xor_b32 s3, exec_lo, -1
; %bb.2996:                             ;   in Loop: Header=BB2_2656 Depth=3
	s_or_b32 exec_lo, exec_lo, s24
	s_delay_alu instid0(SALU_CYCLE_1)
	s_and_b32 s3, s3, exec_lo
                                        ; implicit-def: $vgpr160
	s_or_saveexec_b32 s17, s17
	v_mov_b32_e32 v151, s14
	s_xor_b32 exec_lo, exec_lo, s17
	s_cbranch_execz .LBB2_2822
.LBB2_2997:                             ;   in Loop: Header=BB2_2656 Depth=3
	v_cmp_ne_u16_e64 s13, 0, v160
	v_mov_b32_e32 v151, 0
	s_and_not1_b32 s3, s3, exec_lo
	s_delay_alu instid0(VALU_DEP_2) | instskip(NEXT) | instid1(SALU_CYCLE_1)
	s_and_b32 s13, s13, exec_lo
	s_or_b32 s3, s3, s13
	s_or_b32 exec_lo, exec_lo, s17
	s_and_saveexec_b32 s14, s3
	s_cbranch_execnz .LBB2_2823
	s_branch .LBB2_2824
.LBB2_2998:                             ;   in Loop: Header=BB2_2656 Depth=3
	s_mov_b32 s3, -1
	s_mov_b32 s24, exec_lo
                                        ; implicit-def: $sgpr14
	v_cmpx_eq_u16_e64 0x80, v151
; %bb.2999:                             ;   in Loop: Header=BB2_2656 Depth=3
	s_mov_b32 s14, 0x7f800001
	s_xor_b32 s3, exec_lo, -1
; %bb.3000:                             ;   in Loop: Header=BB2_2656 Depth=3
	s_or_b32 exec_lo, exec_lo, s24
	s_delay_alu instid0(SALU_CYCLE_1)
	s_and_b32 s3, s3, exec_lo
	s_or_saveexec_b32 s17, s17
	v_mov_b32_e32 v150, s14
	s_xor_b32 exec_lo, exec_lo, s17
	s_cbranch_execz .LBB2_2834
.LBB2_3001:                             ;   in Loop: Header=BB2_2656 Depth=3
	v_cmp_ne_u16_e64 s13, 0, v151
	v_mov_b32_e32 v150, 0
	s_and_not1_b32 s3, s3, exec_lo
	s_delay_alu instid0(VALU_DEP_2) | instskip(NEXT) | instid1(SALU_CYCLE_1)
	s_and_b32 s13, s13, exec_lo
	s_or_b32 s3, s3, s13
	s_or_b32 exec_lo, exec_lo, s17
	s_and_saveexec_b32 s14, s3
	s_cbranch_execnz .LBB2_2835
	s_branch .LBB2_2836
.LBB2_3002:                             ;   in Loop: Header=BB2_2656 Depth=3
	s_mov_b32 s3, -1
	s_mov_b32 s24, exec_lo
                                        ; implicit-def: $sgpr14
	v_cmpx_eq_u16_e32 0x80, v14
; %bb.3003:                             ;   in Loop: Header=BB2_2656 Depth=3
	s_mov_b32 s14, 0x7f800001
	s_xor_b32 s3, exec_lo, -1
; %bb.3004:                             ;   in Loop: Header=BB2_2656 Depth=3
	s_or_b32 exec_lo, exec_lo, s24
	s_delay_alu instid0(SALU_CYCLE_1)
	s_and_b32 s3, s3, exec_lo
	s_or_saveexec_b32 s17, s17
	v_mov_b32_e32 v151, s14
	s_xor_b32 exec_lo, exec_lo, s17
	s_cbranch_execz .LBB2_2838
.LBB2_3005:                             ;   in Loop: Header=BB2_2656 Depth=3
	v_cmp_ne_u16_e64 s13, 0, v14
	v_mov_b32_e32 v151, 0
	s_and_not1_b32 s3, s3, exec_lo
	s_delay_alu instid0(VALU_DEP_2) | instskip(NEXT) | instid1(SALU_CYCLE_1)
	s_and_b32 s13, s13, exec_lo
	s_or_b32 s3, s3, s13
	s_or_b32 exec_lo, exec_lo, s17
	s_and_saveexec_b32 s14, s3
	s_cbranch_execnz .LBB2_2839
	s_branch .LBB2_2840
.LBB2_3006:                             ;   in Loop: Header=BB2_2656 Depth=3
	s_mov_b32 s3, -1
	s_mov_b32 s24, exec_lo
                                        ; implicit-def: $sgpr14
	v_cmpx_eq_u16_e64 0x80, v150
; %bb.3007:                             ;   in Loop: Header=BB2_2656 Depth=3
	s_mov_b32 s14, 0x7f800001
	s_xor_b32 s3, exec_lo, -1
; %bb.3008:                             ;   in Loop: Header=BB2_2656 Depth=3
	s_or_b32 exec_lo, exec_lo, s24
	s_delay_alu instid0(SALU_CYCLE_1)
	s_and_b32 s3, s3, exec_lo
                                        ; implicit-def: $vgpr150
	s_or_saveexec_b32 s17, s17
	v_mov_b32_e32 v14, s14
	s_xor_b32 exec_lo, exec_lo, s17
	s_cbranch_execz .LBB2_2850
.LBB2_3009:                             ;   in Loop: Header=BB2_2656 Depth=3
	v_cmp_ne_u16_e64 s13, 0, v150
	v_mov_b32_e32 v14, 0
	s_and_not1_b32 s3, s3, exec_lo
	s_delay_alu instid0(VALU_DEP_2) | instskip(NEXT) | instid1(SALU_CYCLE_1)
	s_and_b32 s13, s13, exec_lo
	s_or_b32 s3, s3, s13
	s_or_b32 exec_lo, exec_lo, s17
	s_and_saveexec_b32 s14, s3
	s_cbranch_execnz .LBB2_2851
	s_branch .LBB2_2852
.LBB2_3010:                             ;   in Loop: Header=BB2_2656 Depth=3
	s_mov_b32 s3, -1
	s_mov_b32 s24, exec_lo
                                        ; implicit-def: $sgpr14
	v_cmpx_eq_u16_e64 0x80, v151
; %bb.3011:                             ;   in Loop: Header=BB2_2656 Depth=3
	s_mov_b32 s14, 0x7f800001
	s_xor_b32 s3, exec_lo, -1
; %bb.3012:                             ;   in Loop: Header=BB2_2656 Depth=3
	s_or_b32 exec_lo, exec_lo, s24
	s_delay_alu instid0(SALU_CYCLE_1)
	s_and_b32 s3, s3, exec_lo
                                        ; implicit-def: $vgpr151
	s_or_saveexec_b32 s17, s17
	v_mov_b32_e32 v150, s14
	s_xor_b32 exec_lo, exec_lo, s17
	s_cbranch_execz .LBB2_2854
.LBB2_3013:                             ;   in Loop: Header=BB2_2656 Depth=3
	v_cmp_ne_u16_e64 s13, 0, v151
	v_mov_b32_e32 v150, 0
	s_and_not1_b32 s3, s3, exec_lo
	s_delay_alu instid0(VALU_DEP_2) | instskip(NEXT) | instid1(SALU_CYCLE_1)
	s_and_b32 s13, s13, exec_lo
	s_or_b32 s3, s3, s13
	s_or_b32 exec_lo, exec_lo, s17
	s_and_saveexec_b32 s14, s3
	s_cbranch_execnz .LBB2_2855
	s_branch .LBB2_2856
.LBB2_3014:                             ;   in Loop: Header=BB2_2656 Depth=3
	s_mov_b32 s3, -1
	s_mov_b32 s24, exec_lo
                                        ; implicit-def: $sgpr14
	v_cmpx_eq_u16_e64 0x80, v151
; %bb.3015:                             ;   in Loop: Header=BB2_2656 Depth=3
	s_mov_b32 s14, 0x7f800001
	s_xor_b32 s3, exec_lo, -1
; %bb.3016:                             ;   in Loop: Header=BB2_2656 Depth=3
	s_or_b32 exec_lo, exec_lo, s24
	s_delay_alu instid0(SALU_CYCLE_1)
	s_and_b32 s3, s3, exec_lo
	s_or_saveexec_b32 s17, s17
	v_mov_b32_e32 v150, s14
	s_xor_b32 exec_lo, exec_lo, s17
	s_cbranch_execz .LBB2_2866
.LBB2_3017:                             ;   in Loop: Header=BB2_2656 Depth=3
	v_cmp_ne_u16_e64 s13, 0, v151
	v_mov_b32_e32 v150, 0
	s_and_not1_b32 s3, s3, exec_lo
	s_delay_alu instid0(VALU_DEP_2) | instskip(NEXT) | instid1(SALU_CYCLE_1)
	s_and_b32 s13, s13, exec_lo
	s_or_b32 s3, s3, s13
	s_or_b32 exec_lo, exec_lo, s17
	s_and_saveexec_b32 s14, s3
	s_cbranch_execnz .LBB2_2867
	s_branch .LBB2_2868
.LBB2_3018:                             ;   in Loop: Header=BB2_2656 Depth=3
	s_mov_b32 s3, -1
	s_mov_b32 s24, exec_lo
                                        ; implicit-def: $sgpr14
	v_cmpx_eq_u16_e64 0x80, v151
; %bb.3019:                             ;   in Loop: Header=BB2_2656 Depth=3
	s_mov_b32 s14, 0x7f800001
	s_xor_b32 s3, exec_lo, -1
; %bb.3020:                             ;   in Loop: Header=BB2_2656 Depth=3
	s_or_b32 exec_lo, exec_lo, s24
	s_delay_alu instid0(SALU_CYCLE_1)
	s_and_b32 s3, s3, exec_lo
	s_or_saveexec_b32 s17, s17
	v_mov_b32_e32 v160, s14
	s_xor_b32 exec_lo, exec_lo, s17
	s_cbranch_execz .LBB2_2870
.LBB2_3021:                             ;   in Loop: Header=BB2_2656 Depth=3
	v_cmp_ne_u16_e64 s13, 0, v151
	v_mov_b32_e32 v160, 0
	s_and_not1_b32 s3, s3, exec_lo
	s_delay_alu instid0(VALU_DEP_2) | instskip(NEXT) | instid1(SALU_CYCLE_1)
	s_and_b32 s13, s13, exec_lo
	s_or_b32 s3, s3, s13
	s_or_b32 exec_lo, exec_lo, s17
	s_and_saveexec_b32 s14, s3
	s_cbranch_execnz .LBB2_2871
	s_branch .LBB2_2872
.LBB2_3022:                             ;   in Loop: Header=BB2_2656 Depth=3
	s_mov_b32 s3, -1
	s_mov_b32 s24, exec_lo
                                        ; implicit-def: $sgpr14
	v_cmpx_eq_u16_e64 0x80, v161
; %bb.3023:                             ;   in Loop: Header=BB2_2656 Depth=3
	s_mov_b32 s14, 0x7f800001
	s_xor_b32 s3, exec_lo, -1
; %bb.3024:                             ;   in Loop: Header=BB2_2656 Depth=3
	s_or_b32 exec_lo, exec_lo, s24
	s_delay_alu instid0(SALU_CYCLE_1)
	s_and_b32 s3, s3, exec_lo
                                        ; implicit-def: $vgpr161
	s_or_saveexec_b32 s17, s17
	v_mov_b32_e32 v151, s14
	s_xor_b32 exec_lo, exec_lo, s17
	s_cbranch_execz .LBB2_2882
.LBB2_3025:                             ;   in Loop: Header=BB2_2656 Depth=3
	v_cmp_ne_u16_e64 s13, 0, v161
	v_mov_b32_e32 v151, 0
	s_and_not1_b32 s3, s3, exec_lo
	s_delay_alu instid0(VALU_DEP_2) | instskip(NEXT) | instid1(SALU_CYCLE_1)
	s_and_b32 s13, s13, exec_lo
	s_or_b32 s3, s3, s13
	s_or_b32 exec_lo, exec_lo, s17
	s_and_saveexec_b32 s14, s3
	s_cbranch_execnz .LBB2_2883
	s_branch .LBB2_2884
.LBB2_3026:                             ;   in Loop: Header=BB2_2656 Depth=3
	s_mov_b32 s3, -1
	s_mov_b32 s24, exec_lo
                                        ; implicit-def: $sgpr14
	v_cmpx_eq_u16_e64 0x80, v162
; %bb.3027:                             ;   in Loop: Header=BB2_2656 Depth=3
	s_mov_b32 s14, 0x7f800001
	s_xor_b32 s3, exec_lo, -1
; %bb.3028:                             ;   in Loop: Header=BB2_2656 Depth=3
	s_or_b32 exec_lo, exec_lo, s24
	s_delay_alu instid0(SALU_CYCLE_1)
	s_and_b32 s3, s3, exec_lo
                                        ; implicit-def: $vgpr162
	s_or_saveexec_b32 s17, s17
	v_mov_b32_e32 v161, s14
	s_xor_b32 exec_lo, exec_lo, s17
	s_cbranch_execz .LBB2_2886
.LBB2_3029:                             ;   in Loop: Header=BB2_2656 Depth=3
	v_cmp_ne_u16_e64 s13, 0, v162
	v_mov_b32_e32 v161, 0
	s_and_not1_b32 s3, s3, exec_lo
	s_delay_alu instid0(VALU_DEP_2) | instskip(NEXT) | instid1(SALU_CYCLE_1)
	s_and_b32 s13, s13, exec_lo
	s_or_b32 s3, s3, s13
	s_or_b32 exec_lo, exec_lo, s17
	s_and_saveexec_b32 s14, s3
	s_cbranch_execnz .LBB2_2887
	s_branch .LBB2_2888
.LBB2_3030:                             ;   in Loop: Header=BB2_2656 Depth=3
	s_mov_b32 s3, -1
	s_mov_b32 s24, exec_lo
                                        ; implicit-def: $sgpr14
	v_cmpx_eq_u16_e64 0x80, v161
; %bb.3031:                             ;   in Loop: Header=BB2_2656 Depth=3
	s_mov_b32 s14, 0x7f800001
	s_xor_b32 s3, exec_lo, -1
; %bb.3032:                             ;   in Loop: Header=BB2_2656 Depth=3
	s_or_b32 exec_lo, exec_lo, s24
	s_delay_alu instid0(SALU_CYCLE_1)
	s_and_b32 s3, s3, exec_lo
	s_or_saveexec_b32 s17, s17
	v_mov_b32_e32 v160, s14
	s_xor_b32 exec_lo, exec_lo, s17
	s_cbranch_execz .LBB2_2898
.LBB2_3033:                             ;   in Loop: Header=BB2_2656 Depth=3
	v_cmp_ne_u16_e64 s13, 0, v161
	v_mov_b32_e32 v160, 0
	s_and_not1_b32 s3, s3, exec_lo
	s_delay_alu instid0(VALU_DEP_2) | instskip(NEXT) | instid1(SALU_CYCLE_1)
	s_and_b32 s13, s13, exec_lo
	s_or_b32 s3, s3, s13
	s_or_b32 exec_lo, exec_lo, s17
	s_and_saveexec_b32 s14, s3
	s_cbranch_execnz .LBB2_2899
	s_branch .LBB2_2900
.LBB2_3034:                             ;   in Loop: Header=BB2_2656 Depth=3
	s_mov_b32 s3, -1
	s_mov_b32 s24, exec_lo
                                        ; implicit-def: $sgpr14
	v_cmpx_eq_u16_e32 0x80, v15
; %bb.3035:                             ;   in Loop: Header=BB2_2656 Depth=3
	s_mov_b32 s14, 0x7f800001
	s_xor_b32 s3, exec_lo, -1
; %bb.3036:                             ;   in Loop: Header=BB2_2656 Depth=3
	s_or_b32 exec_lo, exec_lo, s24
	s_delay_alu instid0(SALU_CYCLE_1)
	s_and_b32 s3, s3, exec_lo
	s_or_saveexec_b32 s17, s17
	v_mov_b32_e32 v161, s14
	s_xor_b32 exec_lo, exec_lo, s17
	s_cbranch_execz .LBB2_2902
.LBB2_3037:                             ;   in Loop: Header=BB2_2656 Depth=3
	v_cmp_ne_u16_e64 s13, 0, v15
	v_mov_b32_e32 v161, 0
	s_and_not1_b32 s3, s3, exec_lo
	s_delay_alu instid0(VALU_DEP_2) | instskip(NEXT) | instid1(SALU_CYCLE_1)
	s_and_b32 s13, s13, exec_lo
	s_or_b32 s3, s3, s13
	s_or_b32 exec_lo, exec_lo, s17
	s_and_saveexec_b32 s14, s3
	s_cbranch_execnz .LBB2_2903
	s_branch .LBB2_2904
.LBB2_3038:                             ;   in Loop: Header=BB2_1542 Depth=2
	s_or_b32 exec_lo, exec_lo, s16
.LBB2_3039:                             ;   in Loop: Header=BB2_1542 Depth=2
	s_delay_alu instid0(SALU_CYCLE_1) | instskip(SKIP_3) | instid1(VALU_DEP_1)
	s_or_b32 exec_lo, exec_lo, s15
	v_dual_mov_b32 v14, 0 :: v_dual_and_b32 v9, 15, v55
	s_mov_b32 s3, 0
	s_mov_b32 s15, exec_lo
                                        ; implicit-def: $vgpr15
                                        ; implicit-def: $vgpr64
                                        ; implicit-def: $vgpr8
	v_cndmask_b32_e32 v70, v71, v9, vcc_lo
	s_delay_alu instid0(VALU_DEP_1)
	v_cmpx_ne_u32_e32 0, v70
	s_cbranch_execz .LBB2_3432
; %bb.3040:                             ;   in Loop: Header=BB2_1542 Depth=2
	v_cmp_lt_i32_e64 s13, 0, v134
	v_ashrrev_i32_e32 v11, 31, v70
	v_sub_nc_u32_e32 v9, v71, v9
	s_mov_b32 s16, exec_lo
	s_delay_alu instid0(VALU_DEP_3) | instskip(NEXT) | instid1(VALU_DEP_3)
	v_cndmask_b32_e64 v8, 0, v83, s13
	v_lshrrev_b32_e32 v11, 23, v11
	s_delay_alu instid0(VALU_DEP_3) | instskip(NEXT) | instid1(VALU_DEP_3)
	v_cndmask_b32_e32 v9, 0, v9, vcc_lo
	v_sub_nc_u32_e32 v8, v8, v134
	s_delay_alu instid0(VALU_DEP_3) | instskip(NEXT) | instid1(VALU_DEP_3)
	v_add_nc_u32_e32 v11, v70, v11
	v_add_nc_u32_e32 v2, v9, v2
	s_delay_alu instid0(VALU_DEP_3) | instskip(NEXT) | instid1(VALU_DEP_3)
	v_lshl_add_u32 v8, v8, 5, v85
	v_and_b32_e32 v134, 0xfffffe00, v11
	v_ashrrev_i32_e32 v11, 9, v11
	s_delay_alu instid0(VALU_DEP_3) | instskip(NEXT) | instid1(VALU_DEP_3)
	v_ashrrev_i32_e32 v10, 31, v8
	v_sub_nc_u32_e32 v71, v70, v134
	s_delay_alu instid0(VALU_DEP_2) | instskip(NEXT) | instid1(VALU_DEP_2)
	v_lshrrev_b32_e32 v10, 27, v10
	v_cmp_lt_i32_e32 vcc_lo, 15, v71
	s_delay_alu instid0(VALU_DEP_2) | instskip(SKIP_1) | instid1(VALU_DEP_2)
	v_add_nc_u32_e32 v10, v8, v10
	v_add_co_ci_u32_e64 v11, s13, 0, v11, vcc_lo
	v_and_b32_e32 v12, 0xffffffe0, v10
	v_ashrrev_i32_e32 v10, 5, v10
	s_delay_alu instid0(VALU_DEP_2) | instskip(NEXT) | instid1(VALU_DEP_2)
	v_sub_nc_u32_e32 v135, v8, v12
	v_sub_nc_u32_e32 v144, v11, v10
	s_delay_alu instid0(VALU_DEP_2) | instskip(NEXT) | instid1(VALU_DEP_1)
	v_lshlrev_b32_e32 v8, 4, v135
	v_lshl_add_u32 v8, v10, 9, v8
	s_delay_alu instid0(VALU_DEP_1) | instskip(NEXT) | instid1(VALU_DEP_1)
	v_sub_nc_u32_e32 v145, v70, v8
	v_cmpx_lt_i32_e32 15, v145
	s_cbranch_execz .LBB2_3429
; %bb.3041:                             ;   in Loop: Header=BB2_1542 Depth=2
	s_cbranch_execnz .LBB2_4792
; %bb.3042:                             ;   in Loop: Header=BB2_1542 Depth=2
	ds_load_b128 v[9:12], v0
	ds_load_b64 v[13:14], v0
	v_add_nc_u32_e32 v8, v8, v2
	s_mov_b32 s17, 0
	s_delay_alu instid0(VALU_DEP_1) | instskip(SKIP_2) | instid1(VALU_DEP_1)
	v_ashrrev_i32_e32 v15, 31, v8
	s_waitcnt lgkmcnt(1)
	v_add_co_u32 v64, s13, v9, v8
	v_add_co_ci_u32_e64 v65, s13, v10, v15, s13
	v_add_co_u32 v66, s13, v11, v8
	s_delay_alu instid0(VALU_DEP_1) | instskip(SKIP_2) | instid1(VALU_DEP_1)
	v_add_co_ci_u32_e64 v67, s13, v12, v15, s13
	s_waitcnt lgkmcnt(0)
	v_add_co_u32 v68, s13, v13, v8
	v_add_co_ci_u32_e64 v69, s13, v14, v15, s13
	s_branch .LBB2_3046
.LBB2_3043:                             ;   in Loop: Header=BB2_3046 Depth=3
	s_or_b32 exec_lo, exec_lo, s13
	s_delay_alu instid0(VALU_DEP_1) | instskip(NEXT) | instid1(VALU_DEP_2)
	v_lshrrev_b32_e32 v163, 20, v163
	v_min_i32_e32 v164, 15, v15
	v_cmp_gt_i32_e64 s13, 16, v15
	v_lshrrev_b32_e32 v11, 24, v11
	s_delay_alu instid0(VALU_DEP_3) | instskip(NEXT) | instid1(VALU_DEP_3)
	v_lshlrev_b32_e32 v164, 3, v164
	v_cndmask_b32_e64 v163, 7, v163, s13
	s_delay_alu instid0(VALU_DEP_3) | instskip(NEXT) | instid1(VALU_DEP_3)
	v_and_b32_e32 v11, 0x80, v11
	v_and_b32_e32 v164, 0xf8, v164
	s_delay_alu instid0(VALU_DEP_3) | instskip(SKIP_1) | instid1(VALU_DEP_2)
	v_and_b32_e32 v165, 7, v163
	v_or_b32_e32 v15, v15, v163
	v_or3_b32 v11, v11, v164, v165
	s_delay_alu instid0(VALU_DEP_2) | instskip(NEXT) | instid1(VALU_DEP_2)
	v_cmp_ne_u32_e64 s13, 0, v15
	v_lshlrev_b32_e32 v11, 8, v11
	s_delay_alu instid0(VALU_DEP_1)
	v_cndmask_b32_e64 v15, 0, v11, s13
.LBB2_3044:                             ;   in Loop: Header=BB2_3046 Depth=3
	s_or_b32 exec_lo, exec_lo, s24
.LBB2_3045:                             ;   in Loop: Header=BB2_3046 Depth=3
	s_delay_alu instid0(SALU_CYCLE_1)
	s_or_b32 exec_lo, exec_lo, s3
	v_or_b32_e32 v9, v9, v150
	v_and_b32_e32 v11, 0xff, v148
	v_lshlrev_b32_e32 v147, 8, v147
	v_and_b32_e32 v148, 0xff, v160
	v_lshlrev_b32_e32 v150, 8, v151
	v_or_b32_e32 v15, v15, v162
	v_and_b32_e32 v12, 0xff, v12
	v_lshlrev_b32_e32 v8, 24, v8
	v_lshlrev_b32_e32 v9, 16, v9
	;; [unrolled: 1-line block ×3, first 2 shown]
	v_perm_b32 v146, v147, v146, 0xc0c0500
	v_lshlrev_b32_e32 v10, 24, v10
	v_lshlrev_b32_e32 v147, 16, v148
	v_perm_b32 v13, v150, v13, 0xc0c0500
	v_and_b32_e32 v14, 0xff, v14
	v_lshlrev_b32_e32 v15, 16, v15
	v_add_co_u32 v64, s13, v64, v100
	v_or3_b32 v9, v149, v12, v9
	v_or3_b32 v8, v8, v11, v146
	;; [unrolled: 1-line block ×4, first 2 shown]
	v_sub_nc_u32_e32 v145, v145, v86
	v_add_co_ci_u32_e64 v65, s13, v65, v101, s13
	v_add_co_u32 v66, s13, v66, v100
	s_delay_alu instid0(VALU_DEP_1) | instskip(SKIP_3) | instid1(VALU_DEP_1)
	v_add_co_ci_u32_e64 v67, s13, v67, v101, s13
	global_store_b128 v[68:69], v[8:11], off glc slc dlc
	v_cmp_gt_i32_e64 s13, 16, v145
	v_add_co_u32 v68, s14, v68, v100
	v_add_co_ci_u32_e64 v69, s14, v69, v101, s14
	v_sub_nc_u32_e32 v144, v144, v83
	s_delay_alu instid0(VALU_DEP_4) | instskip(NEXT) | instid1(SALU_CYCLE_1)
	s_or_b32 s17, s13, s17
	s_and_not1_b32 exec_lo, exec_lo, s17
	s_cbranch_execz .LBB2_3428
.LBB2_3046:                             ;   Parent Loop BB2_51 Depth=1
                                        ;     Parent Loop BB2_1542 Depth=2
                                        ; =>    This Inner Loop Header: Depth=3
	global_load_b128 v[12:15], v[64:65], off slc dlc
	global_load_b128 v[8:11], v[66:67], off slc dlc
	s_mov_b32 s3, 0
	s_mov_b32 s24, exec_lo
                                        ; implicit-def: $sgpr14
	s_waitcnt vmcnt(1)
	v_and_b32_e32 v147, 0xff, v12
	s_delay_alu instid0(VALU_DEP_1)
	v_cmpx_lt_i16_e64 0x7f, v147
	s_xor_b32 s24, exec_lo, s24
	s_cbranch_execnz .LBB2_3300
; %bb.3047:                             ;   in Loop: Header=BB2_3046 Depth=3
	s_or_saveexec_b32 s24, s24
	v_mov_b32_e32 v146, s14
	s_xor_b32 exec_lo, exec_lo, s24
	s_cbranch_execnz .LBB2_3303
.LBB2_3048:                             ;   in Loop: Header=BB2_3046 Depth=3
	s_or_b32 exec_lo, exec_lo, s24
	s_and_saveexec_b32 s14, s3
	s_cbranch_execz .LBB2_3050
.LBB2_3049:                             ;   in Loop: Header=BB2_3046 Depth=3
	v_and_b32_e32 v146, 7, v12
	v_bfe_u32 v149, v12, 3, 4
	v_lshlrev_b32_e32 v150, 24, v12
	s_delay_alu instid0(VALU_DEP_3) | instskip(NEXT) | instid1(VALU_DEP_3)
	v_clz_i32_u32_e32 v147, v146
	v_cmp_eq_u32_e64 s13, 0, v149
	s_delay_alu instid0(VALU_DEP_2) | instskip(NEXT) | instid1(VALU_DEP_1)
	v_min_u32_e32 v147, 32, v147
	v_subrev_nc_u32_e32 v148, 28, v147
	v_sub_nc_u32_e32 v147, 29, v147
	s_delay_alu instid0(VALU_DEP_2) | instskip(NEXT) | instid1(VALU_DEP_2)
	v_lshlrev_b32_e32 v148, v148, v12
	v_cndmask_b32_e64 v147, v149, v147, s13
	s_delay_alu instid0(VALU_DEP_2) | instskip(NEXT) | instid1(VALU_DEP_2)
	v_and_b32_e32 v148, 7, v148
	v_lshl_add_u32 v147, v147, 23, 0x3b800000
	s_delay_alu instid0(VALU_DEP_2) | instskip(SKIP_1) | instid1(VALU_DEP_2)
	v_cndmask_b32_e64 v146, v146, v148, s13
	v_and_b32_e32 v148, 0x80000000, v150
	v_lshlrev_b32_e32 v146, 20, v146
	s_delay_alu instid0(VALU_DEP_1)
	v_or3_b32 v146, v148, v147, v146
.LBB2_3050:                             ;   in Loop: Header=BB2_3046 Depth=3
	s_or_b32 exec_lo, exec_lo, s14
	s_waitcnt vmcnt(0)
	v_and_b32_e32 v148, 0xff, v8
	s_mov_b32 s3, 0
	s_mov_b32 s24, exec_lo
                                        ; implicit-def: $sgpr14
	s_delay_alu instid0(VALU_DEP_1)
	v_cmpx_lt_i16_e64 0x7f, v148
	s_xor_b32 s24, exec_lo, s24
	s_cbranch_execnz .LBB2_3304
; %bb.3051:                             ;   in Loop: Header=BB2_3046 Depth=3
	s_or_saveexec_b32 s24, s24
	v_mov_b32_e32 v147, s14
	s_xor_b32 exec_lo, exec_lo, s24
	s_cbranch_execnz .LBB2_3307
.LBB2_3052:                             ;   in Loop: Header=BB2_3046 Depth=3
	s_or_b32 exec_lo, exec_lo, s24
	s_and_saveexec_b32 s14, s3
	s_cbranch_execz .LBB2_3054
.LBB2_3053:                             ;   in Loop: Header=BB2_3046 Depth=3
	v_and_b32_e32 v147, 7, v8
	v_bfe_u32 v150, v8, 3, 4
	v_lshlrev_b32_e32 v151, 24, v8
	s_delay_alu instid0(VALU_DEP_3) | instskip(NEXT) | instid1(VALU_DEP_3)
	v_clz_i32_u32_e32 v148, v147
	v_cmp_eq_u32_e64 s13, 0, v150
	s_delay_alu instid0(VALU_DEP_2) | instskip(NEXT) | instid1(VALU_DEP_1)
	v_min_u32_e32 v148, 32, v148
	v_subrev_nc_u32_e32 v149, 28, v148
	v_sub_nc_u32_e32 v148, 29, v148
	s_delay_alu instid0(VALU_DEP_2) | instskip(NEXT) | instid1(VALU_DEP_2)
	v_lshlrev_b32_e32 v149, v149, v8
	v_cndmask_b32_e64 v148, v150, v148, s13
	s_delay_alu instid0(VALU_DEP_2) | instskip(NEXT) | instid1(VALU_DEP_2)
	v_and_b32_e32 v149, 7, v149
	v_lshl_add_u32 v148, v148, 23, 0x3b800000
	s_delay_alu instid0(VALU_DEP_2) | instskip(SKIP_1) | instid1(VALU_DEP_2)
	v_cndmask_b32_e64 v147, v147, v149, s13
	v_and_b32_e32 v149, 0x80000000, v151
	v_lshlrev_b32_e32 v147, 20, v147
	s_delay_alu instid0(VALU_DEP_1)
	v_or3_b32 v147, v149, v148, v147
.LBB2_3054:                             ;   in Loop: Header=BB2_3046 Depth=3
	s_or_b32 exec_lo, exec_lo, s14
	s_delay_alu instid0(VALU_DEP_1) | instskip(NEXT) | instid1(VALU_DEP_1)
	v_add_f32_e32 v147, v146, v147
	v_and_b32_e32 v146, 0x7f800000, v147
	s_delay_alu instid0(VALU_DEP_1) | instskip(SKIP_1) | instid1(VALU_DEP_2)
	v_cmp_ne_u32_e64 s13, 0x7f800000, v146
	v_mov_b32_e32 v146, 0x80
	s_and_saveexec_b32 s3, s13
	s_cbranch_execz .LBB2_3062
; %bb.3055:                             ;   in Loop: Header=BB2_3046 Depth=3
	v_mov_b32_e32 v146, 0
	s_mov_b32 s24, exec_lo
	v_cmpx_ne_u32_e32 0, v147
	s_cbranch_execz .LBB2_3061
; %bb.3056:                             ;   in Loop: Header=BB2_3046 Depth=3
	v_bfe_u32 v146, v147, 23, 8
	v_and_b32_e32 v148, 0x7fffff, v147
	s_delay_alu instid0(VALU_DEP_2) | instskip(SKIP_1) | instid1(VALU_DEP_3)
	v_sub_nc_u32_e32 v149, 0x78, v146
	v_cmp_gt_u32_e64 s13, 0x79, v146
	v_or_b32_e32 v150, 0x800000, v148
	s_delay_alu instid0(VALU_DEP_2) | instskip(SKIP_2) | instid1(VALU_DEP_2)
	v_cndmask_b32_e64 v149, 0, v149, s13
	v_cmp_eq_u32_e64 s13, 0, v146
	v_add_nc_u32_e32 v146, 0xffffff89, v146
	v_cndmask_b32_e64 v149, v149, 0x77, s13
	v_cndmask_b32_e64 v148, v150, v148, s13
	s_delay_alu instid0(VALU_DEP_3) | instskip(NEXT) | instid1(VALU_DEP_3)
	v_cndmask_b32_e64 v146, v146, 0xffffff8a, s13
	v_lshl_add_u32 v150, 0x100000, v149, -1
	s_delay_alu instid0(VALU_DEP_3) | instskip(SKIP_1) | instid1(VALU_DEP_4)
	v_lshrrev_b32_e32 v151, v149, v148
	v_lshlrev_b32_e64 v161, v149, 0x80000
	v_add_nc_u32_e32 v149, v149, v146
	s_delay_alu instid0(VALU_DEP_4) | instskip(NEXT) | instid1(VALU_DEP_4)
	v_and_b32_e32 v148, v150, v148
	v_bfe_u32 v160, v151, 20, 1
	s_delay_alu instid0(VALU_DEP_2) | instskip(NEXT) | instid1(VALU_DEP_2)
	v_cmp_eq_u32_e64 s14, v148, v161
	v_add_nc_u32_e32 v150, -1, v160
	s_delay_alu instid0(VALU_DEP_1) | instskip(SKIP_2) | instid1(VALU_DEP_2)
	v_cndmask_b32_e64 v148, 0, v150, s14
	v_lshrrev_b32_e32 v150, 23, v151
	s_mov_b32 s14, exec_lo
	v_add_nc_u32_e32 v148, v148, v151
	s_delay_alu instid0(VALU_DEP_2) | instskip(NEXT) | instid1(VALU_DEP_2)
	v_xor_b32_e32 v150, 1, v150
	v_and_b32_e32 v146, 0xfffff, v148
	s_delay_alu instid0(VALU_DEP_1) | instskip(NEXT) | instid1(VALU_DEP_3)
	v_add_nc_u32_e32 v148, v146, v151
                                        ; implicit-def: $vgpr146
	v_cmpx_ne_u32_e64 v149, v150
	s_xor_b32 s14, exec_lo, s14
; %bb.3057:                             ;   in Loop: Header=BB2_3046 Depth=3
	s_delay_alu instid0(VALU_DEP_2) | instskip(SKIP_1) | instid1(VALU_DEP_2)
	v_cmp_lt_u32_e64 s13, 0xffffff, v148
	v_sub_nc_u32_e32 v146, v149, v150
	v_cndmask_b32_e64 v149, 0, 1, s13
	s_delay_alu instid0(VALU_DEP_2) | instskip(NEXT) | instid1(VALU_DEP_2)
	v_add_co_ci_u32_e64 v146, s13, 0, v146, s13
	v_lshrrev_b32_e32 v148, v149, v148
; %bb.3058:                             ;   in Loop: Header=BB2_3046 Depth=3
	s_and_not1_saveexec_b32 s13, s14
; %bb.3059:                             ;   in Loop: Header=BB2_3046 Depth=3
	s_delay_alu instid0(VALU_DEP_1)
	v_bfe_u32 v146, v148, 23, 1
; %bb.3060:                             ;   in Loop: Header=BB2_3046 Depth=3
	s_or_b32 exec_lo, exec_lo, s13
	v_lshrrev_b32_e32 v148, 20, v148
	s_delay_alu instid0(VALU_DEP_2) | instskip(SKIP_2) | instid1(VALU_DEP_3)
	v_cmp_gt_i32_e64 s13, 16, v146
	v_lshrrev_b32_e32 v147, 24, v147
	v_min_i32_e32 v149, 15, v146
	v_cndmask_b32_e64 v148, 7, v148, s13
	s_delay_alu instid0(VALU_DEP_3) | instskip(NEXT) | instid1(VALU_DEP_3)
	v_and_b32_e32 v147, 0x80, v147
	v_lshlrev_b32_e32 v149, 3, v149
	s_delay_alu instid0(VALU_DEP_3) | instskip(SKIP_1) | instid1(VALU_DEP_2)
	v_and_b32_e32 v150, 7, v148
	v_or_b32_e32 v146, v146, v148
	v_or3_b32 v147, v149, v147, v150
	s_delay_alu instid0(VALU_DEP_2) | instskip(NEXT) | instid1(VALU_DEP_1)
	v_cmp_ne_u32_e64 s13, 0, v146
	v_cndmask_b32_e64 v146, 0, v147, s13
.LBB2_3061:                             ;   in Loop: Header=BB2_3046 Depth=3
	s_or_b32 exec_lo, exec_lo, s24
.LBB2_3062:                             ;   in Loop: Header=BB2_3046 Depth=3
	s_delay_alu instid0(SALU_CYCLE_1) | instskip(SKIP_3) | instid1(VALU_DEP_1)
	s_or_b32 exec_lo, exec_lo, s3
	v_lshrrev_b16 v148, 8, v12
	s_mov_b32 s3, 0
	s_mov_b32 s24, exec_lo
                                        ; implicit-def: $sgpr14
	v_cmpx_lt_i16_e64 0x7f, v148
	s_xor_b32 s24, exec_lo, s24
	s_cbranch_execnz .LBB2_3308
; %bb.3063:                             ;   in Loop: Header=BB2_3046 Depth=3
	s_or_saveexec_b32 s24, s24
	v_mov_b32_e32 v147, s14
	s_xor_b32 exec_lo, exec_lo, s24
	s_cbranch_execnz .LBB2_3311
.LBB2_3064:                             ;   in Loop: Header=BB2_3046 Depth=3
	s_or_b32 exec_lo, exec_lo, s24
	s_and_saveexec_b32 s14, s3
	s_cbranch_execz .LBB2_3066
.LBB2_3065:                             ;   in Loop: Header=BB2_3046 Depth=3
	v_and_b32_e32 v147, 0xffff, v148
	v_lshlrev_b32_e32 v148, 24, v148
	s_delay_alu instid0(VALU_DEP_2) | instskip(NEXT) | instid1(VALU_DEP_2)
	v_and_b32_e32 v149, 7, v147
	v_and_b32_e32 v148, 0x80000000, v148
	s_delay_alu instid0(VALU_DEP_2) | instskip(NEXT) | instid1(VALU_DEP_1)
	v_clz_i32_u32_e32 v150, v149
	v_min_u32_e32 v150, 32, v150
	s_delay_alu instid0(VALU_DEP_1) | instskip(SKIP_1) | instid1(VALU_DEP_2)
	v_subrev_nc_u32_e32 v151, 28, v150
	v_sub_nc_u32_e32 v150, 29, v150
	v_lshlrev_b32_e32 v151, v151, v147
	v_bfe_u32 v147, v147, 3, 4
	s_delay_alu instid0(VALU_DEP_2) | instskip(NEXT) | instid1(VALU_DEP_2)
	v_and_b32_e32 v151, 7, v151
	v_cmp_eq_u32_e64 s13, 0, v147
	s_delay_alu instid0(VALU_DEP_1) | instskip(NEXT) | instid1(VALU_DEP_3)
	v_cndmask_b32_e64 v147, v147, v150, s13
	v_cndmask_b32_e64 v149, v149, v151, s13
	s_delay_alu instid0(VALU_DEP_2) | instskip(NEXT) | instid1(VALU_DEP_2)
	v_lshl_add_u32 v147, v147, 23, 0x3b800000
	v_lshlrev_b32_e32 v149, 20, v149
	s_delay_alu instid0(VALU_DEP_1)
	v_or3_b32 v147, v148, v147, v149
.LBB2_3066:                             ;   in Loop: Header=BB2_3046 Depth=3
	s_or_b32 exec_lo, exec_lo, s14
	v_lshrrev_b16 v148, 8, v8
	s_mov_b32 s3, 0
	s_mov_b32 s24, exec_lo
                                        ; implicit-def: $sgpr14
	s_delay_alu instid0(VALU_DEP_1)
	v_cmpx_lt_i16_e64 0x7f, v148
	s_xor_b32 s24, exec_lo, s24
	s_cbranch_execnz .LBB2_3312
; %bb.3067:                             ;   in Loop: Header=BB2_3046 Depth=3
	s_or_saveexec_b32 s24, s24
	v_mov_b32_e32 v149, s14
	s_xor_b32 exec_lo, exec_lo, s24
	s_cbranch_execnz .LBB2_3315
.LBB2_3068:                             ;   in Loop: Header=BB2_3046 Depth=3
	s_or_b32 exec_lo, exec_lo, s24
	s_and_saveexec_b32 s14, s3
	s_cbranch_execz .LBB2_3070
.LBB2_3069:                             ;   in Loop: Header=BB2_3046 Depth=3
	v_and_b32_e32 v149, 0xffff, v148
	v_lshlrev_b32_e32 v148, 24, v148
	s_delay_alu instid0(VALU_DEP_2) | instskip(NEXT) | instid1(VALU_DEP_2)
	v_and_b32_e32 v150, 7, v149
	v_and_b32_e32 v148, 0x80000000, v148
	s_delay_alu instid0(VALU_DEP_2) | instskip(NEXT) | instid1(VALU_DEP_1)
	v_clz_i32_u32_e32 v151, v150
	v_min_u32_e32 v151, 32, v151
	s_delay_alu instid0(VALU_DEP_1) | instskip(SKIP_1) | instid1(VALU_DEP_2)
	v_subrev_nc_u32_e32 v160, 28, v151
	v_sub_nc_u32_e32 v151, 29, v151
	v_lshlrev_b32_e32 v160, v160, v149
	v_bfe_u32 v149, v149, 3, 4
	s_delay_alu instid0(VALU_DEP_2) | instskip(NEXT) | instid1(VALU_DEP_2)
	v_and_b32_e32 v160, 7, v160
	v_cmp_eq_u32_e64 s13, 0, v149
	s_delay_alu instid0(VALU_DEP_1) | instskip(NEXT) | instid1(VALU_DEP_3)
	v_cndmask_b32_e64 v149, v149, v151, s13
	v_cndmask_b32_e64 v150, v150, v160, s13
	s_delay_alu instid0(VALU_DEP_2) | instskip(NEXT) | instid1(VALU_DEP_2)
	v_lshl_add_u32 v149, v149, 23, 0x3b800000
	v_lshlrev_b32_e32 v150, 20, v150
	s_delay_alu instid0(VALU_DEP_1)
	v_or3_b32 v149, v148, v149, v150
.LBB2_3070:                             ;   in Loop: Header=BB2_3046 Depth=3
	s_or_b32 exec_lo, exec_lo, s14
	s_delay_alu instid0(VALU_DEP_1) | instskip(NEXT) | instid1(VALU_DEP_1)
	v_add_f32_e32 v148, v147, v149
	v_and_b32_e32 v147, 0x7f800000, v148
	s_delay_alu instid0(VALU_DEP_1) | instskip(SKIP_1) | instid1(VALU_DEP_2)
	v_cmp_ne_u32_e64 s13, 0x7f800000, v147
	v_mov_b32_e32 v147, 0x80
	s_and_saveexec_b32 s3, s13
	s_cbranch_execz .LBB2_3078
; %bb.3071:                             ;   in Loop: Header=BB2_3046 Depth=3
	v_mov_b32_e32 v147, 0
	s_mov_b32 s24, exec_lo
	v_cmpx_ne_u32_e32 0, v148
	s_cbranch_execz .LBB2_3077
; %bb.3072:                             ;   in Loop: Header=BB2_3046 Depth=3
	v_bfe_u32 v147, v148, 23, 8
	v_and_b32_e32 v149, 0x7fffff, v148
	s_delay_alu instid0(VALU_DEP_2) | instskip(SKIP_1) | instid1(VALU_DEP_3)
	v_sub_nc_u32_e32 v150, 0x78, v147
	v_cmp_gt_u32_e64 s13, 0x79, v147
	v_or_b32_e32 v151, 0x800000, v149
	s_delay_alu instid0(VALU_DEP_2) | instskip(SKIP_2) | instid1(VALU_DEP_2)
	v_cndmask_b32_e64 v150, 0, v150, s13
	v_cmp_eq_u32_e64 s13, 0, v147
	v_add_nc_u32_e32 v147, 0xffffff89, v147
	v_cndmask_b32_e64 v150, v150, 0x77, s13
	v_cndmask_b32_e64 v149, v151, v149, s13
	s_delay_alu instid0(VALU_DEP_3) | instskip(NEXT) | instid1(VALU_DEP_3)
	v_cndmask_b32_e64 v147, v147, 0xffffff8a, s13
	v_lshl_add_u32 v151, 0x100000, v150, -1
	s_delay_alu instid0(VALU_DEP_3) | instskip(SKIP_1) | instid1(VALU_DEP_4)
	v_lshrrev_b32_e32 v160, v150, v149
	v_lshlrev_b32_e64 v162, v150, 0x80000
	v_add_nc_u32_e32 v150, v150, v147
	s_delay_alu instid0(VALU_DEP_4) | instskip(NEXT) | instid1(VALU_DEP_4)
	v_and_b32_e32 v149, v151, v149
	v_bfe_u32 v161, v160, 20, 1
	s_delay_alu instid0(VALU_DEP_2) | instskip(NEXT) | instid1(VALU_DEP_2)
	v_cmp_eq_u32_e64 s14, v149, v162
	v_add_nc_u32_e32 v151, -1, v161
	s_delay_alu instid0(VALU_DEP_1) | instskip(SKIP_2) | instid1(VALU_DEP_2)
	v_cndmask_b32_e64 v149, 0, v151, s14
	v_lshrrev_b32_e32 v151, 23, v160
	s_mov_b32 s14, exec_lo
	v_add_nc_u32_e32 v149, v149, v160
	s_delay_alu instid0(VALU_DEP_2) | instskip(NEXT) | instid1(VALU_DEP_2)
	v_xor_b32_e32 v151, 1, v151
	v_and_b32_e32 v147, 0xfffff, v149
	s_delay_alu instid0(VALU_DEP_1) | instskip(NEXT) | instid1(VALU_DEP_3)
	v_add_nc_u32_e32 v149, v147, v160
                                        ; implicit-def: $vgpr147
	v_cmpx_ne_u32_e64 v150, v151
	s_xor_b32 s14, exec_lo, s14
; %bb.3073:                             ;   in Loop: Header=BB2_3046 Depth=3
	s_delay_alu instid0(VALU_DEP_2) | instskip(SKIP_1) | instid1(VALU_DEP_2)
	v_cmp_lt_u32_e64 s13, 0xffffff, v149
	v_sub_nc_u32_e32 v147, v150, v151
	v_cndmask_b32_e64 v150, 0, 1, s13
	s_delay_alu instid0(VALU_DEP_2) | instskip(NEXT) | instid1(VALU_DEP_2)
	v_add_co_ci_u32_e64 v147, s13, 0, v147, s13
	v_lshrrev_b32_e32 v149, v150, v149
; %bb.3074:                             ;   in Loop: Header=BB2_3046 Depth=3
	s_and_not1_saveexec_b32 s13, s14
; %bb.3075:                             ;   in Loop: Header=BB2_3046 Depth=3
	s_delay_alu instid0(VALU_DEP_1)
	v_bfe_u32 v147, v149, 23, 1
; %bb.3076:                             ;   in Loop: Header=BB2_3046 Depth=3
	s_or_b32 exec_lo, exec_lo, s13
	v_lshrrev_b32_e32 v149, 20, v149
	s_delay_alu instid0(VALU_DEP_2) | instskip(SKIP_2) | instid1(VALU_DEP_3)
	v_cmp_gt_i32_e64 s13, 16, v147
	v_lshrrev_b32_e32 v148, 24, v148
	v_min_i32_e32 v150, 15, v147
	v_cndmask_b32_e64 v149, 7, v149, s13
	s_delay_alu instid0(VALU_DEP_3) | instskip(NEXT) | instid1(VALU_DEP_3)
	v_and_b32_e32 v148, 0x80, v148
	v_lshlrev_b32_e32 v150, 3, v150
	s_delay_alu instid0(VALU_DEP_3) | instskip(SKIP_1) | instid1(VALU_DEP_2)
	v_and_b32_e32 v151, 7, v149
	v_or_b32_e32 v147, v147, v149
	v_or3_b32 v148, v150, v148, v151
	s_delay_alu instid0(VALU_DEP_2) | instskip(NEXT) | instid1(VALU_DEP_1)
	v_cmp_ne_u32_e64 s13, 0, v147
	v_cndmask_b32_e64 v147, 0, v148, s13
.LBB2_3077:                             ;   in Loop: Header=BB2_3046 Depth=3
	s_or_b32 exec_lo, exec_lo, s24
.LBB2_3078:                             ;   in Loop: Header=BB2_3046 Depth=3
	s_delay_alu instid0(SALU_CYCLE_1) | instskip(SKIP_3) | instid1(VALU_DEP_1)
	s_or_b32 exec_lo, exec_lo, s3
	v_lshrrev_b32_e32 v149, 16, v12
	s_mov_b32 s3, 0
	s_mov_b32 s24, exec_lo
                                        ; implicit-def: $sgpr14
	v_and_b32_e32 v150, 0xff, v149
	s_delay_alu instid0(VALU_DEP_1)
	v_cmpx_lt_i16_e64 0x7f, v150
	s_xor_b32 s24, exec_lo, s24
	s_cbranch_execnz .LBB2_3316
; %bb.3079:                             ;   in Loop: Header=BB2_3046 Depth=3
	s_or_saveexec_b32 s24, s24
	v_mov_b32_e32 v148, s14
	s_xor_b32 exec_lo, exec_lo, s24
	s_cbranch_execnz .LBB2_3319
.LBB2_3080:                             ;   in Loop: Header=BB2_3046 Depth=3
	s_or_b32 exec_lo, exec_lo, s24
	s_and_saveexec_b32 s14, s3
	s_cbranch_execz .LBB2_3082
.LBB2_3081:                             ;   in Loop: Header=BB2_3046 Depth=3
	v_bfe_u32 v148, v12, 16, 3
	v_lshlrev_b32_e32 v160, 8, v12
	s_delay_alu instid0(VALU_DEP_2) | instskip(NEXT) | instid1(VALU_DEP_1)
	v_clz_i32_u32_e32 v150, v148
	v_min_u32_e32 v150, 32, v150
	s_delay_alu instid0(VALU_DEP_1) | instskip(SKIP_1) | instid1(VALU_DEP_2)
	v_subrev_nc_u32_e32 v151, 28, v150
	v_sub_nc_u32_e32 v150, 29, v150
	v_lshlrev_b32_e32 v149, v151, v149
	v_bfe_u32 v151, v12, 19, 4
	s_delay_alu instid0(VALU_DEP_2) | instskip(NEXT) | instid1(VALU_DEP_2)
	v_and_b32_e32 v149, 7, v149
	v_cmp_eq_u32_e64 s13, 0, v151
	s_delay_alu instid0(VALU_DEP_1) | instskip(NEXT) | instid1(VALU_DEP_3)
	v_cndmask_b32_e64 v150, v151, v150, s13
	v_cndmask_b32_e64 v148, v148, v149, s13
	v_and_b32_e32 v149, 0x80000000, v160
	s_delay_alu instid0(VALU_DEP_3) | instskip(NEXT) | instid1(VALU_DEP_3)
	v_lshl_add_u32 v150, v150, 23, 0x3b800000
	v_lshlrev_b32_e32 v148, 20, v148
	s_delay_alu instid0(VALU_DEP_1)
	v_or3_b32 v148, v149, v150, v148
.LBB2_3082:                             ;   in Loop: Header=BB2_3046 Depth=3
	s_or_b32 exec_lo, exec_lo, s14
	v_lshrrev_b32_e32 v149, 16, v8
	s_mov_b32 s3, 0
	s_mov_b32 s24, exec_lo
                                        ; implicit-def: $sgpr14
	s_delay_alu instid0(VALU_DEP_1) | instskip(NEXT) | instid1(VALU_DEP_1)
	v_and_b32_e32 v151, 0xff, v149
	v_cmpx_lt_i16_e64 0x7f, v151
	s_xor_b32 s24, exec_lo, s24
	s_cbranch_execnz .LBB2_3320
; %bb.3083:                             ;   in Loop: Header=BB2_3046 Depth=3
	s_or_saveexec_b32 s24, s24
	v_mov_b32_e32 v150, s14
	s_xor_b32 exec_lo, exec_lo, s24
	s_cbranch_execnz .LBB2_3323
.LBB2_3084:                             ;   in Loop: Header=BB2_3046 Depth=3
	s_or_b32 exec_lo, exec_lo, s24
	s_and_saveexec_b32 s14, s3
	s_cbranch_execz .LBB2_3086
.LBB2_3085:                             ;   in Loop: Header=BB2_3046 Depth=3
	v_bfe_u32 v150, v8, 16, 3
	v_lshlrev_b32_e32 v161, 8, v8
	s_delay_alu instid0(VALU_DEP_2) | instskip(NEXT) | instid1(VALU_DEP_1)
	v_clz_i32_u32_e32 v151, v150
	v_min_u32_e32 v151, 32, v151
	s_delay_alu instid0(VALU_DEP_1) | instskip(SKIP_1) | instid1(VALU_DEP_2)
	v_subrev_nc_u32_e32 v160, 28, v151
	v_sub_nc_u32_e32 v151, 29, v151
	v_lshlrev_b32_e32 v149, v160, v149
	v_bfe_u32 v160, v8, 19, 4
	s_delay_alu instid0(VALU_DEP_2) | instskip(NEXT) | instid1(VALU_DEP_2)
	v_and_b32_e32 v149, 7, v149
	v_cmp_eq_u32_e64 s13, 0, v160
	s_delay_alu instid0(VALU_DEP_1) | instskip(NEXT) | instid1(VALU_DEP_3)
	v_cndmask_b32_e64 v151, v160, v151, s13
	v_cndmask_b32_e64 v149, v150, v149, s13
	v_and_b32_e32 v150, 0x80000000, v161
	s_delay_alu instid0(VALU_DEP_3) | instskip(NEXT) | instid1(VALU_DEP_3)
	v_lshl_add_u32 v151, v151, 23, 0x3b800000
	v_lshlrev_b32_e32 v149, 20, v149
	s_delay_alu instid0(VALU_DEP_1)
	v_or3_b32 v150, v150, v151, v149
.LBB2_3086:                             ;   in Loop: Header=BB2_3046 Depth=3
	s_or_b32 exec_lo, exec_lo, s14
	s_delay_alu instid0(VALU_DEP_1) | instskip(NEXT) | instid1(VALU_DEP_1)
	v_add_f32_e32 v149, v148, v150
	v_and_b32_e32 v148, 0x7f800000, v149
	s_delay_alu instid0(VALU_DEP_1) | instskip(SKIP_1) | instid1(VALU_DEP_2)
	v_cmp_ne_u32_e64 s13, 0x7f800000, v148
	v_mov_b32_e32 v148, 0x80
	s_and_saveexec_b32 s3, s13
	s_cbranch_execz .LBB2_3094
; %bb.3087:                             ;   in Loop: Header=BB2_3046 Depth=3
	v_mov_b32_e32 v148, 0
	s_mov_b32 s24, exec_lo
	v_cmpx_ne_u32_e32 0, v149
	s_cbranch_execz .LBB2_3093
; %bb.3088:                             ;   in Loop: Header=BB2_3046 Depth=3
	v_bfe_u32 v148, v149, 23, 8
	v_and_b32_e32 v150, 0x7fffff, v149
	s_delay_alu instid0(VALU_DEP_2) | instskip(SKIP_1) | instid1(VALU_DEP_3)
	v_sub_nc_u32_e32 v151, 0x78, v148
	v_cmp_gt_u32_e64 s13, 0x79, v148
	v_or_b32_e32 v160, 0x800000, v150
	s_delay_alu instid0(VALU_DEP_2) | instskip(SKIP_2) | instid1(VALU_DEP_2)
	v_cndmask_b32_e64 v151, 0, v151, s13
	v_cmp_eq_u32_e64 s13, 0, v148
	v_add_nc_u32_e32 v148, 0xffffff89, v148
	v_cndmask_b32_e64 v151, v151, 0x77, s13
	v_cndmask_b32_e64 v150, v160, v150, s13
	s_delay_alu instid0(VALU_DEP_3) | instskip(NEXT) | instid1(VALU_DEP_3)
	v_cndmask_b32_e64 v148, v148, 0xffffff8a, s13
	v_lshl_add_u32 v160, 0x100000, v151, -1
	s_delay_alu instid0(VALU_DEP_3) | instskip(SKIP_1) | instid1(VALU_DEP_4)
	v_lshrrev_b32_e32 v161, v151, v150
	v_lshlrev_b32_e64 v163, v151, 0x80000
	v_add_nc_u32_e32 v151, v151, v148
	s_delay_alu instid0(VALU_DEP_4) | instskip(NEXT) | instid1(VALU_DEP_4)
	v_and_b32_e32 v150, v160, v150
	v_bfe_u32 v162, v161, 20, 1
	s_delay_alu instid0(VALU_DEP_2) | instskip(NEXT) | instid1(VALU_DEP_2)
	v_cmp_eq_u32_e64 s14, v150, v163
	v_add_nc_u32_e32 v160, -1, v162
	s_delay_alu instid0(VALU_DEP_1) | instskip(SKIP_2) | instid1(VALU_DEP_2)
	v_cndmask_b32_e64 v150, 0, v160, s14
	v_lshrrev_b32_e32 v160, 23, v161
	s_mov_b32 s14, exec_lo
	v_add_nc_u32_e32 v150, v150, v161
	s_delay_alu instid0(VALU_DEP_2) | instskip(NEXT) | instid1(VALU_DEP_2)
	v_xor_b32_e32 v160, 1, v160
	v_and_b32_e32 v148, 0xfffff, v150
	s_delay_alu instid0(VALU_DEP_1) | instskip(NEXT) | instid1(VALU_DEP_3)
	v_add_nc_u32_e32 v150, v148, v161
                                        ; implicit-def: $vgpr148
	v_cmpx_ne_u32_e64 v151, v160
	s_xor_b32 s14, exec_lo, s14
; %bb.3089:                             ;   in Loop: Header=BB2_3046 Depth=3
	s_delay_alu instid0(VALU_DEP_2) | instskip(SKIP_1) | instid1(VALU_DEP_2)
	v_cmp_lt_u32_e64 s13, 0xffffff, v150
	v_sub_nc_u32_e32 v148, v151, v160
	v_cndmask_b32_e64 v151, 0, 1, s13
	s_delay_alu instid0(VALU_DEP_2) | instskip(NEXT) | instid1(VALU_DEP_2)
	v_add_co_ci_u32_e64 v148, s13, 0, v148, s13
	v_lshrrev_b32_e32 v150, v151, v150
; %bb.3090:                             ;   in Loop: Header=BB2_3046 Depth=3
	s_and_not1_saveexec_b32 s13, s14
; %bb.3091:                             ;   in Loop: Header=BB2_3046 Depth=3
	s_delay_alu instid0(VALU_DEP_1)
	v_bfe_u32 v148, v150, 23, 1
; %bb.3092:                             ;   in Loop: Header=BB2_3046 Depth=3
	s_or_b32 exec_lo, exec_lo, s13
	v_lshrrev_b32_e32 v150, 20, v150
	s_delay_alu instid0(VALU_DEP_2) | instskip(SKIP_2) | instid1(VALU_DEP_3)
	v_cmp_gt_i32_e64 s13, 16, v148
	v_lshrrev_b32_e32 v149, 24, v149
	v_min_i32_e32 v151, 15, v148
	v_cndmask_b32_e64 v150, 7, v150, s13
	s_delay_alu instid0(VALU_DEP_3) | instskip(NEXT) | instid1(VALU_DEP_3)
	v_and_b32_e32 v149, 0x80, v149
	v_lshlrev_b32_e32 v151, 3, v151
	s_delay_alu instid0(VALU_DEP_3) | instskip(SKIP_1) | instid1(VALU_DEP_2)
	v_and_b32_e32 v160, 7, v150
	v_or_b32_e32 v148, v148, v150
	v_or3_b32 v149, v151, v149, v160
	s_delay_alu instid0(VALU_DEP_2) | instskip(NEXT) | instid1(VALU_DEP_1)
	v_cmp_ne_u32_e64 s13, 0, v148
	v_cndmask_b32_e64 v148, 0, v149, s13
.LBB2_3093:                             ;   in Loop: Header=BB2_3046 Depth=3
	s_or_b32 exec_lo, exec_lo, s24
.LBB2_3094:                             ;   in Loop: Header=BB2_3046 Depth=3
	s_delay_alu instid0(SALU_CYCLE_1) | instskip(SKIP_3) | instid1(VALU_DEP_1)
	s_or_b32 exec_lo, exec_lo, s3
	v_lshrrev_b32_e32 v150, 24, v12
	s_mov_b32 s3, 0
	s_mov_b32 s24, exec_lo
                                        ; implicit-def: $sgpr14
	v_cmpx_lt_i16_e64 0x7f, v150
	s_xor_b32 s24, exec_lo, s24
	s_cbranch_execnz .LBB2_3324
; %bb.3095:                             ;   in Loop: Header=BB2_3046 Depth=3
	s_or_saveexec_b32 s24, s24
	v_mov_b32_e32 v149, s14
	s_xor_b32 exec_lo, exec_lo, s24
	s_cbranch_execnz .LBB2_3327
.LBB2_3096:                             ;   in Loop: Header=BB2_3046 Depth=3
	s_or_b32 exec_lo, exec_lo, s24
	s_and_saveexec_b32 s14, s3
	s_cbranch_execz .LBB2_3098
.LBB2_3097:                             ;   in Loop: Header=BB2_3046 Depth=3
	v_bfe_u32 v149, v12, 24, 3
	s_delay_alu instid0(VALU_DEP_1) | instskip(NEXT) | instid1(VALU_DEP_1)
	v_clz_i32_u32_e32 v151, v149
	v_min_u32_e32 v151, 32, v151
	s_delay_alu instid0(VALU_DEP_1) | instskip(SKIP_1) | instid1(VALU_DEP_2)
	v_subrev_nc_u32_e32 v160, 28, v151
	v_sub_nc_u32_e32 v151, 29, v151
	v_lshlrev_b32_e32 v150, v160, v150
	v_bfe_u32 v160, v12, 27, 4
	v_and_b32_e32 v12, 0x80000000, v12
	s_delay_alu instid0(VALU_DEP_3) | instskip(NEXT) | instid1(VALU_DEP_3)
	v_and_b32_e32 v150, 7, v150
	v_cmp_eq_u32_e64 s13, 0, v160
	s_delay_alu instid0(VALU_DEP_1) | instskip(NEXT) | instid1(VALU_DEP_3)
	v_cndmask_b32_e64 v151, v160, v151, s13
	v_cndmask_b32_e64 v149, v149, v150, s13
	s_delay_alu instid0(VALU_DEP_2) | instskip(NEXT) | instid1(VALU_DEP_2)
	v_lshl_add_u32 v150, v151, 23, 0x3b800000
	v_lshlrev_b32_e32 v149, 20, v149
	s_delay_alu instid0(VALU_DEP_1)
	v_or3_b32 v149, v12, v150, v149
.LBB2_3098:                             ;   in Loop: Header=BB2_3046 Depth=3
	s_or_b32 exec_lo, exec_lo, s14
	v_lshrrev_b32_e32 v12, 24, v8
	s_mov_b32 s3, 0
	s_mov_b32 s24, exec_lo
                                        ; implicit-def: $sgpr14
	s_delay_alu instid0(VALU_DEP_1)
	v_cmpx_lt_i16_e32 0x7f, v12
	s_xor_b32 s24, exec_lo, s24
	s_cbranch_execnz .LBB2_3328
; %bb.3099:                             ;   in Loop: Header=BB2_3046 Depth=3
	s_or_saveexec_b32 s24, s24
	v_mov_b32_e32 v150, s14
	s_xor_b32 exec_lo, exec_lo, s24
	s_cbranch_execnz .LBB2_3331
.LBB2_3100:                             ;   in Loop: Header=BB2_3046 Depth=3
	s_or_b32 exec_lo, exec_lo, s24
	s_and_saveexec_b32 s14, s3
	s_cbranch_execz .LBB2_3102
.LBB2_3101:                             ;   in Loop: Header=BB2_3046 Depth=3
	v_bfe_u32 v150, v8, 24, 3
	s_delay_alu instid0(VALU_DEP_1) | instskip(NEXT) | instid1(VALU_DEP_1)
	v_clz_i32_u32_e32 v151, v150
	v_min_u32_e32 v151, 32, v151
	s_delay_alu instid0(VALU_DEP_1) | instskip(SKIP_1) | instid1(VALU_DEP_2)
	v_subrev_nc_u32_e32 v160, 28, v151
	v_sub_nc_u32_e32 v151, 29, v151
	v_lshlrev_b32_e32 v12, v160, v12
	v_bfe_u32 v160, v8, 27, 4
	v_and_b32_e32 v8, 0x80000000, v8
	s_delay_alu instid0(VALU_DEP_3) | instskip(NEXT) | instid1(VALU_DEP_3)
	v_and_b32_e32 v12, 7, v12
	v_cmp_eq_u32_e64 s13, 0, v160
	s_delay_alu instid0(VALU_DEP_1) | instskip(NEXT) | instid1(VALU_DEP_3)
	v_cndmask_b32_e64 v151, v160, v151, s13
	v_cndmask_b32_e64 v12, v150, v12, s13
	s_delay_alu instid0(VALU_DEP_2) | instskip(NEXT) | instid1(VALU_DEP_2)
	v_lshl_add_u32 v150, v151, 23, 0x3b800000
	v_lshlrev_b32_e32 v12, 20, v12
	s_delay_alu instid0(VALU_DEP_1)
	v_or3_b32 v150, v8, v150, v12
.LBB2_3102:                             ;   in Loop: Header=BB2_3046 Depth=3
	s_or_b32 exec_lo, exec_lo, s14
	s_delay_alu instid0(VALU_DEP_1) | instskip(NEXT) | instid1(VALU_DEP_1)
	v_add_f32_e32 v12, v149, v150
	v_and_b32_e32 v8, 0x7f800000, v12
	s_delay_alu instid0(VALU_DEP_1) | instskip(SKIP_1) | instid1(VALU_DEP_2)
	v_cmp_ne_u32_e64 s13, 0x7f800000, v8
	v_mov_b32_e32 v8, 0x80
	s_and_saveexec_b32 s3, s13
	s_cbranch_execz .LBB2_3110
; %bb.3103:                             ;   in Loop: Header=BB2_3046 Depth=3
	v_mov_b32_e32 v8, 0
	s_mov_b32 s24, exec_lo
	v_cmpx_ne_u32_e32 0, v12
	s_cbranch_execz .LBB2_3109
; %bb.3104:                             ;   in Loop: Header=BB2_3046 Depth=3
	v_bfe_u32 v8, v12, 23, 8
	v_and_b32_e32 v149, 0x7fffff, v12
	s_delay_alu instid0(VALU_DEP_2) | instskip(SKIP_1) | instid1(VALU_DEP_3)
	v_sub_nc_u32_e32 v150, 0x78, v8
	v_cmp_gt_u32_e64 s13, 0x79, v8
	v_or_b32_e32 v151, 0x800000, v149
	s_delay_alu instid0(VALU_DEP_2) | instskip(SKIP_2) | instid1(VALU_DEP_2)
	v_cndmask_b32_e64 v150, 0, v150, s13
	v_cmp_eq_u32_e64 s13, 0, v8
	v_add_nc_u32_e32 v8, 0xffffff89, v8
	v_cndmask_b32_e64 v150, v150, 0x77, s13
	v_cndmask_b32_e64 v149, v151, v149, s13
	s_delay_alu instid0(VALU_DEP_3) | instskip(NEXT) | instid1(VALU_DEP_3)
	v_cndmask_b32_e64 v8, v8, 0xffffff8a, s13
	v_lshl_add_u32 v151, 0x100000, v150, -1
	s_delay_alu instid0(VALU_DEP_3) | instskip(SKIP_1) | instid1(VALU_DEP_4)
	v_lshrrev_b32_e32 v160, v150, v149
	v_lshlrev_b32_e64 v162, v150, 0x80000
	v_add_nc_u32_e32 v150, v150, v8
	s_delay_alu instid0(VALU_DEP_4) | instskip(NEXT) | instid1(VALU_DEP_4)
	v_and_b32_e32 v149, v151, v149
	v_bfe_u32 v161, v160, 20, 1
	s_delay_alu instid0(VALU_DEP_2) | instskip(NEXT) | instid1(VALU_DEP_2)
	v_cmp_eq_u32_e64 s14, v149, v162
	v_add_nc_u32_e32 v151, -1, v161
	s_delay_alu instid0(VALU_DEP_1) | instskip(SKIP_2) | instid1(VALU_DEP_2)
	v_cndmask_b32_e64 v149, 0, v151, s14
	v_lshrrev_b32_e32 v151, 23, v160
	s_mov_b32 s14, exec_lo
	v_add_nc_u32_e32 v149, v149, v160
	s_delay_alu instid0(VALU_DEP_2) | instskip(NEXT) | instid1(VALU_DEP_2)
	v_xor_b32_e32 v151, 1, v151
	v_and_b32_e32 v8, 0xfffff, v149
	s_delay_alu instid0(VALU_DEP_1) | instskip(NEXT) | instid1(VALU_DEP_3)
	v_add_nc_u32_e32 v149, v8, v160
                                        ; implicit-def: $vgpr8
	v_cmpx_ne_u32_e64 v150, v151
	s_xor_b32 s14, exec_lo, s14
; %bb.3105:                             ;   in Loop: Header=BB2_3046 Depth=3
	s_delay_alu instid0(VALU_DEP_2) | instskip(SKIP_1) | instid1(VALU_DEP_2)
	v_cmp_lt_u32_e64 s13, 0xffffff, v149
	v_sub_nc_u32_e32 v8, v150, v151
	v_cndmask_b32_e64 v150, 0, 1, s13
	s_delay_alu instid0(VALU_DEP_2) | instskip(NEXT) | instid1(VALU_DEP_2)
	v_add_co_ci_u32_e64 v8, s13, 0, v8, s13
	v_lshrrev_b32_e32 v149, v150, v149
; %bb.3106:                             ;   in Loop: Header=BB2_3046 Depth=3
	s_and_not1_saveexec_b32 s13, s14
; %bb.3107:                             ;   in Loop: Header=BB2_3046 Depth=3
	s_delay_alu instid0(VALU_DEP_1)
	v_bfe_u32 v8, v149, 23, 1
; %bb.3108:                             ;   in Loop: Header=BB2_3046 Depth=3
	s_or_b32 exec_lo, exec_lo, s13
	v_lshrrev_b32_e32 v149, 20, v149
	s_delay_alu instid0(VALU_DEP_2) | instskip(SKIP_2) | instid1(VALU_DEP_3)
	v_cmp_gt_i32_e64 s13, 16, v8
	v_lshrrev_b32_e32 v12, 24, v12
	v_min_i32_e32 v150, 15, v8
	v_cndmask_b32_e64 v149, 7, v149, s13
	s_delay_alu instid0(VALU_DEP_3) | instskip(NEXT) | instid1(VALU_DEP_3)
	v_and_b32_e32 v12, 0x80, v12
	v_lshlrev_b32_e32 v150, 3, v150
	s_delay_alu instid0(VALU_DEP_3) | instskip(SKIP_1) | instid1(VALU_DEP_2)
	v_and_b32_e32 v151, 7, v149
	v_or_b32_e32 v8, v8, v149
	v_or3_b32 v12, v150, v12, v151
	s_delay_alu instid0(VALU_DEP_2) | instskip(NEXT) | instid1(VALU_DEP_1)
	v_cmp_ne_u32_e64 s13, 0, v8
	v_cndmask_b32_e64 v8, 0, v12, s13
.LBB2_3109:                             ;   in Loop: Header=BB2_3046 Depth=3
	s_or_b32 exec_lo, exec_lo, s24
.LBB2_3110:                             ;   in Loop: Header=BB2_3046 Depth=3
	s_delay_alu instid0(SALU_CYCLE_1) | instskip(SKIP_3) | instid1(VALU_DEP_1)
	s_or_b32 exec_lo, exec_lo, s3
	v_and_b32_e32 v149, 0xff, v13
	s_mov_b32 s3, 0
	s_mov_b32 s24, exec_lo
                                        ; implicit-def: $sgpr14
	v_cmpx_lt_i16_e64 0x7f, v149
	s_xor_b32 s24, exec_lo, s24
	s_cbranch_execnz .LBB2_3332
; %bb.3111:                             ;   in Loop: Header=BB2_3046 Depth=3
	s_or_saveexec_b32 s24, s24
	v_mov_b32_e32 v12, s14
	s_xor_b32 exec_lo, exec_lo, s24
	s_cbranch_execnz .LBB2_3335
.LBB2_3112:                             ;   in Loop: Header=BB2_3046 Depth=3
	s_or_b32 exec_lo, exec_lo, s24
	s_and_saveexec_b32 s14, s3
	s_cbranch_execz .LBB2_3114
.LBB2_3113:                             ;   in Loop: Header=BB2_3046 Depth=3
	v_and_b32_e32 v12, 7, v13
	v_bfe_u32 v151, v13, 3, 4
	v_lshlrev_b32_e32 v160, 24, v13
	s_delay_alu instid0(VALU_DEP_3) | instskip(NEXT) | instid1(VALU_DEP_3)
	v_clz_i32_u32_e32 v149, v12
	v_cmp_eq_u32_e64 s13, 0, v151
	s_delay_alu instid0(VALU_DEP_2) | instskip(NEXT) | instid1(VALU_DEP_1)
	v_min_u32_e32 v149, 32, v149
	v_subrev_nc_u32_e32 v150, 28, v149
	v_sub_nc_u32_e32 v149, 29, v149
	s_delay_alu instid0(VALU_DEP_2) | instskip(NEXT) | instid1(VALU_DEP_2)
	v_lshlrev_b32_e32 v150, v150, v13
	v_cndmask_b32_e64 v149, v151, v149, s13
	s_delay_alu instid0(VALU_DEP_2) | instskip(NEXT) | instid1(VALU_DEP_2)
	v_and_b32_e32 v150, 7, v150
	v_lshl_add_u32 v149, v149, 23, 0x3b800000
	s_delay_alu instid0(VALU_DEP_2) | instskip(SKIP_1) | instid1(VALU_DEP_2)
	v_cndmask_b32_e64 v12, v12, v150, s13
	v_and_b32_e32 v150, 0x80000000, v160
	v_lshlrev_b32_e32 v12, 20, v12
	s_delay_alu instid0(VALU_DEP_1)
	v_or3_b32 v12, v150, v149, v12
.LBB2_3114:                             ;   in Loop: Header=BB2_3046 Depth=3
	s_or_b32 exec_lo, exec_lo, s14
	v_and_b32_e32 v150, 0xff, v9
	s_mov_b32 s3, 0
	s_mov_b32 s24, exec_lo
                                        ; implicit-def: $sgpr14
	s_delay_alu instid0(VALU_DEP_1)
	v_cmpx_lt_i16_e64 0x7f, v150
	s_xor_b32 s24, exec_lo, s24
	s_cbranch_execnz .LBB2_3336
; %bb.3115:                             ;   in Loop: Header=BB2_3046 Depth=3
	s_or_saveexec_b32 s24, s24
	v_mov_b32_e32 v149, s14
	s_xor_b32 exec_lo, exec_lo, s24
	s_cbranch_execnz .LBB2_3339
.LBB2_3116:                             ;   in Loop: Header=BB2_3046 Depth=3
	s_or_b32 exec_lo, exec_lo, s24
	s_and_saveexec_b32 s14, s3
	s_cbranch_execz .LBB2_3118
.LBB2_3117:                             ;   in Loop: Header=BB2_3046 Depth=3
	v_and_b32_e32 v149, 7, v9
	v_bfe_u32 v160, v9, 3, 4
	v_lshlrev_b32_e32 v161, 24, v9
	s_delay_alu instid0(VALU_DEP_3) | instskip(NEXT) | instid1(VALU_DEP_3)
	v_clz_i32_u32_e32 v150, v149
	v_cmp_eq_u32_e64 s13, 0, v160
	s_delay_alu instid0(VALU_DEP_2) | instskip(NEXT) | instid1(VALU_DEP_1)
	v_min_u32_e32 v150, 32, v150
	v_subrev_nc_u32_e32 v151, 28, v150
	v_sub_nc_u32_e32 v150, 29, v150
	s_delay_alu instid0(VALU_DEP_2) | instskip(NEXT) | instid1(VALU_DEP_2)
	v_lshlrev_b32_e32 v151, v151, v9
	v_cndmask_b32_e64 v150, v160, v150, s13
	s_delay_alu instid0(VALU_DEP_2) | instskip(NEXT) | instid1(VALU_DEP_2)
	v_and_b32_e32 v151, 7, v151
	v_lshl_add_u32 v150, v150, 23, 0x3b800000
	s_delay_alu instid0(VALU_DEP_2) | instskip(SKIP_1) | instid1(VALU_DEP_2)
	v_cndmask_b32_e64 v149, v149, v151, s13
	v_and_b32_e32 v151, 0x80000000, v161
	v_lshlrev_b32_e32 v149, 20, v149
	s_delay_alu instid0(VALU_DEP_1)
	v_or3_b32 v149, v151, v150, v149
.LBB2_3118:                             ;   in Loop: Header=BB2_3046 Depth=3
	s_or_b32 exec_lo, exec_lo, s14
	s_delay_alu instid0(VALU_DEP_1) | instskip(NEXT) | instid1(VALU_DEP_1)
	v_add_f32_e32 v149, v12, v149
	v_and_b32_e32 v12, 0x7f800000, v149
	s_delay_alu instid0(VALU_DEP_1) | instskip(SKIP_1) | instid1(VALU_DEP_2)
	v_cmp_ne_u32_e64 s13, 0x7f800000, v12
	v_mov_b32_e32 v12, 0x80
	s_and_saveexec_b32 s3, s13
	s_cbranch_execz .LBB2_3126
; %bb.3119:                             ;   in Loop: Header=BB2_3046 Depth=3
	v_mov_b32_e32 v12, 0
	s_mov_b32 s24, exec_lo
	v_cmpx_ne_u32_e32 0, v149
	s_cbranch_execz .LBB2_3125
; %bb.3120:                             ;   in Loop: Header=BB2_3046 Depth=3
	v_bfe_u32 v12, v149, 23, 8
	v_and_b32_e32 v150, 0x7fffff, v149
	s_delay_alu instid0(VALU_DEP_2) | instskip(SKIP_1) | instid1(VALU_DEP_3)
	v_sub_nc_u32_e32 v151, 0x78, v12
	v_cmp_gt_u32_e64 s13, 0x79, v12
	v_or_b32_e32 v160, 0x800000, v150
	s_delay_alu instid0(VALU_DEP_2) | instskip(SKIP_2) | instid1(VALU_DEP_2)
	v_cndmask_b32_e64 v151, 0, v151, s13
	v_cmp_eq_u32_e64 s13, 0, v12
	v_add_nc_u32_e32 v12, 0xffffff89, v12
	v_cndmask_b32_e64 v151, v151, 0x77, s13
	v_cndmask_b32_e64 v150, v160, v150, s13
	s_delay_alu instid0(VALU_DEP_3) | instskip(NEXT) | instid1(VALU_DEP_3)
	v_cndmask_b32_e64 v12, v12, 0xffffff8a, s13
	v_lshl_add_u32 v160, 0x100000, v151, -1
	s_delay_alu instid0(VALU_DEP_3) | instskip(SKIP_1) | instid1(VALU_DEP_4)
	v_lshrrev_b32_e32 v161, v151, v150
	v_lshlrev_b32_e64 v163, v151, 0x80000
	v_add_nc_u32_e32 v151, v151, v12
	s_delay_alu instid0(VALU_DEP_4) | instskip(NEXT) | instid1(VALU_DEP_4)
	v_and_b32_e32 v150, v160, v150
	v_bfe_u32 v162, v161, 20, 1
	s_delay_alu instid0(VALU_DEP_2) | instskip(NEXT) | instid1(VALU_DEP_2)
	v_cmp_eq_u32_e64 s14, v150, v163
	v_add_nc_u32_e32 v160, -1, v162
	s_delay_alu instid0(VALU_DEP_1) | instskip(SKIP_2) | instid1(VALU_DEP_2)
	v_cndmask_b32_e64 v150, 0, v160, s14
	v_lshrrev_b32_e32 v160, 23, v161
	s_mov_b32 s14, exec_lo
	v_add_nc_u32_e32 v150, v150, v161
	s_delay_alu instid0(VALU_DEP_2) | instskip(NEXT) | instid1(VALU_DEP_2)
	v_xor_b32_e32 v160, 1, v160
	v_and_b32_e32 v12, 0xfffff, v150
	s_delay_alu instid0(VALU_DEP_1) | instskip(NEXT) | instid1(VALU_DEP_3)
	v_add_nc_u32_e32 v150, v12, v161
                                        ; implicit-def: $vgpr12
	v_cmpx_ne_u32_e64 v151, v160
	s_xor_b32 s14, exec_lo, s14
; %bb.3121:                             ;   in Loop: Header=BB2_3046 Depth=3
	s_delay_alu instid0(VALU_DEP_2) | instskip(SKIP_1) | instid1(VALU_DEP_2)
	v_cmp_lt_u32_e64 s13, 0xffffff, v150
	v_sub_nc_u32_e32 v12, v151, v160
	v_cndmask_b32_e64 v151, 0, 1, s13
	s_delay_alu instid0(VALU_DEP_2) | instskip(NEXT) | instid1(VALU_DEP_2)
	v_add_co_ci_u32_e64 v12, s13, 0, v12, s13
	v_lshrrev_b32_e32 v150, v151, v150
; %bb.3122:                             ;   in Loop: Header=BB2_3046 Depth=3
	s_and_not1_saveexec_b32 s13, s14
; %bb.3123:                             ;   in Loop: Header=BB2_3046 Depth=3
	s_delay_alu instid0(VALU_DEP_1)
	v_bfe_u32 v12, v150, 23, 1
; %bb.3124:                             ;   in Loop: Header=BB2_3046 Depth=3
	s_or_b32 exec_lo, exec_lo, s13
	v_lshrrev_b32_e32 v150, 20, v150
	s_delay_alu instid0(VALU_DEP_2) | instskip(SKIP_2) | instid1(VALU_DEP_3)
	v_cmp_gt_i32_e64 s13, 16, v12
	v_lshrrev_b32_e32 v149, 24, v149
	v_min_i32_e32 v151, 15, v12
	v_cndmask_b32_e64 v150, 7, v150, s13
	s_delay_alu instid0(VALU_DEP_3) | instskip(NEXT) | instid1(VALU_DEP_3)
	v_and_b32_e32 v149, 0x80, v149
	v_lshlrev_b32_e32 v151, 3, v151
	s_delay_alu instid0(VALU_DEP_3) | instskip(SKIP_1) | instid1(VALU_DEP_2)
	v_and_b32_e32 v160, 7, v150
	v_or_b32_e32 v12, v12, v150
	v_or3_b32 v149, v151, v149, v160
	s_delay_alu instid0(VALU_DEP_2) | instskip(NEXT) | instid1(VALU_DEP_1)
	v_cmp_ne_u32_e64 s13, 0, v12
	v_cndmask_b32_e64 v12, 0, v149, s13
.LBB2_3125:                             ;   in Loop: Header=BB2_3046 Depth=3
	s_or_b32 exec_lo, exec_lo, s24
.LBB2_3126:                             ;   in Loop: Header=BB2_3046 Depth=3
	s_delay_alu instid0(SALU_CYCLE_1) | instskip(SKIP_3) | instid1(VALU_DEP_1)
	s_or_b32 exec_lo, exec_lo, s3
	v_lshrrev_b16 v150, 8, v13
	s_mov_b32 s3, 0
	s_mov_b32 s24, exec_lo
                                        ; implicit-def: $sgpr14
	v_cmpx_lt_i16_e64 0x7f, v150
	s_xor_b32 s24, exec_lo, s24
	s_cbranch_execnz .LBB2_3340
; %bb.3127:                             ;   in Loop: Header=BB2_3046 Depth=3
	s_or_saveexec_b32 s24, s24
	v_mov_b32_e32 v149, s14
	s_xor_b32 exec_lo, exec_lo, s24
	s_cbranch_execnz .LBB2_3343
.LBB2_3128:                             ;   in Loop: Header=BB2_3046 Depth=3
	s_or_b32 exec_lo, exec_lo, s24
	s_and_saveexec_b32 s14, s3
	s_cbranch_execz .LBB2_3130
.LBB2_3129:                             ;   in Loop: Header=BB2_3046 Depth=3
	v_and_b32_e32 v149, 0xffff, v150
	v_lshlrev_b32_e32 v150, 24, v150
	s_delay_alu instid0(VALU_DEP_2) | instskip(NEXT) | instid1(VALU_DEP_2)
	v_and_b32_e32 v151, 7, v149
	v_and_b32_e32 v150, 0x80000000, v150
	s_delay_alu instid0(VALU_DEP_2) | instskip(NEXT) | instid1(VALU_DEP_1)
	v_clz_i32_u32_e32 v160, v151
	v_min_u32_e32 v160, 32, v160
	s_delay_alu instid0(VALU_DEP_1) | instskip(SKIP_1) | instid1(VALU_DEP_2)
	v_subrev_nc_u32_e32 v161, 28, v160
	v_sub_nc_u32_e32 v160, 29, v160
	v_lshlrev_b32_e32 v161, v161, v149
	v_bfe_u32 v149, v149, 3, 4
	s_delay_alu instid0(VALU_DEP_2) | instskip(NEXT) | instid1(VALU_DEP_2)
	v_and_b32_e32 v161, 7, v161
	v_cmp_eq_u32_e64 s13, 0, v149
	s_delay_alu instid0(VALU_DEP_1) | instskip(NEXT) | instid1(VALU_DEP_3)
	v_cndmask_b32_e64 v149, v149, v160, s13
	v_cndmask_b32_e64 v151, v151, v161, s13
	s_delay_alu instid0(VALU_DEP_2) | instskip(NEXT) | instid1(VALU_DEP_2)
	v_lshl_add_u32 v149, v149, 23, 0x3b800000
	v_lshlrev_b32_e32 v151, 20, v151
	s_delay_alu instid0(VALU_DEP_1)
	v_or3_b32 v149, v150, v149, v151
.LBB2_3130:                             ;   in Loop: Header=BB2_3046 Depth=3
	s_or_b32 exec_lo, exec_lo, s14
	v_lshrrev_b16 v150, 8, v9
	s_mov_b32 s3, 0
	s_mov_b32 s24, exec_lo
                                        ; implicit-def: $sgpr14
	s_delay_alu instid0(VALU_DEP_1)
	v_cmpx_lt_i16_e64 0x7f, v150
	s_xor_b32 s24, exec_lo, s24
	s_cbranch_execnz .LBB2_3344
; %bb.3131:                             ;   in Loop: Header=BB2_3046 Depth=3
	s_or_saveexec_b32 s24, s24
	v_mov_b32_e32 v151, s14
	s_xor_b32 exec_lo, exec_lo, s24
	s_cbranch_execnz .LBB2_3347
.LBB2_3132:                             ;   in Loop: Header=BB2_3046 Depth=3
	s_or_b32 exec_lo, exec_lo, s24
	s_and_saveexec_b32 s14, s3
	s_cbranch_execz .LBB2_3134
.LBB2_3133:                             ;   in Loop: Header=BB2_3046 Depth=3
	v_and_b32_e32 v151, 0xffff, v150
	v_lshlrev_b32_e32 v150, 24, v150
	s_delay_alu instid0(VALU_DEP_2) | instskip(NEXT) | instid1(VALU_DEP_2)
	v_and_b32_e32 v160, 7, v151
	v_and_b32_e32 v150, 0x80000000, v150
	s_delay_alu instid0(VALU_DEP_2) | instskip(NEXT) | instid1(VALU_DEP_1)
	v_clz_i32_u32_e32 v161, v160
	v_min_u32_e32 v161, 32, v161
	s_delay_alu instid0(VALU_DEP_1) | instskip(SKIP_1) | instid1(VALU_DEP_2)
	v_subrev_nc_u32_e32 v162, 28, v161
	v_sub_nc_u32_e32 v161, 29, v161
	v_lshlrev_b32_e32 v162, v162, v151
	v_bfe_u32 v151, v151, 3, 4
	s_delay_alu instid0(VALU_DEP_2) | instskip(NEXT) | instid1(VALU_DEP_2)
	v_and_b32_e32 v162, 7, v162
	v_cmp_eq_u32_e64 s13, 0, v151
	s_delay_alu instid0(VALU_DEP_1) | instskip(NEXT) | instid1(VALU_DEP_3)
	v_cndmask_b32_e64 v151, v151, v161, s13
	v_cndmask_b32_e64 v160, v160, v162, s13
	s_delay_alu instid0(VALU_DEP_2) | instskip(NEXT) | instid1(VALU_DEP_2)
	v_lshl_add_u32 v151, v151, 23, 0x3b800000
	v_lshlrev_b32_e32 v160, 20, v160
	s_delay_alu instid0(VALU_DEP_1)
	v_or3_b32 v151, v150, v151, v160
.LBB2_3134:                             ;   in Loop: Header=BB2_3046 Depth=3
	s_or_b32 exec_lo, exec_lo, s14
	s_delay_alu instid0(VALU_DEP_1) | instskip(NEXT) | instid1(VALU_DEP_1)
	v_add_f32_e32 v150, v149, v151
	v_and_b32_e32 v149, 0x7f800000, v150
	s_delay_alu instid0(VALU_DEP_1) | instskip(SKIP_1) | instid1(VALU_DEP_2)
	v_cmp_ne_u32_e64 s13, 0x7f800000, v149
	v_mov_b32_e32 v149, 0x8000
	s_and_saveexec_b32 s3, s13
	s_cbranch_execz .LBB2_3142
; %bb.3135:                             ;   in Loop: Header=BB2_3046 Depth=3
	v_mov_b32_e32 v149, 0
	s_mov_b32 s24, exec_lo
	v_cmpx_ne_u32_e32 0, v150
	s_cbranch_execz .LBB2_3141
; %bb.3136:                             ;   in Loop: Header=BB2_3046 Depth=3
	v_bfe_u32 v149, v150, 23, 8
	v_and_b32_e32 v151, 0x7fffff, v150
	s_delay_alu instid0(VALU_DEP_2) | instskip(SKIP_1) | instid1(VALU_DEP_3)
	v_sub_nc_u32_e32 v160, 0x78, v149
	v_cmp_gt_u32_e64 s13, 0x79, v149
	v_or_b32_e32 v161, 0x800000, v151
	s_delay_alu instid0(VALU_DEP_2) | instskip(SKIP_2) | instid1(VALU_DEP_2)
	v_cndmask_b32_e64 v160, 0, v160, s13
	v_cmp_eq_u32_e64 s13, 0, v149
	v_add_nc_u32_e32 v149, 0xffffff89, v149
	v_cndmask_b32_e64 v160, v160, 0x77, s13
	v_cndmask_b32_e64 v151, v161, v151, s13
	s_delay_alu instid0(VALU_DEP_3) | instskip(NEXT) | instid1(VALU_DEP_3)
	v_cndmask_b32_e64 v149, v149, 0xffffff8a, s13
	v_lshl_add_u32 v161, 0x100000, v160, -1
	s_delay_alu instid0(VALU_DEP_3) | instskip(SKIP_1) | instid1(VALU_DEP_4)
	v_lshrrev_b32_e32 v162, v160, v151
	v_lshlrev_b32_e64 v164, v160, 0x80000
	v_add_nc_u32_e32 v160, v160, v149
	s_delay_alu instid0(VALU_DEP_4) | instskip(NEXT) | instid1(VALU_DEP_4)
	v_and_b32_e32 v151, v161, v151
	v_bfe_u32 v163, v162, 20, 1
	s_delay_alu instid0(VALU_DEP_2) | instskip(NEXT) | instid1(VALU_DEP_2)
	v_cmp_eq_u32_e64 s14, v151, v164
	v_add_nc_u32_e32 v161, -1, v163
	s_delay_alu instid0(VALU_DEP_1) | instskip(SKIP_2) | instid1(VALU_DEP_2)
	v_cndmask_b32_e64 v151, 0, v161, s14
	v_lshrrev_b32_e32 v161, 23, v162
	s_mov_b32 s14, exec_lo
	v_add_nc_u32_e32 v151, v151, v162
	s_delay_alu instid0(VALU_DEP_2) | instskip(NEXT) | instid1(VALU_DEP_2)
	v_xor_b32_e32 v161, 1, v161
	v_and_b32_e32 v149, 0xfffff, v151
	s_delay_alu instid0(VALU_DEP_1) | instskip(NEXT) | instid1(VALU_DEP_3)
	v_add_nc_u32_e32 v151, v149, v162
                                        ; implicit-def: $vgpr149
	v_cmpx_ne_u32_e64 v160, v161
	s_xor_b32 s14, exec_lo, s14
; %bb.3137:                             ;   in Loop: Header=BB2_3046 Depth=3
	s_delay_alu instid0(VALU_DEP_2) | instskip(SKIP_1) | instid1(VALU_DEP_2)
	v_cmp_lt_u32_e64 s13, 0xffffff, v151
	v_sub_nc_u32_e32 v149, v160, v161
	v_cndmask_b32_e64 v160, 0, 1, s13
	s_delay_alu instid0(VALU_DEP_2) | instskip(NEXT) | instid1(VALU_DEP_2)
	v_add_co_ci_u32_e64 v149, s13, 0, v149, s13
	v_lshrrev_b32_e32 v151, v160, v151
; %bb.3138:                             ;   in Loop: Header=BB2_3046 Depth=3
	s_and_not1_saveexec_b32 s13, s14
; %bb.3139:                             ;   in Loop: Header=BB2_3046 Depth=3
	s_delay_alu instid0(VALU_DEP_1)
	v_bfe_u32 v149, v151, 23, 1
; %bb.3140:                             ;   in Loop: Header=BB2_3046 Depth=3
	s_or_b32 exec_lo, exec_lo, s13
	v_lshrrev_b32_e32 v151, 20, v151
	s_delay_alu instid0(VALU_DEP_2) | instskip(SKIP_2) | instid1(VALU_DEP_3)
	v_min_i32_e32 v160, 15, v149
	v_cmp_gt_i32_e64 s13, 16, v149
	v_lshrrev_b32_e32 v150, 24, v150
	v_lshlrev_b32_e32 v160, 3, v160
	s_delay_alu instid0(VALU_DEP_3) | instskip(NEXT) | instid1(VALU_DEP_3)
	v_cndmask_b32_e64 v151, 7, v151, s13
	v_and_b32_e32 v150, 0x80, v150
	s_delay_alu instid0(VALU_DEP_3) | instskip(NEXT) | instid1(VALU_DEP_3)
	v_and_b32_e32 v160, 0xf8, v160
	v_and_b32_e32 v161, 7, v151
	v_or_b32_e32 v149, v149, v151
	s_delay_alu instid0(VALU_DEP_2) | instskip(NEXT) | instid1(VALU_DEP_2)
	v_or3_b32 v150, v150, v160, v161
	v_cmp_ne_u32_e64 s13, 0, v149
	s_delay_alu instid0(VALU_DEP_2) | instskip(NEXT) | instid1(VALU_DEP_1)
	v_lshlrev_b32_e32 v150, 8, v150
	v_cndmask_b32_e64 v149, 0, v150, s13
.LBB2_3141:                             ;   in Loop: Header=BB2_3046 Depth=3
	s_or_b32 exec_lo, exec_lo, s24
.LBB2_3142:                             ;   in Loop: Header=BB2_3046 Depth=3
	s_delay_alu instid0(SALU_CYCLE_1) | instskip(SKIP_3) | instid1(VALU_DEP_1)
	s_or_b32 exec_lo, exec_lo, s3
	v_lshrrev_b32_e32 v151, 16, v13
	s_mov_b32 s3, 0
	s_mov_b32 s24, exec_lo
                                        ; implicit-def: $sgpr14
	v_and_b32_e32 v160, 0xff, v151
	s_delay_alu instid0(VALU_DEP_1)
	v_cmpx_lt_i16_e64 0x7f, v160
	s_xor_b32 s24, exec_lo, s24
	s_cbranch_execnz .LBB2_3348
; %bb.3143:                             ;   in Loop: Header=BB2_3046 Depth=3
	s_or_saveexec_b32 s24, s24
	v_mov_b32_e32 v150, s14
	s_xor_b32 exec_lo, exec_lo, s24
	s_cbranch_execnz .LBB2_3351
.LBB2_3144:                             ;   in Loop: Header=BB2_3046 Depth=3
	s_or_b32 exec_lo, exec_lo, s24
	s_and_saveexec_b32 s14, s3
	s_cbranch_execz .LBB2_3146
.LBB2_3145:                             ;   in Loop: Header=BB2_3046 Depth=3
	v_bfe_u32 v150, v13, 16, 3
	v_lshlrev_b32_e32 v162, 8, v13
	s_delay_alu instid0(VALU_DEP_2) | instskip(NEXT) | instid1(VALU_DEP_1)
	v_clz_i32_u32_e32 v160, v150
	v_min_u32_e32 v160, 32, v160
	s_delay_alu instid0(VALU_DEP_1) | instskip(SKIP_1) | instid1(VALU_DEP_2)
	v_subrev_nc_u32_e32 v161, 28, v160
	v_sub_nc_u32_e32 v160, 29, v160
	v_lshlrev_b32_e32 v151, v161, v151
	v_bfe_u32 v161, v13, 19, 4
	s_delay_alu instid0(VALU_DEP_2) | instskip(NEXT) | instid1(VALU_DEP_2)
	v_and_b32_e32 v151, 7, v151
	v_cmp_eq_u32_e64 s13, 0, v161
	s_delay_alu instid0(VALU_DEP_1) | instskip(NEXT) | instid1(VALU_DEP_3)
	v_cndmask_b32_e64 v160, v161, v160, s13
	v_cndmask_b32_e64 v150, v150, v151, s13
	v_and_b32_e32 v151, 0x80000000, v162
	s_delay_alu instid0(VALU_DEP_3) | instskip(NEXT) | instid1(VALU_DEP_3)
	v_lshl_add_u32 v160, v160, 23, 0x3b800000
	v_lshlrev_b32_e32 v150, 20, v150
	s_delay_alu instid0(VALU_DEP_1)
	v_or3_b32 v150, v151, v160, v150
.LBB2_3146:                             ;   in Loop: Header=BB2_3046 Depth=3
	s_or_b32 exec_lo, exec_lo, s14
	v_lshrrev_b32_e32 v151, 16, v9
	s_mov_b32 s3, 0
	s_mov_b32 s24, exec_lo
                                        ; implicit-def: $sgpr14
	s_delay_alu instid0(VALU_DEP_1) | instskip(NEXT) | instid1(VALU_DEP_1)
	v_and_b32_e32 v161, 0xff, v151
	v_cmpx_lt_i16_e64 0x7f, v161
	s_xor_b32 s24, exec_lo, s24
	s_cbranch_execnz .LBB2_3352
; %bb.3147:                             ;   in Loop: Header=BB2_3046 Depth=3
	s_or_saveexec_b32 s24, s24
	v_mov_b32_e32 v160, s14
	s_xor_b32 exec_lo, exec_lo, s24
	s_cbranch_execnz .LBB2_3355
.LBB2_3148:                             ;   in Loop: Header=BB2_3046 Depth=3
	s_or_b32 exec_lo, exec_lo, s24
	s_and_saveexec_b32 s14, s3
	s_cbranch_execz .LBB2_3150
.LBB2_3149:                             ;   in Loop: Header=BB2_3046 Depth=3
	v_bfe_u32 v160, v9, 16, 3
	v_lshlrev_b32_e32 v163, 8, v9
	s_delay_alu instid0(VALU_DEP_2) | instskip(NEXT) | instid1(VALU_DEP_1)
	v_clz_i32_u32_e32 v161, v160
	v_min_u32_e32 v161, 32, v161
	s_delay_alu instid0(VALU_DEP_1) | instskip(SKIP_1) | instid1(VALU_DEP_2)
	v_subrev_nc_u32_e32 v162, 28, v161
	v_sub_nc_u32_e32 v161, 29, v161
	v_lshlrev_b32_e32 v151, v162, v151
	v_bfe_u32 v162, v9, 19, 4
	s_delay_alu instid0(VALU_DEP_2) | instskip(NEXT) | instid1(VALU_DEP_2)
	v_and_b32_e32 v151, 7, v151
	v_cmp_eq_u32_e64 s13, 0, v162
	s_delay_alu instid0(VALU_DEP_1) | instskip(NEXT) | instid1(VALU_DEP_3)
	v_cndmask_b32_e64 v161, v162, v161, s13
	v_cndmask_b32_e64 v151, v160, v151, s13
	v_and_b32_e32 v160, 0x80000000, v163
	s_delay_alu instid0(VALU_DEP_3) | instskip(NEXT) | instid1(VALU_DEP_3)
	v_lshl_add_u32 v161, v161, 23, 0x3b800000
	v_lshlrev_b32_e32 v151, 20, v151
	s_delay_alu instid0(VALU_DEP_1)
	v_or3_b32 v160, v160, v161, v151
.LBB2_3150:                             ;   in Loop: Header=BB2_3046 Depth=3
	s_or_b32 exec_lo, exec_lo, s14
	s_delay_alu instid0(VALU_DEP_1) | instskip(NEXT) | instid1(VALU_DEP_1)
	v_add_f32_e32 v151, v150, v160
	v_and_b32_e32 v150, 0x7f800000, v151
	s_delay_alu instid0(VALU_DEP_1) | instskip(SKIP_1) | instid1(VALU_DEP_2)
	v_cmp_ne_u32_e64 s13, 0x7f800000, v150
	v_mov_b32_e32 v150, 0x80
	s_and_saveexec_b32 s3, s13
	s_cbranch_execz .LBB2_3158
; %bb.3151:                             ;   in Loop: Header=BB2_3046 Depth=3
	v_mov_b32_e32 v150, 0
	s_mov_b32 s24, exec_lo
	v_cmpx_ne_u32_e32 0, v151
	s_cbranch_execz .LBB2_3157
; %bb.3152:                             ;   in Loop: Header=BB2_3046 Depth=3
	v_bfe_u32 v150, v151, 23, 8
	v_and_b32_e32 v160, 0x7fffff, v151
	s_delay_alu instid0(VALU_DEP_2) | instskip(SKIP_1) | instid1(VALU_DEP_3)
	v_sub_nc_u32_e32 v161, 0x78, v150
	v_cmp_gt_u32_e64 s13, 0x79, v150
	v_or_b32_e32 v162, 0x800000, v160
	s_delay_alu instid0(VALU_DEP_2) | instskip(SKIP_2) | instid1(VALU_DEP_2)
	v_cndmask_b32_e64 v161, 0, v161, s13
	v_cmp_eq_u32_e64 s13, 0, v150
	v_add_nc_u32_e32 v150, 0xffffff89, v150
	v_cndmask_b32_e64 v161, v161, 0x77, s13
	v_cndmask_b32_e64 v160, v162, v160, s13
	s_delay_alu instid0(VALU_DEP_3) | instskip(NEXT) | instid1(VALU_DEP_3)
	v_cndmask_b32_e64 v150, v150, 0xffffff8a, s13
	v_lshl_add_u32 v162, 0x100000, v161, -1
	s_delay_alu instid0(VALU_DEP_3) | instskip(SKIP_1) | instid1(VALU_DEP_4)
	v_lshrrev_b32_e32 v163, v161, v160
	v_lshlrev_b32_e64 v165, v161, 0x80000
	v_add_nc_u32_e32 v161, v161, v150
	s_delay_alu instid0(VALU_DEP_4) | instskip(NEXT) | instid1(VALU_DEP_4)
	v_and_b32_e32 v160, v162, v160
	v_bfe_u32 v164, v163, 20, 1
	s_delay_alu instid0(VALU_DEP_2) | instskip(NEXT) | instid1(VALU_DEP_2)
	v_cmp_eq_u32_e64 s14, v160, v165
	v_add_nc_u32_e32 v162, -1, v164
	s_delay_alu instid0(VALU_DEP_1) | instskip(SKIP_2) | instid1(VALU_DEP_2)
	v_cndmask_b32_e64 v160, 0, v162, s14
	v_lshrrev_b32_e32 v162, 23, v163
	s_mov_b32 s14, exec_lo
	v_add_nc_u32_e32 v160, v160, v163
	s_delay_alu instid0(VALU_DEP_2) | instskip(NEXT) | instid1(VALU_DEP_2)
	v_xor_b32_e32 v162, 1, v162
	v_and_b32_e32 v150, 0xfffff, v160
	s_delay_alu instid0(VALU_DEP_1) | instskip(NEXT) | instid1(VALU_DEP_3)
	v_add_nc_u32_e32 v160, v150, v163
                                        ; implicit-def: $vgpr150
	v_cmpx_ne_u32_e64 v161, v162
	s_xor_b32 s14, exec_lo, s14
; %bb.3153:                             ;   in Loop: Header=BB2_3046 Depth=3
	s_delay_alu instid0(VALU_DEP_2) | instskip(SKIP_1) | instid1(VALU_DEP_2)
	v_cmp_lt_u32_e64 s13, 0xffffff, v160
	v_sub_nc_u32_e32 v150, v161, v162
	v_cndmask_b32_e64 v161, 0, 1, s13
	s_delay_alu instid0(VALU_DEP_2) | instskip(NEXT) | instid1(VALU_DEP_2)
	v_add_co_ci_u32_e64 v150, s13, 0, v150, s13
	v_lshrrev_b32_e32 v160, v161, v160
; %bb.3154:                             ;   in Loop: Header=BB2_3046 Depth=3
	s_and_not1_saveexec_b32 s13, s14
; %bb.3155:                             ;   in Loop: Header=BB2_3046 Depth=3
	s_delay_alu instid0(VALU_DEP_1)
	v_bfe_u32 v150, v160, 23, 1
; %bb.3156:                             ;   in Loop: Header=BB2_3046 Depth=3
	s_or_b32 exec_lo, exec_lo, s13
	v_lshrrev_b32_e32 v160, 20, v160
	s_delay_alu instid0(VALU_DEP_2) | instskip(SKIP_2) | instid1(VALU_DEP_3)
	v_min_i32_e32 v161, 15, v150
	v_cmp_gt_i32_e64 s13, 16, v150
	v_lshrrev_b32_e32 v151, 24, v151
	v_lshlrev_b32_e32 v161, 3, v161
	s_delay_alu instid0(VALU_DEP_3) | instskip(NEXT) | instid1(VALU_DEP_3)
	v_cndmask_b32_e64 v160, 7, v160, s13
	v_and_b32_e32 v151, 0x80, v151
	s_delay_alu instid0(VALU_DEP_3) | instskip(NEXT) | instid1(VALU_DEP_3)
	v_and_b32_e32 v161, 0xf8, v161
	v_and_b32_e32 v162, 7, v160
	v_or_b32_e32 v150, v150, v160
	s_delay_alu instid0(VALU_DEP_2) | instskip(NEXT) | instid1(VALU_DEP_2)
	v_or3_b32 v151, v161, v151, v162
	v_cmp_ne_u32_e64 s13, 0, v150
	s_delay_alu instid0(VALU_DEP_1)
	v_cndmask_b32_e64 v150, 0, v151, s13
.LBB2_3157:                             ;   in Loop: Header=BB2_3046 Depth=3
	s_or_b32 exec_lo, exec_lo, s24
.LBB2_3158:                             ;   in Loop: Header=BB2_3046 Depth=3
	s_delay_alu instid0(SALU_CYCLE_1) | instskip(SKIP_3) | instid1(VALU_DEP_1)
	s_or_b32 exec_lo, exec_lo, s3
	v_lshrrev_b32_e32 v160, 24, v13
	s_mov_b32 s3, 0
	s_mov_b32 s24, exec_lo
                                        ; implicit-def: $sgpr14
	v_cmpx_lt_i16_e64 0x7f, v160
	s_xor_b32 s24, exec_lo, s24
	s_cbranch_execnz .LBB2_3356
; %bb.3159:                             ;   in Loop: Header=BB2_3046 Depth=3
	s_or_saveexec_b32 s24, s24
	v_mov_b32_e32 v151, s14
	s_xor_b32 exec_lo, exec_lo, s24
	s_cbranch_execnz .LBB2_3359
.LBB2_3160:                             ;   in Loop: Header=BB2_3046 Depth=3
	s_or_b32 exec_lo, exec_lo, s24
	s_and_saveexec_b32 s14, s3
	s_cbranch_execz .LBB2_3162
.LBB2_3161:                             ;   in Loop: Header=BB2_3046 Depth=3
	v_bfe_u32 v151, v13, 24, 3
	s_delay_alu instid0(VALU_DEP_1) | instskip(NEXT) | instid1(VALU_DEP_1)
	v_clz_i32_u32_e32 v161, v151
	v_min_u32_e32 v161, 32, v161
	s_delay_alu instid0(VALU_DEP_1) | instskip(SKIP_1) | instid1(VALU_DEP_2)
	v_subrev_nc_u32_e32 v162, 28, v161
	v_sub_nc_u32_e32 v161, 29, v161
	v_lshlrev_b32_e32 v160, v162, v160
	v_bfe_u32 v162, v13, 27, 4
	v_and_b32_e32 v13, 0x80000000, v13
	s_delay_alu instid0(VALU_DEP_3) | instskip(NEXT) | instid1(VALU_DEP_3)
	v_and_b32_e32 v160, 7, v160
	v_cmp_eq_u32_e64 s13, 0, v162
	s_delay_alu instid0(VALU_DEP_1) | instskip(NEXT) | instid1(VALU_DEP_3)
	v_cndmask_b32_e64 v161, v162, v161, s13
	v_cndmask_b32_e64 v151, v151, v160, s13
	s_delay_alu instid0(VALU_DEP_2) | instskip(NEXT) | instid1(VALU_DEP_2)
	v_lshl_add_u32 v160, v161, 23, 0x3b800000
	v_lshlrev_b32_e32 v151, 20, v151
	s_delay_alu instid0(VALU_DEP_1)
	v_or3_b32 v151, v13, v160, v151
.LBB2_3162:                             ;   in Loop: Header=BB2_3046 Depth=3
	s_or_b32 exec_lo, exec_lo, s14
	v_lshrrev_b32_e32 v13, 24, v9
	s_mov_b32 s3, 0
	s_mov_b32 s24, exec_lo
                                        ; implicit-def: $sgpr14
	s_delay_alu instid0(VALU_DEP_1)
	v_cmpx_lt_i16_e32 0x7f, v13
	s_xor_b32 s24, exec_lo, s24
	s_cbranch_execnz .LBB2_3360
; %bb.3163:                             ;   in Loop: Header=BB2_3046 Depth=3
	s_or_saveexec_b32 s24, s24
	v_mov_b32_e32 v160, s14
	s_xor_b32 exec_lo, exec_lo, s24
	s_cbranch_execnz .LBB2_3363
.LBB2_3164:                             ;   in Loop: Header=BB2_3046 Depth=3
	s_or_b32 exec_lo, exec_lo, s24
	s_and_saveexec_b32 s14, s3
	s_cbranch_execz .LBB2_3166
.LBB2_3165:                             ;   in Loop: Header=BB2_3046 Depth=3
	v_bfe_u32 v160, v9, 24, 3
	s_delay_alu instid0(VALU_DEP_1) | instskip(NEXT) | instid1(VALU_DEP_1)
	v_clz_i32_u32_e32 v161, v160
	v_min_u32_e32 v161, 32, v161
	s_delay_alu instid0(VALU_DEP_1) | instskip(SKIP_1) | instid1(VALU_DEP_2)
	v_subrev_nc_u32_e32 v162, 28, v161
	v_sub_nc_u32_e32 v161, 29, v161
	v_lshlrev_b32_e32 v13, v162, v13
	v_bfe_u32 v162, v9, 27, 4
	v_and_b32_e32 v9, 0x80000000, v9
	s_delay_alu instid0(VALU_DEP_3) | instskip(NEXT) | instid1(VALU_DEP_3)
	v_and_b32_e32 v13, 7, v13
	v_cmp_eq_u32_e64 s13, 0, v162
	s_delay_alu instid0(VALU_DEP_1) | instskip(NEXT) | instid1(VALU_DEP_3)
	v_cndmask_b32_e64 v161, v162, v161, s13
	v_cndmask_b32_e64 v13, v160, v13, s13
	s_delay_alu instid0(VALU_DEP_2) | instskip(NEXT) | instid1(VALU_DEP_2)
	v_lshl_add_u32 v160, v161, 23, 0x3b800000
	v_lshlrev_b32_e32 v13, 20, v13
	s_delay_alu instid0(VALU_DEP_1)
	v_or3_b32 v160, v9, v160, v13
.LBB2_3166:                             ;   in Loop: Header=BB2_3046 Depth=3
	s_or_b32 exec_lo, exec_lo, s14
	s_delay_alu instid0(VALU_DEP_1) | instskip(NEXT) | instid1(VALU_DEP_1)
	v_add_f32_e32 v13, v151, v160
	v_and_b32_e32 v9, 0x7f800000, v13
	s_delay_alu instid0(VALU_DEP_1) | instskip(SKIP_1) | instid1(VALU_DEP_2)
	v_cmp_ne_u32_e64 s13, 0x7f800000, v9
	v_mov_b32_e32 v9, 0x8000
	s_and_saveexec_b32 s3, s13
	s_cbranch_execz .LBB2_3174
; %bb.3167:                             ;   in Loop: Header=BB2_3046 Depth=3
	v_mov_b32_e32 v9, 0
	s_mov_b32 s24, exec_lo
	v_cmpx_ne_u32_e32 0, v13
	s_cbranch_execz .LBB2_3173
; %bb.3168:                             ;   in Loop: Header=BB2_3046 Depth=3
	v_bfe_u32 v9, v13, 23, 8
	v_and_b32_e32 v151, 0x7fffff, v13
	s_delay_alu instid0(VALU_DEP_2) | instskip(SKIP_1) | instid1(VALU_DEP_3)
	v_sub_nc_u32_e32 v160, 0x78, v9
	v_cmp_gt_u32_e64 s13, 0x79, v9
	v_or_b32_e32 v161, 0x800000, v151
	s_delay_alu instid0(VALU_DEP_2) | instskip(SKIP_2) | instid1(VALU_DEP_2)
	v_cndmask_b32_e64 v160, 0, v160, s13
	v_cmp_eq_u32_e64 s13, 0, v9
	v_add_nc_u32_e32 v9, 0xffffff89, v9
	v_cndmask_b32_e64 v160, v160, 0x77, s13
	v_cndmask_b32_e64 v151, v161, v151, s13
	s_delay_alu instid0(VALU_DEP_3) | instskip(NEXT) | instid1(VALU_DEP_3)
	v_cndmask_b32_e64 v9, v9, 0xffffff8a, s13
	v_lshl_add_u32 v161, 0x100000, v160, -1
	s_delay_alu instid0(VALU_DEP_3) | instskip(SKIP_1) | instid1(VALU_DEP_4)
	v_lshrrev_b32_e32 v162, v160, v151
	v_lshlrev_b32_e64 v164, v160, 0x80000
	v_add_nc_u32_e32 v160, v160, v9
	s_delay_alu instid0(VALU_DEP_4) | instskip(NEXT) | instid1(VALU_DEP_4)
	v_and_b32_e32 v151, v161, v151
	v_bfe_u32 v163, v162, 20, 1
	s_delay_alu instid0(VALU_DEP_2) | instskip(NEXT) | instid1(VALU_DEP_2)
	v_cmp_eq_u32_e64 s14, v151, v164
	v_add_nc_u32_e32 v161, -1, v163
	s_delay_alu instid0(VALU_DEP_1) | instskip(SKIP_2) | instid1(VALU_DEP_2)
	v_cndmask_b32_e64 v151, 0, v161, s14
	v_lshrrev_b32_e32 v161, 23, v162
	s_mov_b32 s14, exec_lo
	v_add_nc_u32_e32 v151, v151, v162
	s_delay_alu instid0(VALU_DEP_2) | instskip(NEXT) | instid1(VALU_DEP_2)
	v_xor_b32_e32 v161, 1, v161
	v_and_b32_e32 v9, 0xfffff, v151
	s_delay_alu instid0(VALU_DEP_1) | instskip(NEXT) | instid1(VALU_DEP_3)
	v_add_nc_u32_e32 v151, v9, v162
                                        ; implicit-def: $vgpr9
	v_cmpx_ne_u32_e64 v160, v161
	s_xor_b32 s14, exec_lo, s14
; %bb.3169:                             ;   in Loop: Header=BB2_3046 Depth=3
	s_delay_alu instid0(VALU_DEP_2) | instskip(SKIP_1) | instid1(VALU_DEP_2)
	v_cmp_lt_u32_e64 s13, 0xffffff, v151
	v_sub_nc_u32_e32 v9, v160, v161
	v_cndmask_b32_e64 v160, 0, 1, s13
	s_delay_alu instid0(VALU_DEP_2) | instskip(NEXT) | instid1(VALU_DEP_2)
	v_add_co_ci_u32_e64 v9, s13, 0, v9, s13
	v_lshrrev_b32_e32 v151, v160, v151
; %bb.3170:                             ;   in Loop: Header=BB2_3046 Depth=3
	s_and_not1_saveexec_b32 s13, s14
; %bb.3171:                             ;   in Loop: Header=BB2_3046 Depth=3
	s_delay_alu instid0(VALU_DEP_1)
	v_bfe_u32 v9, v151, 23, 1
; %bb.3172:                             ;   in Loop: Header=BB2_3046 Depth=3
	s_or_b32 exec_lo, exec_lo, s13
	v_lshrrev_b32_e32 v151, 20, v151
	s_delay_alu instid0(VALU_DEP_2) | instskip(SKIP_2) | instid1(VALU_DEP_3)
	v_min_i32_e32 v160, 15, v9
	v_cmp_gt_i32_e64 s13, 16, v9
	v_lshrrev_b32_e32 v13, 24, v13
	v_lshlrev_b32_e32 v160, 3, v160
	s_delay_alu instid0(VALU_DEP_3) | instskip(NEXT) | instid1(VALU_DEP_3)
	v_cndmask_b32_e64 v151, 7, v151, s13
	v_and_b32_e32 v13, 0x80, v13
	s_delay_alu instid0(VALU_DEP_3) | instskip(NEXT) | instid1(VALU_DEP_3)
	v_and_b32_e32 v160, 0xf8, v160
	v_and_b32_e32 v161, 7, v151
	v_or_b32_e32 v9, v9, v151
	s_delay_alu instid0(VALU_DEP_2) | instskip(NEXT) | instid1(VALU_DEP_2)
	v_or3_b32 v13, v13, v160, v161
	v_cmp_ne_u32_e64 s13, 0, v9
	s_delay_alu instid0(VALU_DEP_2) | instskip(NEXT) | instid1(VALU_DEP_1)
	v_lshlrev_b32_e32 v13, 8, v13
	v_cndmask_b32_e64 v9, 0, v13, s13
.LBB2_3173:                             ;   in Loop: Header=BB2_3046 Depth=3
	s_or_b32 exec_lo, exec_lo, s24
.LBB2_3174:                             ;   in Loop: Header=BB2_3046 Depth=3
	s_delay_alu instid0(SALU_CYCLE_1) | instskip(SKIP_3) | instid1(VALU_DEP_1)
	s_or_b32 exec_lo, exec_lo, s3
	v_and_b32_e32 v151, 0xff, v14
	s_mov_b32 s3, 0
	s_mov_b32 s24, exec_lo
                                        ; implicit-def: $sgpr14
	v_cmpx_lt_i16_e64 0x7f, v151
	s_xor_b32 s24, exec_lo, s24
	s_cbranch_execnz .LBB2_3364
; %bb.3175:                             ;   in Loop: Header=BB2_3046 Depth=3
	s_or_saveexec_b32 s24, s24
	v_mov_b32_e32 v13, s14
	s_xor_b32 exec_lo, exec_lo, s24
	s_cbranch_execnz .LBB2_3367
.LBB2_3176:                             ;   in Loop: Header=BB2_3046 Depth=3
	s_or_b32 exec_lo, exec_lo, s24
	s_and_saveexec_b32 s14, s3
	s_cbranch_execz .LBB2_3178
.LBB2_3177:                             ;   in Loop: Header=BB2_3046 Depth=3
	v_and_b32_e32 v13, 7, v14
	v_bfe_u32 v161, v14, 3, 4
	v_lshlrev_b32_e32 v162, 24, v14
	s_delay_alu instid0(VALU_DEP_3) | instskip(NEXT) | instid1(VALU_DEP_3)
	v_clz_i32_u32_e32 v151, v13
	v_cmp_eq_u32_e64 s13, 0, v161
	s_delay_alu instid0(VALU_DEP_2) | instskip(NEXT) | instid1(VALU_DEP_1)
	v_min_u32_e32 v151, 32, v151
	v_subrev_nc_u32_e32 v160, 28, v151
	v_sub_nc_u32_e32 v151, 29, v151
	s_delay_alu instid0(VALU_DEP_2) | instskip(NEXT) | instid1(VALU_DEP_2)
	v_lshlrev_b32_e32 v160, v160, v14
	v_cndmask_b32_e64 v151, v161, v151, s13
	s_delay_alu instid0(VALU_DEP_2) | instskip(NEXT) | instid1(VALU_DEP_2)
	v_and_b32_e32 v160, 7, v160
	v_lshl_add_u32 v151, v151, 23, 0x3b800000
	s_delay_alu instid0(VALU_DEP_2) | instskip(SKIP_1) | instid1(VALU_DEP_2)
	v_cndmask_b32_e64 v13, v13, v160, s13
	v_and_b32_e32 v160, 0x80000000, v162
	v_lshlrev_b32_e32 v13, 20, v13
	s_delay_alu instid0(VALU_DEP_1)
	v_or3_b32 v13, v160, v151, v13
.LBB2_3178:                             ;   in Loop: Header=BB2_3046 Depth=3
	s_or_b32 exec_lo, exec_lo, s14
	v_and_b32_e32 v160, 0xff, v10
	s_mov_b32 s3, 0
	s_mov_b32 s24, exec_lo
                                        ; implicit-def: $sgpr14
	s_delay_alu instid0(VALU_DEP_1)
	v_cmpx_lt_i16_e64 0x7f, v160
	s_xor_b32 s24, exec_lo, s24
	s_cbranch_execnz .LBB2_3368
; %bb.3179:                             ;   in Loop: Header=BB2_3046 Depth=3
	s_or_saveexec_b32 s24, s24
	v_mov_b32_e32 v151, s14
	s_xor_b32 exec_lo, exec_lo, s24
	s_cbranch_execnz .LBB2_3371
.LBB2_3180:                             ;   in Loop: Header=BB2_3046 Depth=3
	s_or_b32 exec_lo, exec_lo, s24
	s_and_saveexec_b32 s14, s3
	s_cbranch_execz .LBB2_3182
.LBB2_3181:                             ;   in Loop: Header=BB2_3046 Depth=3
	v_and_b32_e32 v151, 7, v10
	v_bfe_u32 v162, v10, 3, 4
	v_lshlrev_b32_e32 v163, 24, v10
	s_delay_alu instid0(VALU_DEP_3) | instskip(NEXT) | instid1(VALU_DEP_3)
	v_clz_i32_u32_e32 v160, v151
	v_cmp_eq_u32_e64 s13, 0, v162
	s_delay_alu instid0(VALU_DEP_2) | instskip(NEXT) | instid1(VALU_DEP_1)
	v_min_u32_e32 v160, 32, v160
	v_subrev_nc_u32_e32 v161, 28, v160
	v_sub_nc_u32_e32 v160, 29, v160
	s_delay_alu instid0(VALU_DEP_2) | instskip(NEXT) | instid1(VALU_DEP_2)
	v_lshlrev_b32_e32 v161, v161, v10
	v_cndmask_b32_e64 v160, v162, v160, s13
	s_delay_alu instid0(VALU_DEP_2) | instskip(NEXT) | instid1(VALU_DEP_2)
	v_and_b32_e32 v161, 7, v161
	v_lshl_add_u32 v160, v160, 23, 0x3b800000
	s_delay_alu instid0(VALU_DEP_2) | instskip(SKIP_1) | instid1(VALU_DEP_2)
	v_cndmask_b32_e64 v151, v151, v161, s13
	v_and_b32_e32 v161, 0x80000000, v163
	v_lshlrev_b32_e32 v151, 20, v151
	s_delay_alu instid0(VALU_DEP_1)
	v_or3_b32 v151, v161, v160, v151
.LBB2_3182:                             ;   in Loop: Header=BB2_3046 Depth=3
	s_or_b32 exec_lo, exec_lo, s14
	s_delay_alu instid0(VALU_DEP_1) | instskip(NEXT) | instid1(VALU_DEP_1)
	v_add_f32_e32 v151, v13, v151
	v_and_b32_e32 v13, 0x7f800000, v151
	s_delay_alu instid0(VALU_DEP_1) | instskip(SKIP_1) | instid1(VALU_DEP_2)
	v_cmp_ne_u32_e64 s13, 0x7f800000, v13
	v_mov_b32_e32 v13, 0x80
	s_and_saveexec_b32 s3, s13
	s_cbranch_execz .LBB2_3190
; %bb.3183:                             ;   in Loop: Header=BB2_3046 Depth=3
	v_mov_b32_e32 v13, 0
	s_mov_b32 s24, exec_lo
	v_cmpx_ne_u32_e32 0, v151
	s_cbranch_execz .LBB2_3189
; %bb.3184:                             ;   in Loop: Header=BB2_3046 Depth=3
	v_bfe_u32 v13, v151, 23, 8
	v_and_b32_e32 v160, 0x7fffff, v151
	s_delay_alu instid0(VALU_DEP_2) | instskip(SKIP_1) | instid1(VALU_DEP_3)
	v_sub_nc_u32_e32 v161, 0x78, v13
	v_cmp_gt_u32_e64 s13, 0x79, v13
	v_or_b32_e32 v162, 0x800000, v160
	s_delay_alu instid0(VALU_DEP_2) | instskip(SKIP_2) | instid1(VALU_DEP_2)
	v_cndmask_b32_e64 v161, 0, v161, s13
	v_cmp_eq_u32_e64 s13, 0, v13
	v_add_nc_u32_e32 v13, 0xffffff89, v13
	v_cndmask_b32_e64 v161, v161, 0x77, s13
	v_cndmask_b32_e64 v160, v162, v160, s13
	s_delay_alu instid0(VALU_DEP_3) | instskip(NEXT) | instid1(VALU_DEP_3)
	v_cndmask_b32_e64 v13, v13, 0xffffff8a, s13
	v_lshl_add_u32 v162, 0x100000, v161, -1
	s_delay_alu instid0(VALU_DEP_3) | instskip(SKIP_1) | instid1(VALU_DEP_4)
	v_lshrrev_b32_e32 v163, v161, v160
	v_lshlrev_b32_e64 v165, v161, 0x80000
	v_add_nc_u32_e32 v161, v161, v13
	s_delay_alu instid0(VALU_DEP_4) | instskip(NEXT) | instid1(VALU_DEP_4)
	v_and_b32_e32 v160, v162, v160
	v_bfe_u32 v164, v163, 20, 1
	s_delay_alu instid0(VALU_DEP_2) | instskip(NEXT) | instid1(VALU_DEP_2)
	v_cmp_eq_u32_e64 s14, v160, v165
	v_add_nc_u32_e32 v162, -1, v164
	s_delay_alu instid0(VALU_DEP_1) | instskip(SKIP_2) | instid1(VALU_DEP_2)
	v_cndmask_b32_e64 v160, 0, v162, s14
	v_lshrrev_b32_e32 v162, 23, v163
	s_mov_b32 s14, exec_lo
	v_add_nc_u32_e32 v160, v160, v163
	s_delay_alu instid0(VALU_DEP_2) | instskip(NEXT) | instid1(VALU_DEP_2)
	v_xor_b32_e32 v162, 1, v162
	v_and_b32_e32 v13, 0xfffff, v160
	s_delay_alu instid0(VALU_DEP_1) | instskip(NEXT) | instid1(VALU_DEP_3)
	v_add_nc_u32_e32 v160, v13, v163
                                        ; implicit-def: $vgpr13
	v_cmpx_ne_u32_e64 v161, v162
	s_xor_b32 s14, exec_lo, s14
; %bb.3185:                             ;   in Loop: Header=BB2_3046 Depth=3
	s_delay_alu instid0(VALU_DEP_2) | instskip(SKIP_1) | instid1(VALU_DEP_2)
	v_cmp_lt_u32_e64 s13, 0xffffff, v160
	v_sub_nc_u32_e32 v13, v161, v162
	v_cndmask_b32_e64 v161, 0, 1, s13
	s_delay_alu instid0(VALU_DEP_2) | instskip(NEXT) | instid1(VALU_DEP_2)
	v_add_co_ci_u32_e64 v13, s13, 0, v13, s13
	v_lshrrev_b32_e32 v160, v161, v160
; %bb.3186:                             ;   in Loop: Header=BB2_3046 Depth=3
	s_and_not1_saveexec_b32 s13, s14
; %bb.3187:                             ;   in Loop: Header=BB2_3046 Depth=3
	s_delay_alu instid0(VALU_DEP_1)
	v_bfe_u32 v13, v160, 23, 1
; %bb.3188:                             ;   in Loop: Header=BB2_3046 Depth=3
	s_or_b32 exec_lo, exec_lo, s13
	v_lshrrev_b32_e32 v160, 20, v160
	s_delay_alu instid0(VALU_DEP_2) | instskip(SKIP_2) | instid1(VALU_DEP_3)
	v_cmp_gt_i32_e64 s13, 16, v13
	v_lshrrev_b32_e32 v151, 24, v151
	v_min_i32_e32 v161, 15, v13
	v_cndmask_b32_e64 v160, 7, v160, s13
	s_delay_alu instid0(VALU_DEP_3) | instskip(NEXT) | instid1(VALU_DEP_3)
	v_and_b32_e32 v151, 0x80, v151
	v_lshlrev_b32_e32 v161, 3, v161
	s_delay_alu instid0(VALU_DEP_3) | instskip(SKIP_1) | instid1(VALU_DEP_2)
	v_and_b32_e32 v162, 7, v160
	v_or_b32_e32 v13, v13, v160
	v_or3_b32 v151, v161, v151, v162
	s_delay_alu instid0(VALU_DEP_2) | instskip(NEXT) | instid1(VALU_DEP_1)
	v_cmp_ne_u32_e64 s13, 0, v13
	v_cndmask_b32_e64 v13, 0, v151, s13
.LBB2_3189:                             ;   in Loop: Header=BB2_3046 Depth=3
	s_or_b32 exec_lo, exec_lo, s24
.LBB2_3190:                             ;   in Loop: Header=BB2_3046 Depth=3
	s_delay_alu instid0(SALU_CYCLE_1) | instskip(SKIP_3) | instid1(VALU_DEP_1)
	s_or_b32 exec_lo, exec_lo, s3
	v_lshrrev_b16 v160, 8, v14
	s_mov_b32 s3, 0
	s_mov_b32 s24, exec_lo
                                        ; implicit-def: $sgpr14
	v_cmpx_lt_i16_e64 0x7f, v160
	s_xor_b32 s24, exec_lo, s24
	s_cbranch_execnz .LBB2_3372
; %bb.3191:                             ;   in Loop: Header=BB2_3046 Depth=3
	s_or_saveexec_b32 s24, s24
	v_mov_b32_e32 v151, s14
	s_xor_b32 exec_lo, exec_lo, s24
	s_cbranch_execnz .LBB2_3375
.LBB2_3192:                             ;   in Loop: Header=BB2_3046 Depth=3
	s_or_b32 exec_lo, exec_lo, s24
	s_and_saveexec_b32 s14, s3
	s_cbranch_execz .LBB2_3194
.LBB2_3193:                             ;   in Loop: Header=BB2_3046 Depth=3
	v_and_b32_e32 v151, 0xffff, v160
	v_lshlrev_b32_e32 v160, 24, v160
	s_delay_alu instid0(VALU_DEP_2) | instskip(NEXT) | instid1(VALU_DEP_2)
	v_and_b32_e32 v161, 7, v151
	v_and_b32_e32 v160, 0x80000000, v160
	s_delay_alu instid0(VALU_DEP_2) | instskip(NEXT) | instid1(VALU_DEP_1)
	v_clz_i32_u32_e32 v162, v161
	v_min_u32_e32 v162, 32, v162
	s_delay_alu instid0(VALU_DEP_1) | instskip(SKIP_1) | instid1(VALU_DEP_2)
	v_subrev_nc_u32_e32 v163, 28, v162
	v_sub_nc_u32_e32 v162, 29, v162
	v_lshlrev_b32_e32 v163, v163, v151
	v_bfe_u32 v151, v151, 3, 4
	s_delay_alu instid0(VALU_DEP_2) | instskip(NEXT) | instid1(VALU_DEP_2)
	v_and_b32_e32 v163, 7, v163
	v_cmp_eq_u32_e64 s13, 0, v151
	s_delay_alu instid0(VALU_DEP_1) | instskip(NEXT) | instid1(VALU_DEP_3)
	v_cndmask_b32_e64 v151, v151, v162, s13
	v_cndmask_b32_e64 v161, v161, v163, s13
	s_delay_alu instid0(VALU_DEP_2) | instskip(NEXT) | instid1(VALU_DEP_2)
	v_lshl_add_u32 v151, v151, 23, 0x3b800000
	v_lshlrev_b32_e32 v161, 20, v161
	s_delay_alu instid0(VALU_DEP_1)
	v_or3_b32 v151, v160, v151, v161
.LBB2_3194:                             ;   in Loop: Header=BB2_3046 Depth=3
	s_or_b32 exec_lo, exec_lo, s14
	v_lshrrev_b16 v160, 8, v10
	s_mov_b32 s3, 0
	s_mov_b32 s24, exec_lo
                                        ; implicit-def: $sgpr14
	s_delay_alu instid0(VALU_DEP_1)
	v_cmpx_lt_i16_e64 0x7f, v160
	s_xor_b32 s24, exec_lo, s24
	s_cbranch_execnz .LBB2_3376
; %bb.3195:                             ;   in Loop: Header=BB2_3046 Depth=3
	s_or_saveexec_b32 s24, s24
	v_mov_b32_e32 v161, s14
	s_xor_b32 exec_lo, exec_lo, s24
	s_cbranch_execnz .LBB2_3379
.LBB2_3196:                             ;   in Loop: Header=BB2_3046 Depth=3
	s_or_b32 exec_lo, exec_lo, s24
	s_and_saveexec_b32 s14, s3
	s_cbranch_execz .LBB2_3198
.LBB2_3197:                             ;   in Loop: Header=BB2_3046 Depth=3
	v_and_b32_e32 v161, 0xffff, v160
	v_lshlrev_b32_e32 v160, 24, v160
	s_delay_alu instid0(VALU_DEP_2) | instskip(NEXT) | instid1(VALU_DEP_2)
	v_and_b32_e32 v162, 7, v161
	v_and_b32_e32 v160, 0x80000000, v160
	s_delay_alu instid0(VALU_DEP_2) | instskip(NEXT) | instid1(VALU_DEP_1)
	v_clz_i32_u32_e32 v163, v162
	v_min_u32_e32 v163, 32, v163
	s_delay_alu instid0(VALU_DEP_1) | instskip(SKIP_1) | instid1(VALU_DEP_2)
	v_subrev_nc_u32_e32 v164, 28, v163
	v_sub_nc_u32_e32 v163, 29, v163
	v_lshlrev_b32_e32 v164, v164, v161
	v_bfe_u32 v161, v161, 3, 4
	s_delay_alu instid0(VALU_DEP_2) | instskip(NEXT) | instid1(VALU_DEP_2)
	v_and_b32_e32 v164, 7, v164
	v_cmp_eq_u32_e64 s13, 0, v161
	s_delay_alu instid0(VALU_DEP_1) | instskip(NEXT) | instid1(VALU_DEP_3)
	v_cndmask_b32_e64 v161, v161, v163, s13
	v_cndmask_b32_e64 v162, v162, v164, s13
	s_delay_alu instid0(VALU_DEP_2) | instskip(NEXT) | instid1(VALU_DEP_2)
	v_lshl_add_u32 v161, v161, 23, 0x3b800000
	v_lshlrev_b32_e32 v162, 20, v162
	s_delay_alu instid0(VALU_DEP_1)
	v_or3_b32 v161, v160, v161, v162
.LBB2_3198:                             ;   in Loop: Header=BB2_3046 Depth=3
	s_or_b32 exec_lo, exec_lo, s14
	s_delay_alu instid0(VALU_DEP_1) | instskip(NEXT) | instid1(VALU_DEP_1)
	v_add_f32_e32 v160, v151, v161
	v_and_b32_e32 v151, 0x7f800000, v160
	s_delay_alu instid0(VALU_DEP_1) | instskip(SKIP_1) | instid1(VALU_DEP_2)
	v_cmp_ne_u32_e64 s13, 0x7f800000, v151
	v_mov_b32_e32 v151, 0x80
	s_and_saveexec_b32 s3, s13
	s_cbranch_execz .LBB2_3206
; %bb.3199:                             ;   in Loop: Header=BB2_3046 Depth=3
	v_mov_b32_e32 v151, 0
	s_mov_b32 s24, exec_lo
	v_cmpx_ne_u32_e32 0, v160
	s_cbranch_execz .LBB2_3205
; %bb.3200:                             ;   in Loop: Header=BB2_3046 Depth=3
	v_bfe_u32 v151, v160, 23, 8
	v_and_b32_e32 v161, 0x7fffff, v160
	s_delay_alu instid0(VALU_DEP_2) | instskip(SKIP_1) | instid1(VALU_DEP_3)
	v_sub_nc_u32_e32 v162, 0x78, v151
	v_cmp_gt_u32_e64 s13, 0x79, v151
	v_or_b32_e32 v163, 0x800000, v161
	s_delay_alu instid0(VALU_DEP_2) | instskip(SKIP_2) | instid1(VALU_DEP_2)
	v_cndmask_b32_e64 v162, 0, v162, s13
	v_cmp_eq_u32_e64 s13, 0, v151
	v_add_nc_u32_e32 v151, 0xffffff89, v151
	v_cndmask_b32_e64 v162, v162, 0x77, s13
	v_cndmask_b32_e64 v161, v163, v161, s13
	s_delay_alu instid0(VALU_DEP_3) | instskip(NEXT) | instid1(VALU_DEP_3)
	v_cndmask_b32_e64 v151, v151, 0xffffff8a, s13
	v_lshl_add_u32 v163, 0x100000, v162, -1
	s_delay_alu instid0(VALU_DEP_3) | instskip(SKIP_1) | instid1(VALU_DEP_4)
	v_lshrrev_b32_e32 v164, v162, v161
	v_lshlrev_b32_e64 v166, v162, 0x80000
	v_add_nc_u32_e32 v162, v162, v151
	s_delay_alu instid0(VALU_DEP_4) | instskip(NEXT) | instid1(VALU_DEP_4)
	v_and_b32_e32 v161, v163, v161
	v_bfe_u32 v165, v164, 20, 1
	s_delay_alu instid0(VALU_DEP_2) | instskip(NEXT) | instid1(VALU_DEP_2)
	v_cmp_eq_u32_e64 s14, v161, v166
	v_add_nc_u32_e32 v163, -1, v165
	s_delay_alu instid0(VALU_DEP_1) | instskip(SKIP_2) | instid1(VALU_DEP_2)
	v_cndmask_b32_e64 v161, 0, v163, s14
	v_lshrrev_b32_e32 v163, 23, v164
	s_mov_b32 s14, exec_lo
	v_add_nc_u32_e32 v161, v161, v164
	s_delay_alu instid0(VALU_DEP_2) | instskip(NEXT) | instid1(VALU_DEP_2)
	v_xor_b32_e32 v163, 1, v163
	v_and_b32_e32 v151, 0xfffff, v161
	s_delay_alu instid0(VALU_DEP_1) | instskip(NEXT) | instid1(VALU_DEP_3)
	v_add_nc_u32_e32 v161, v151, v164
                                        ; implicit-def: $vgpr151
	v_cmpx_ne_u32_e64 v162, v163
	s_xor_b32 s14, exec_lo, s14
; %bb.3201:                             ;   in Loop: Header=BB2_3046 Depth=3
	s_delay_alu instid0(VALU_DEP_2) | instskip(SKIP_1) | instid1(VALU_DEP_2)
	v_cmp_lt_u32_e64 s13, 0xffffff, v161
	v_sub_nc_u32_e32 v151, v162, v163
	v_cndmask_b32_e64 v162, 0, 1, s13
	s_delay_alu instid0(VALU_DEP_2) | instskip(NEXT) | instid1(VALU_DEP_2)
	v_add_co_ci_u32_e64 v151, s13, 0, v151, s13
	v_lshrrev_b32_e32 v161, v162, v161
; %bb.3202:                             ;   in Loop: Header=BB2_3046 Depth=3
	s_and_not1_saveexec_b32 s13, s14
; %bb.3203:                             ;   in Loop: Header=BB2_3046 Depth=3
	s_delay_alu instid0(VALU_DEP_1)
	v_bfe_u32 v151, v161, 23, 1
; %bb.3204:                             ;   in Loop: Header=BB2_3046 Depth=3
	s_or_b32 exec_lo, exec_lo, s13
	v_lshrrev_b32_e32 v161, 20, v161
	s_delay_alu instid0(VALU_DEP_2) | instskip(SKIP_2) | instid1(VALU_DEP_3)
	v_cmp_gt_i32_e64 s13, 16, v151
	v_lshrrev_b32_e32 v160, 24, v160
	v_min_i32_e32 v162, 15, v151
	v_cndmask_b32_e64 v161, 7, v161, s13
	s_delay_alu instid0(VALU_DEP_3) | instskip(NEXT) | instid1(VALU_DEP_3)
	v_and_b32_e32 v160, 0x80, v160
	v_lshlrev_b32_e32 v162, 3, v162
	s_delay_alu instid0(VALU_DEP_3) | instskip(SKIP_1) | instid1(VALU_DEP_2)
	v_and_b32_e32 v163, 7, v161
	v_or_b32_e32 v151, v151, v161
	v_or3_b32 v160, v162, v160, v163
	s_delay_alu instid0(VALU_DEP_2) | instskip(NEXT) | instid1(VALU_DEP_1)
	v_cmp_ne_u32_e64 s13, 0, v151
	v_cndmask_b32_e64 v151, 0, v160, s13
.LBB2_3205:                             ;   in Loop: Header=BB2_3046 Depth=3
	s_or_b32 exec_lo, exec_lo, s24
.LBB2_3206:                             ;   in Loop: Header=BB2_3046 Depth=3
	s_delay_alu instid0(SALU_CYCLE_1) | instskip(SKIP_3) | instid1(VALU_DEP_1)
	s_or_b32 exec_lo, exec_lo, s3
	v_lshrrev_b32_e32 v161, 16, v14
	s_mov_b32 s3, 0
	s_mov_b32 s24, exec_lo
                                        ; implicit-def: $sgpr14
	v_and_b32_e32 v162, 0xff, v161
	s_delay_alu instid0(VALU_DEP_1)
	v_cmpx_lt_i16_e64 0x7f, v162
	s_xor_b32 s24, exec_lo, s24
	s_cbranch_execnz .LBB2_3380
; %bb.3207:                             ;   in Loop: Header=BB2_3046 Depth=3
	s_or_saveexec_b32 s24, s24
	v_mov_b32_e32 v160, s14
	s_xor_b32 exec_lo, exec_lo, s24
	s_cbranch_execnz .LBB2_3383
.LBB2_3208:                             ;   in Loop: Header=BB2_3046 Depth=3
	s_or_b32 exec_lo, exec_lo, s24
	s_and_saveexec_b32 s14, s3
	s_cbranch_execz .LBB2_3210
.LBB2_3209:                             ;   in Loop: Header=BB2_3046 Depth=3
	v_bfe_u32 v160, v14, 16, 3
	v_lshlrev_b32_e32 v164, 8, v14
	s_delay_alu instid0(VALU_DEP_2) | instskip(NEXT) | instid1(VALU_DEP_1)
	v_clz_i32_u32_e32 v162, v160
	v_min_u32_e32 v162, 32, v162
	s_delay_alu instid0(VALU_DEP_1) | instskip(SKIP_1) | instid1(VALU_DEP_2)
	v_subrev_nc_u32_e32 v163, 28, v162
	v_sub_nc_u32_e32 v162, 29, v162
	v_lshlrev_b32_e32 v161, v163, v161
	v_bfe_u32 v163, v14, 19, 4
	s_delay_alu instid0(VALU_DEP_2) | instskip(NEXT) | instid1(VALU_DEP_2)
	v_and_b32_e32 v161, 7, v161
	v_cmp_eq_u32_e64 s13, 0, v163
	s_delay_alu instid0(VALU_DEP_1) | instskip(NEXT) | instid1(VALU_DEP_3)
	v_cndmask_b32_e64 v162, v163, v162, s13
	v_cndmask_b32_e64 v160, v160, v161, s13
	v_and_b32_e32 v161, 0x80000000, v164
	s_delay_alu instid0(VALU_DEP_3) | instskip(NEXT) | instid1(VALU_DEP_3)
	v_lshl_add_u32 v162, v162, 23, 0x3b800000
	v_lshlrev_b32_e32 v160, 20, v160
	s_delay_alu instid0(VALU_DEP_1)
	v_or3_b32 v160, v161, v162, v160
.LBB2_3210:                             ;   in Loop: Header=BB2_3046 Depth=3
	s_or_b32 exec_lo, exec_lo, s14
	v_lshrrev_b32_e32 v161, 16, v10
	s_mov_b32 s3, 0
	s_mov_b32 s24, exec_lo
                                        ; implicit-def: $sgpr14
	s_delay_alu instid0(VALU_DEP_1) | instskip(NEXT) | instid1(VALU_DEP_1)
	v_and_b32_e32 v163, 0xff, v161
	v_cmpx_lt_i16_e64 0x7f, v163
	s_xor_b32 s24, exec_lo, s24
	s_cbranch_execnz .LBB2_3384
; %bb.3211:                             ;   in Loop: Header=BB2_3046 Depth=3
	s_or_saveexec_b32 s24, s24
	v_mov_b32_e32 v162, s14
	s_xor_b32 exec_lo, exec_lo, s24
	s_cbranch_execnz .LBB2_3387
.LBB2_3212:                             ;   in Loop: Header=BB2_3046 Depth=3
	s_or_b32 exec_lo, exec_lo, s24
	s_and_saveexec_b32 s14, s3
	s_cbranch_execz .LBB2_3214
.LBB2_3213:                             ;   in Loop: Header=BB2_3046 Depth=3
	v_bfe_u32 v162, v10, 16, 3
	v_lshlrev_b32_e32 v165, 8, v10
	s_delay_alu instid0(VALU_DEP_2) | instskip(NEXT) | instid1(VALU_DEP_1)
	v_clz_i32_u32_e32 v163, v162
	v_min_u32_e32 v163, 32, v163
	s_delay_alu instid0(VALU_DEP_1) | instskip(SKIP_1) | instid1(VALU_DEP_2)
	v_subrev_nc_u32_e32 v164, 28, v163
	v_sub_nc_u32_e32 v163, 29, v163
	v_lshlrev_b32_e32 v161, v164, v161
	v_bfe_u32 v164, v10, 19, 4
	s_delay_alu instid0(VALU_DEP_2) | instskip(NEXT) | instid1(VALU_DEP_2)
	v_and_b32_e32 v161, 7, v161
	v_cmp_eq_u32_e64 s13, 0, v164
	s_delay_alu instid0(VALU_DEP_1) | instskip(NEXT) | instid1(VALU_DEP_3)
	v_cndmask_b32_e64 v163, v164, v163, s13
	v_cndmask_b32_e64 v161, v162, v161, s13
	v_and_b32_e32 v162, 0x80000000, v165
	s_delay_alu instid0(VALU_DEP_3) | instskip(NEXT) | instid1(VALU_DEP_3)
	v_lshl_add_u32 v163, v163, 23, 0x3b800000
	v_lshlrev_b32_e32 v161, 20, v161
	s_delay_alu instid0(VALU_DEP_1)
	v_or3_b32 v162, v162, v163, v161
.LBB2_3214:                             ;   in Loop: Header=BB2_3046 Depth=3
	s_or_b32 exec_lo, exec_lo, s14
	s_delay_alu instid0(VALU_DEP_1) | instskip(NEXT) | instid1(VALU_DEP_1)
	v_add_f32_e32 v161, v160, v162
	v_and_b32_e32 v160, 0x7f800000, v161
	s_delay_alu instid0(VALU_DEP_1) | instskip(SKIP_1) | instid1(VALU_DEP_2)
	v_cmp_ne_u32_e64 s13, 0x7f800000, v160
	v_mov_b32_e32 v160, 0x80
	s_and_saveexec_b32 s3, s13
	s_cbranch_execz .LBB2_3222
; %bb.3215:                             ;   in Loop: Header=BB2_3046 Depth=3
	v_mov_b32_e32 v160, 0
	s_mov_b32 s24, exec_lo
	v_cmpx_ne_u32_e32 0, v161
	s_cbranch_execz .LBB2_3221
; %bb.3216:                             ;   in Loop: Header=BB2_3046 Depth=3
	v_bfe_u32 v160, v161, 23, 8
	v_and_b32_e32 v162, 0x7fffff, v161
	s_delay_alu instid0(VALU_DEP_2) | instskip(SKIP_1) | instid1(VALU_DEP_3)
	v_sub_nc_u32_e32 v163, 0x78, v160
	v_cmp_gt_u32_e64 s13, 0x79, v160
	v_or_b32_e32 v164, 0x800000, v162
	s_delay_alu instid0(VALU_DEP_2) | instskip(SKIP_2) | instid1(VALU_DEP_2)
	v_cndmask_b32_e64 v163, 0, v163, s13
	v_cmp_eq_u32_e64 s13, 0, v160
	v_add_nc_u32_e32 v160, 0xffffff89, v160
	v_cndmask_b32_e64 v163, v163, 0x77, s13
	v_cndmask_b32_e64 v162, v164, v162, s13
	s_delay_alu instid0(VALU_DEP_3) | instskip(NEXT) | instid1(VALU_DEP_3)
	v_cndmask_b32_e64 v160, v160, 0xffffff8a, s13
	v_lshl_add_u32 v164, 0x100000, v163, -1
	s_delay_alu instid0(VALU_DEP_3) | instskip(SKIP_1) | instid1(VALU_DEP_4)
	v_lshrrev_b32_e32 v165, v163, v162
	v_lshlrev_b32_e64 v167, v163, 0x80000
	v_add_nc_u32_e32 v163, v163, v160
	s_delay_alu instid0(VALU_DEP_4) | instskip(NEXT) | instid1(VALU_DEP_4)
	v_and_b32_e32 v162, v164, v162
	v_bfe_u32 v166, v165, 20, 1
	s_delay_alu instid0(VALU_DEP_2) | instskip(NEXT) | instid1(VALU_DEP_2)
	v_cmp_eq_u32_e64 s14, v162, v167
	v_add_nc_u32_e32 v164, -1, v166
	s_delay_alu instid0(VALU_DEP_1) | instskip(SKIP_2) | instid1(VALU_DEP_2)
	v_cndmask_b32_e64 v162, 0, v164, s14
	v_lshrrev_b32_e32 v164, 23, v165
	s_mov_b32 s14, exec_lo
	v_add_nc_u32_e32 v162, v162, v165
	s_delay_alu instid0(VALU_DEP_2) | instskip(NEXT) | instid1(VALU_DEP_2)
	v_xor_b32_e32 v164, 1, v164
	v_and_b32_e32 v160, 0xfffff, v162
	s_delay_alu instid0(VALU_DEP_1) | instskip(NEXT) | instid1(VALU_DEP_3)
	v_add_nc_u32_e32 v162, v160, v165
                                        ; implicit-def: $vgpr160
	v_cmpx_ne_u32_e64 v163, v164
	s_xor_b32 s14, exec_lo, s14
; %bb.3217:                             ;   in Loop: Header=BB2_3046 Depth=3
	s_delay_alu instid0(VALU_DEP_2) | instskip(SKIP_1) | instid1(VALU_DEP_2)
	v_cmp_lt_u32_e64 s13, 0xffffff, v162
	v_sub_nc_u32_e32 v160, v163, v164
	v_cndmask_b32_e64 v163, 0, 1, s13
	s_delay_alu instid0(VALU_DEP_2) | instskip(NEXT) | instid1(VALU_DEP_2)
	v_add_co_ci_u32_e64 v160, s13, 0, v160, s13
	v_lshrrev_b32_e32 v162, v163, v162
; %bb.3218:                             ;   in Loop: Header=BB2_3046 Depth=3
	s_and_not1_saveexec_b32 s13, s14
; %bb.3219:                             ;   in Loop: Header=BB2_3046 Depth=3
	s_delay_alu instid0(VALU_DEP_1)
	v_bfe_u32 v160, v162, 23, 1
; %bb.3220:                             ;   in Loop: Header=BB2_3046 Depth=3
	s_or_b32 exec_lo, exec_lo, s13
	v_lshrrev_b32_e32 v162, 20, v162
	s_delay_alu instid0(VALU_DEP_2) | instskip(SKIP_2) | instid1(VALU_DEP_3)
	v_cmp_gt_i32_e64 s13, 16, v160
	v_lshrrev_b32_e32 v161, 24, v161
	v_min_i32_e32 v163, 15, v160
	v_cndmask_b32_e64 v162, 7, v162, s13
	s_delay_alu instid0(VALU_DEP_3) | instskip(NEXT) | instid1(VALU_DEP_3)
	v_and_b32_e32 v161, 0x80, v161
	v_lshlrev_b32_e32 v163, 3, v163
	s_delay_alu instid0(VALU_DEP_3) | instskip(SKIP_1) | instid1(VALU_DEP_2)
	v_and_b32_e32 v164, 7, v162
	v_or_b32_e32 v160, v160, v162
	v_or3_b32 v161, v163, v161, v164
	s_delay_alu instid0(VALU_DEP_2) | instskip(NEXT) | instid1(VALU_DEP_1)
	v_cmp_ne_u32_e64 s13, 0, v160
	v_cndmask_b32_e64 v160, 0, v161, s13
.LBB2_3221:                             ;   in Loop: Header=BB2_3046 Depth=3
	s_or_b32 exec_lo, exec_lo, s24
.LBB2_3222:                             ;   in Loop: Header=BB2_3046 Depth=3
	s_delay_alu instid0(SALU_CYCLE_1) | instskip(SKIP_3) | instid1(VALU_DEP_1)
	s_or_b32 exec_lo, exec_lo, s3
	v_lshrrev_b32_e32 v162, 24, v14
	s_mov_b32 s3, 0
	s_mov_b32 s24, exec_lo
                                        ; implicit-def: $sgpr14
	v_cmpx_lt_i16_e64 0x7f, v162
	s_xor_b32 s24, exec_lo, s24
	s_cbranch_execnz .LBB2_3388
; %bb.3223:                             ;   in Loop: Header=BB2_3046 Depth=3
	s_or_saveexec_b32 s24, s24
	v_mov_b32_e32 v161, s14
	s_xor_b32 exec_lo, exec_lo, s24
	s_cbranch_execnz .LBB2_3391
.LBB2_3224:                             ;   in Loop: Header=BB2_3046 Depth=3
	s_or_b32 exec_lo, exec_lo, s24
	s_and_saveexec_b32 s14, s3
	s_cbranch_execz .LBB2_3226
.LBB2_3225:                             ;   in Loop: Header=BB2_3046 Depth=3
	v_bfe_u32 v161, v14, 24, 3
	s_delay_alu instid0(VALU_DEP_1) | instskip(NEXT) | instid1(VALU_DEP_1)
	v_clz_i32_u32_e32 v163, v161
	v_min_u32_e32 v163, 32, v163
	s_delay_alu instid0(VALU_DEP_1) | instskip(SKIP_1) | instid1(VALU_DEP_2)
	v_subrev_nc_u32_e32 v164, 28, v163
	v_sub_nc_u32_e32 v163, 29, v163
	v_lshlrev_b32_e32 v162, v164, v162
	v_bfe_u32 v164, v14, 27, 4
	v_and_b32_e32 v14, 0x80000000, v14
	s_delay_alu instid0(VALU_DEP_3) | instskip(NEXT) | instid1(VALU_DEP_3)
	v_and_b32_e32 v162, 7, v162
	v_cmp_eq_u32_e64 s13, 0, v164
	s_delay_alu instid0(VALU_DEP_1) | instskip(NEXT) | instid1(VALU_DEP_3)
	v_cndmask_b32_e64 v163, v164, v163, s13
	v_cndmask_b32_e64 v161, v161, v162, s13
	s_delay_alu instid0(VALU_DEP_2) | instskip(NEXT) | instid1(VALU_DEP_2)
	v_lshl_add_u32 v162, v163, 23, 0x3b800000
	v_lshlrev_b32_e32 v161, 20, v161
	s_delay_alu instid0(VALU_DEP_1)
	v_or3_b32 v161, v14, v162, v161
.LBB2_3226:                             ;   in Loop: Header=BB2_3046 Depth=3
	s_or_b32 exec_lo, exec_lo, s14
	v_lshrrev_b32_e32 v14, 24, v10
	s_mov_b32 s3, 0
	s_mov_b32 s24, exec_lo
                                        ; implicit-def: $sgpr14
	s_delay_alu instid0(VALU_DEP_1)
	v_cmpx_lt_i16_e32 0x7f, v14
	s_xor_b32 s24, exec_lo, s24
	s_cbranch_execnz .LBB2_3392
; %bb.3227:                             ;   in Loop: Header=BB2_3046 Depth=3
	s_or_saveexec_b32 s24, s24
	v_mov_b32_e32 v162, s14
	s_xor_b32 exec_lo, exec_lo, s24
	s_cbranch_execnz .LBB2_3395
.LBB2_3228:                             ;   in Loop: Header=BB2_3046 Depth=3
	s_or_b32 exec_lo, exec_lo, s24
	s_and_saveexec_b32 s14, s3
	s_cbranch_execz .LBB2_3230
.LBB2_3229:                             ;   in Loop: Header=BB2_3046 Depth=3
	v_bfe_u32 v162, v10, 24, 3
	s_delay_alu instid0(VALU_DEP_1) | instskip(NEXT) | instid1(VALU_DEP_1)
	v_clz_i32_u32_e32 v163, v162
	v_min_u32_e32 v163, 32, v163
	s_delay_alu instid0(VALU_DEP_1) | instskip(SKIP_1) | instid1(VALU_DEP_2)
	v_subrev_nc_u32_e32 v164, 28, v163
	v_sub_nc_u32_e32 v163, 29, v163
	v_lshlrev_b32_e32 v14, v164, v14
	v_bfe_u32 v164, v10, 27, 4
	v_and_b32_e32 v10, 0x80000000, v10
	s_delay_alu instid0(VALU_DEP_3) | instskip(NEXT) | instid1(VALU_DEP_3)
	v_and_b32_e32 v14, 7, v14
	v_cmp_eq_u32_e64 s13, 0, v164
	s_delay_alu instid0(VALU_DEP_1) | instskip(NEXT) | instid1(VALU_DEP_3)
	v_cndmask_b32_e64 v163, v164, v163, s13
	v_cndmask_b32_e64 v14, v162, v14, s13
	s_delay_alu instid0(VALU_DEP_2) | instskip(NEXT) | instid1(VALU_DEP_2)
	v_lshl_add_u32 v162, v163, 23, 0x3b800000
	v_lshlrev_b32_e32 v14, 20, v14
	s_delay_alu instid0(VALU_DEP_1)
	v_or3_b32 v162, v10, v162, v14
.LBB2_3230:                             ;   in Loop: Header=BB2_3046 Depth=3
	s_or_b32 exec_lo, exec_lo, s14
	s_delay_alu instid0(VALU_DEP_1) | instskip(NEXT) | instid1(VALU_DEP_1)
	v_add_f32_e32 v14, v161, v162
	v_and_b32_e32 v10, 0x7f800000, v14
	s_delay_alu instid0(VALU_DEP_1) | instskip(SKIP_1) | instid1(VALU_DEP_2)
	v_cmp_ne_u32_e64 s13, 0x7f800000, v10
	v_mov_b32_e32 v10, 0x80
	s_and_saveexec_b32 s3, s13
	s_cbranch_execz .LBB2_3238
; %bb.3231:                             ;   in Loop: Header=BB2_3046 Depth=3
	v_mov_b32_e32 v10, 0
	s_mov_b32 s24, exec_lo
	v_cmpx_ne_u32_e32 0, v14
	s_cbranch_execz .LBB2_3237
; %bb.3232:                             ;   in Loop: Header=BB2_3046 Depth=3
	v_bfe_u32 v10, v14, 23, 8
	v_and_b32_e32 v161, 0x7fffff, v14
	s_delay_alu instid0(VALU_DEP_2) | instskip(SKIP_1) | instid1(VALU_DEP_3)
	v_sub_nc_u32_e32 v162, 0x78, v10
	v_cmp_gt_u32_e64 s13, 0x79, v10
	v_or_b32_e32 v163, 0x800000, v161
	s_delay_alu instid0(VALU_DEP_2) | instskip(SKIP_2) | instid1(VALU_DEP_2)
	v_cndmask_b32_e64 v162, 0, v162, s13
	v_cmp_eq_u32_e64 s13, 0, v10
	v_add_nc_u32_e32 v10, 0xffffff89, v10
	v_cndmask_b32_e64 v162, v162, 0x77, s13
	v_cndmask_b32_e64 v161, v163, v161, s13
	s_delay_alu instid0(VALU_DEP_3) | instskip(NEXT) | instid1(VALU_DEP_3)
	v_cndmask_b32_e64 v10, v10, 0xffffff8a, s13
	v_lshl_add_u32 v163, 0x100000, v162, -1
	s_delay_alu instid0(VALU_DEP_3) | instskip(SKIP_1) | instid1(VALU_DEP_4)
	v_lshrrev_b32_e32 v164, v162, v161
	v_lshlrev_b32_e64 v166, v162, 0x80000
	v_add_nc_u32_e32 v162, v162, v10
	s_delay_alu instid0(VALU_DEP_4) | instskip(NEXT) | instid1(VALU_DEP_4)
	v_and_b32_e32 v161, v163, v161
	v_bfe_u32 v165, v164, 20, 1
	s_delay_alu instid0(VALU_DEP_2) | instskip(NEXT) | instid1(VALU_DEP_2)
	v_cmp_eq_u32_e64 s14, v161, v166
	v_add_nc_u32_e32 v163, -1, v165
	s_delay_alu instid0(VALU_DEP_1) | instskip(SKIP_2) | instid1(VALU_DEP_2)
	v_cndmask_b32_e64 v161, 0, v163, s14
	v_lshrrev_b32_e32 v163, 23, v164
	s_mov_b32 s14, exec_lo
	v_add_nc_u32_e32 v161, v161, v164
	s_delay_alu instid0(VALU_DEP_2) | instskip(NEXT) | instid1(VALU_DEP_2)
	v_xor_b32_e32 v163, 1, v163
	v_and_b32_e32 v10, 0xfffff, v161
	s_delay_alu instid0(VALU_DEP_1) | instskip(NEXT) | instid1(VALU_DEP_3)
	v_add_nc_u32_e32 v161, v10, v164
                                        ; implicit-def: $vgpr10
	v_cmpx_ne_u32_e64 v162, v163
	s_xor_b32 s14, exec_lo, s14
; %bb.3233:                             ;   in Loop: Header=BB2_3046 Depth=3
	s_delay_alu instid0(VALU_DEP_2) | instskip(SKIP_1) | instid1(VALU_DEP_2)
	v_cmp_lt_u32_e64 s13, 0xffffff, v161
	v_sub_nc_u32_e32 v10, v162, v163
	v_cndmask_b32_e64 v162, 0, 1, s13
	s_delay_alu instid0(VALU_DEP_2) | instskip(NEXT) | instid1(VALU_DEP_2)
	v_add_co_ci_u32_e64 v10, s13, 0, v10, s13
	v_lshrrev_b32_e32 v161, v162, v161
; %bb.3234:                             ;   in Loop: Header=BB2_3046 Depth=3
	s_and_not1_saveexec_b32 s13, s14
; %bb.3235:                             ;   in Loop: Header=BB2_3046 Depth=3
	s_delay_alu instid0(VALU_DEP_1)
	v_bfe_u32 v10, v161, 23, 1
; %bb.3236:                             ;   in Loop: Header=BB2_3046 Depth=3
	s_or_b32 exec_lo, exec_lo, s13
	v_lshrrev_b32_e32 v161, 20, v161
	s_delay_alu instid0(VALU_DEP_2) | instskip(SKIP_2) | instid1(VALU_DEP_3)
	v_cmp_gt_i32_e64 s13, 16, v10
	v_lshrrev_b32_e32 v14, 24, v14
	v_min_i32_e32 v162, 15, v10
	v_cndmask_b32_e64 v161, 7, v161, s13
	s_delay_alu instid0(VALU_DEP_3) | instskip(NEXT) | instid1(VALU_DEP_3)
	v_and_b32_e32 v14, 0x80, v14
	v_lshlrev_b32_e32 v162, 3, v162
	s_delay_alu instid0(VALU_DEP_3) | instskip(SKIP_1) | instid1(VALU_DEP_2)
	v_and_b32_e32 v163, 7, v161
	v_or_b32_e32 v10, v10, v161
	v_or3_b32 v14, v162, v14, v163
	s_delay_alu instid0(VALU_DEP_2) | instskip(NEXT) | instid1(VALU_DEP_1)
	v_cmp_ne_u32_e64 s13, 0, v10
	v_cndmask_b32_e64 v10, 0, v14, s13
.LBB2_3237:                             ;   in Loop: Header=BB2_3046 Depth=3
	s_or_b32 exec_lo, exec_lo, s24
.LBB2_3238:                             ;   in Loop: Header=BB2_3046 Depth=3
	s_delay_alu instid0(SALU_CYCLE_1) | instskip(SKIP_3) | instid1(VALU_DEP_1)
	s_or_b32 exec_lo, exec_lo, s3
	v_and_b32_e32 v161, 0xff, v15
	s_mov_b32 s3, 0
	s_mov_b32 s24, exec_lo
                                        ; implicit-def: $sgpr14
	v_cmpx_lt_i16_e64 0x7f, v161
	s_xor_b32 s24, exec_lo, s24
	s_cbranch_execnz .LBB2_3396
; %bb.3239:                             ;   in Loop: Header=BB2_3046 Depth=3
	s_or_saveexec_b32 s24, s24
	v_mov_b32_e32 v14, s14
	s_xor_b32 exec_lo, exec_lo, s24
	s_cbranch_execnz .LBB2_3399
.LBB2_3240:                             ;   in Loop: Header=BB2_3046 Depth=3
	s_or_b32 exec_lo, exec_lo, s24
	s_and_saveexec_b32 s14, s3
	s_cbranch_execz .LBB2_3242
.LBB2_3241:                             ;   in Loop: Header=BB2_3046 Depth=3
	v_and_b32_e32 v14, 7, v15
	v_bfe_u32 v163, v15, 3, 4
	v_lshlrev_b32_e32 v164, 24, v15
	s_delay_alu instid0(VALU_DEP_3) | instskip(NEXT) | instid1(VALU_DEP_3)
	v_clz_i32_u32_e32 v161, v14
	v_cmp_eq_u32_e64 s13, 0, v163
	s_delay_alu instid0(VALU_DEP_2) | instskip(NEXT) | instid1(VALU_DEP_1)
	v_min_u32_e32 v161, 32, v161
	v_subrev_nc_u32_e32 v162, 28, v161
	v_sub_nc_u32_e32 v161, 29, v161
	s_delay_alu instid0(VALU_DEP_2) | instskip(NEXT) | instid1(VALU_DEP_2)
	v_lshlrev_b32_e32 v162, v162, v15
	v_cndmask_b32_e64 v161, v163, v161, s13
	s_delay_alu instid0(VALU_DEP_2) | instskip(NEXT) | instid1(VALU_DEP_2)
	v_and_b32_e32 v162, 7, v162
	v_lshl_add_u32 v161, v161, 23, 0x3b800000
	s_delay_alu instid0(VALU_DEP_2) | instskip(SKIP_1) | instid1(VALU_DEP_2)
	v_cndmask_b32_e64 v14, v14, v162, s13
	v_and_b32_e32 v162, 0x80000000, v164
	v_lshlrev_b32_e32 v14, 20, v14
	s_delay_alu instid0(VALU_DEP_1)
	v_or3_b32 v14, v162, v161, v14
.LBB2_3242:                             ;   in Loop: Header=BB2_3046 Depth=3
	s_or_b32 exec_lo, exec_lo, s14
	v_and_b32_e32 v162, 0xff, v11
	s_mov_b32 s3, 0
	s_mov_b32 s24, exec_lo
                                        ; implicit-def: $sgpr14
	s_delay_alu instid0(VALU_DEP_1)
	v_cmpx_lt_i16_e64 0x7f, v162
	s_xor_b32 s24, exec_lo, s24
	s_cbranch_execnz .LBB2_3400
; %bb.3243:                             ;   in Loop: Header=BB2_3046 Depth=3
	s_or_saveexec_b32 s24, s24
	v_mov_b32_e32 v161, s14
	s_xor_b32 exec_lo, exec_lo, s24
	s_cbranch_execnz .LBB2_3403
.LBB2_3244:                             ;   in Loop: Header=BB2_3046 Depth=3
	s_or_b32 exec_lo, exec_lo, s24
	s_and_saveexec_b32 s14, s3
	s_cbranch_execz .LBB2_3246
.LBB2_3245:                             ;   in Loop: Header=BB2_3046 Depth=3
	v_and_b32_e32 v161, 7, v11
	v_bfe_u32 v164, v11, 3, 4
	v_lshlrev_b32_e32 v165, 24, v11
	s_delay_alu instid0(VALU_DEP_3) | instskip(NEXT) | instid1(VALU_DEP_3)
	v_clz_i32_u32_e32 v162, v161
	v_cmp_eq_u32_e64 s13, 0, v164
	s_delay_alu instid0(VALU_DEP_2) | instskip(NEXT) | instid1(VALU_DEP_1)
	v_min_u32_e32 v162, 32, v162
	v_subrev_nc_u32_e32 v163, 28, v162
	v_sub_nc_u32_e32 v162, 29, v162
	s_delay_alu instid0(VALU_DEP_2) | instskip(NEXT) | instid1(VALU_DEP_2)
	v_lshlrev_b32_e32 v163, v163, v11
	v_cndmask_b32_e64 v162, v164, v162, s13
	s_delay_alu instid0(VALU_DEP_2) | instskip(NEXT) | instid1(VALU_DEP_2)
	v_and_b32_e32 v163, 7, v163
	v_lshl_add_u32 v162, v162, 23, 0x3b800000
	s_delay_alu instid0(VALU_DEP_2) | instskip(SKIP_1) | instid1(VALU_DEP_2)
	v_cndmask_b32_e64 v161, v161, v163, s13
	v_and_b32_e32 v163, 0x80000000, v165
	v_lshlrev_b32_e32 v161, 20, v161
	s_delay_alu instid0(VALU_DEP_1)
	v_or3_b32 v161, v163, v162, v161
.LBB2_3246:                             ;   in Loop: Header=BB2_3046 Depth=3
	s_or_b32 exec_lo, exec_lo, s14
	s_delay_alu instid0(VALU_DEP_1) | instskip(NEXT) | instid1(VALU_DEP_1)
	v_add_f32_e32 v161, v14, v161
	v_and_b32_e32 v14, 0x7f800000, v161
	s_delay_alu instid0(VALU_DEP_1) | instskip(SKIP_1) | instid1(VALU_DEP_2)
	v_cmp_ne_u32_e64 s13, 0x7f800000, v14
	v_mov_b32_e32 v14, 0x80
	s_and_saveexec_b32 s3, s13
	s_cbranch_execz .LBB2_3254
; %bb.3247:                             ;   in Loop: Header=BB2_3046 Depth=3
	v_mov_b32_e32 v14, 0
	s_mov_b32 s24, exec_lo
	v_cmpx_ne_u32_e32 0, v161
	s_cbranch_execz .LBB2_3253
; %bb.3248:                             ;   in Loop: Header=BB2_3046 Depth=3
	v_bfe_u32 v14, v161, 23, 8
	v_and_b32_e32 v162, 0x7fffff, v161
	s_delay_alu instid0(VALU_DEP_2) | instskip(SKIP_1) | instid1(VALU_DEP_3)
	v_sub_nc_u32_e32 v163, 0x78, v14
	v_cmp_gt_u32_e64 s13, 0x79, v14
	v_or_b32_e32 v164, 0x800000, v162
	s_delay_alu instid0(VALU_DEP_2) | instskip(SKIP_2) | instid1(VALU_DEP_2)
	v_cndmask_b32_e64 v163, 0, v163, s13
	v_cmp_eq_u32_e64 s13, 0, v14
	v_add_nc_u32_e32 v14, 0xffffff89, v14
	v_cndmask_b32_e64 v163, v163, 0x77, s13
	v_cndmask_b32_e64 v162, v164, v162, s13
	s_delay_alu instid0(VALU_DEP_3) | instskip(NEXT) | instid1(VALU_DEP_3)
	v_cndmask_b32_e64 v14, v14, 0xffffff8a, s13
	v_lshl_add_u32 v164, 0x100000, v163, -1
	s_delay_alu instid0(VALU_DEP_3) | instskip(SKIP_1) | instid1(VALU_DEP_4)
	v_lshrrev_b32_e32 v165, v163, v162
	v_lshlrev_b32_e64 v167, v163, 0x80000
	v_add_nc_u32_e32 v163, v163, v14
	s_delay_alu instid0(VALU_DEP_4) | instskip(NEXT) | instid1(VALU_DEP_4)
	v_and_b32_e32 v162, v164, v162
	v_bfe_u32 v166, v165, 20, 1
	s_delay_alu instid0(VALU_DEP_2) | instskip(NEXT) | instid1(VALU_DEP_2)
	v_cmp_eq_u32_e64 s14, v162, v167
	v_add_nc_u32_e32 v164, -1, v166
	s_delay_alu instid0(VALU_DEP_1) | instskip(SKIP_2) | instid1(VALU_DEP_2)
	v_cndmask_b32_e64 v162, 0, v164, s14
	v_lshrrev_b32_e32 v164, 23, v165
	s_mov_b32 s14, exec_lo
	v_add_nc_u32_e32 v162, v162, v165
	s_delay_alu instid0(VALU_DEP_2) | instskip(NEXT) | instid1(VALU_DEP_2)
	v_xor_b32_e32 v164, 1, v164
	v_and_b32_e32 v14, 0xfffff, v162
	s_delay_alu instid0(VALU_DEP_1) | instskip(NEXT) | instid1(VALU_DEP_3)
	v_add_nc_u32_e32 v162, v14, v165
                                        ; implicit-def: $vgpr14
	v_cmpx_ne_u32_e64 v163, v164
	s_xor_b32 s14, exec_lo, s14
; %bb.3249:                             ;   in Loop: Header=BB2_3046 Depth=3
	s_delay_alu instid0(VALU_DEP_2) | instskip(SKIP_1) | instid1(VALU_DEP_2)
	v_cmp_lt_u32_e64 s13, 0xffffff, v162
	v_sub_nc_u32_e32 v14, v163, v164
	v_cndmask_b32_e64 v163, 0, 1, s13
	s_delay_alu instid0(VALU_DEP_2) | instskip(NEXT) | instid1(VALU_DEP_2)
	v_add_co_ci_u32_e64 v14, s13, 0, v14, s13
	v_lshrrev_b32_e32 v162, v163, v162
; %bb.3250:                             ;   in Loop: Header=BB2_3046 Depth=3
	s_and_not1_saveexec_b32 s13, s14
; %bb.3251:                             ;   in Loop: Header=BB2_3046 Depth=3
	s_delay_alu instid0(VALU_DEP_1)
	v_bfe_u32 v14, v162, 23, 1
; %bb.3252:                             ;   in Loop: Header=BB2_3046 Depth=3
	s_or_b32 exec_lo, exec_lo, s13
	v_lshrrev_b32_e32 v162, 20, v162
	s_delay_alu instid0(VALU_DEP_2) | instskip(SKIP_2) | instid1(VALU_DEP_3)
	v_cmp_gt_i32_e64 s13, 16, v14
	v_lshrrev_b32_e32 v161, 24, v161
	v_min_i32_e32 v163, 15, v14
	v_cndmask_b32_e64 v162, 7, v162, s13
	s_delay_alu instid0(VALU_DEP_3) | instskip(NEXT) | instid1(VALU_DEP_3)
	v_and_b32_e32 v161, 0x80, v161
	v_lshlrev_b32_e32 v163, 3, v163
	s_delay_alu instid0(VALU_DEP_3) | instskip(SKIP_1) | instid1(VALU_DEP_2)
	v_and_b32_e32 v164, 7, v162
	v_or_b32_e32 v14, v14, v162
	v_or3_b32 v161, v163, v161, v164
	s_delay_alu instid0(VALU_DEP_2) | instskip(NEXT) | instid1(VALU_DEP_1)
	v_cmp_ne_u32_e64 s13, 0, v14
	v_cndmask_b32_e64 v14, 0, v161, s13
.LBB2_3253:                             ;   in Loop: Header=BB2_3046 Depth=3
	s_or_b32 exec_lo, exec_lo, s24
.LBB2_3254:                             ;   in Loop: Header=BB2_3046 Depth=3
	s_delay_alu instid0(SALU_CYCLE_1) | instskip(SKIP_3) | instid1(VALU_DEP_1)
	s_or_b32 exec_lo, exec_lo, s3
	v_lshrrev_b16 v162, 8, v15
	s_mov_b32 s3, 0
	s_mov_b32 s24, exec_lo
                                        ; implicit-def: $sgpr14
	v_cmpx_lt_i16_e64 0x7f, v162
	s_xor_b32 s24, exec_lo, s24
	s_cbranch_execnz .LBB2_3404
; %bb.3255:                             ;   in Loop: Header=BB2_3046 Depth=3
	s_or_saveexec_b32 s24, s24
	v_mov_b32_e32 v161, s14
	s_xor_b32 exec_lo, exec_lo, s24
	s_cbranch_execnz .LBB2_3407
.LBB2_3256:                             ;   in Loop: Header=BB2_3046 Depth=3
	s_or_b32 exec_lo, exec_lo, s24
	s_and_saveexec_b32 s14, s3
	s_cbranch_execz .LBB2_3258
.LBB2_3257:                             ;   in Loop: Header=BB2_3046 Depth=3
	v_and_b32_e32 v161, 0xffff, v162
	v_lshlrev_b32_e32 v162, 24, v162
	s_delay_alu instid0(VALU_DEP_2) | instskip(NEXT) | instid1(VALU_DEP_2)
	v_and_b32_e32 v163, 7, v161
	v_and_b32_e32 v162, 0x80000000, v162
	s_delay_alu instid0(VALU_DEP_2) | instskip(NEXT) | instid1(VALU_DEP_1)
	v_clz_i32_u32_e32 v164, v163
	v_min_u32_e32 v164, 32, v164
	s_delay_alu instid0(VALU_DEP_1) | instskip(SKIP_1) | instid1(VALU_DEP_2)
	v_subrev_nc_u32_e32 v165, 28, v164
	v_sub_nc_u32_e32 v164, 29, v164
	v_lshlrev_b32_e32 v165, v165, v161
	v_bfe_u32 v161, v161, 3, 4
	s_delay_alu instid0(VALU_DEP_2) | instskip(NEXT) | instid1(VALU_DEP_2)
	v_and_b32_e32 v165, 7, v165
	v_cmp_eq_u32_e64 s13, 0, v161
	s_delay_alu instid0(VALU_DEP_1) | instskip(NEXT) | instid1(VALU_DEP_3)
	v_cndmask_b32_e64 v161, v161, v164, s13
	v_cndmask_b32_e64 v163, v163, v165, s13
	s_delay_alu instid0(VALU_DEP_2) | instskip(NEXT) | instid1(VALU_DEP_2)
	v_lshl_add_u32 v161, v161, 23, 0x3b800000
	v_lshlrev_b32_e32 v163, 20, v163
	s_delay_alu instid0(VALU_DEP_1)
	v_or3_b32 v161, v162, v161, v163
.LBB2_3258:                             ;   in Loop: Header=BB2_3046 Depth=3
	s_or_b32 exec_lo, exec_lo, s14
	v_lshrrev_b16 v162, 8, v11
	s_mov_b32 s3, 0
	s_mov_b32 s24, exec_lo
                                        ; implicit-def: $sgpr14
	s_delay_alu instid0(VALU_DEP_1)
	v_cmpx_lt_i16_e64 0x7f, v162
	s_xor_b32 s24, exec_lo, s24
	s_cbranch_execnz .LBB2_3408
; %bb.3259:                             ;   in Loop: Header=BB2_3046 Depth=3
	s_or_saveexec_b32 s24, s24
	v_mov_b32_e32 v163, s14
	s_xor_b32 exec_lo, exec_lo, s24
	s_cbranch_execnz .LBB2_3411
.LBB2_3260:                             ;   in Loop: Header=BB2_3046 Depth=3
	s_or_b32 exec_lo, exec_lo, s24
	s_and_saveexec_b32 s14, s3
	s_cbranch_execz .LBB2_3262
.LBB2_3261:                             ;   in Loop: Header=BB2_3046 Depth=3
	v_and_b32_e32 v163, 0xffff, v162
	v_lshlrev_b32_e32 v162, 24, v162
	s_delay_alu instid0(VALU_DEP_2) | instskip(NEXT) | instid1(VALU_DEP_2)
	v_and_b32_e32 v164, 7, v163
	v_and_b32_e32 v162, 0x80000000, v162
	s_delay_alu instid0(VALU_DEP_2) | instskip(NEXT) | instid1(VALU_DEP_1)
	v_clz_i32_u32_e32 v165, v164
	v_min_u32_e32 v165, 32, v165
	s_delay_alu instid0(VALU_DEP_1) | instskip(SKIP_1) | instid1(VALU_DEP_2)
	v_subrev_nc_u32_e32 v166, 28, v165
	v_sub_nc_u32_e32 v165, 29, v165
	v_lshlrev_b32_e32 v166, v166, v163
	v_bfe_u32 v163, v163, 3, 4
	s_delay_alu instid0(VALU_DEP_2) | instskip(NEXT) | instid1(VALU_DEP_2)
	v_and_b32_e32 v166, 7, v166
	v_cmp_eq_u32_e64 s13, 0, v163
	s_delay_alu instid0(VALU_DEP_1) | instskip(NEXT) | instid1(VALU_DEP_3)
	v_cndmask_b32_e64 v163, v163, v165, s13
	v_cndmask_b32_e64 v164, v164, v166, s13
	s_delay_alu instid0(VALU_DEP_2) | instskip(NEXT) | instid1(VALU_DEP_2)
	v_lshl_add_u32 v163, v163, 23, 0x3b800000
	v_lshlrev_b32_e32 v164, 20, v164
	s_delay_alu instid0(VALU_DEP_1)
	v_or3_b32 v163, v162, v163, v164
.LBB2_3262:                             ;   in Loop: Header=BB2_3046 Depth=3
	s_or_b32 exec_lo, exec_lo, s14
	s_delay_alu instid0(VALU_DEP_1) | instskip(NEXT) | instid1(VALU_DEP_1)
	v_add_f32_e32 v162, v161, v163
	v_and_b32_e32 v161, 0x7f800000, v162
	s_delay_alu instid0(VALU_DEP_1) | instskip(SKIP_1) | instid1(VALU_DEP_2)
	v_cmp_ne_u32_e64 s13, 0x7f800000, v161
	v_mov_b32_e32 v161, 0x8000
	s_and_saveexec_b32 s3, s13
	s_cbranch_execz .LBB2_3270
; %bb.3263:                             ;   in Loop: Header=BB2_3046 Depth=3
	v_mov_b32_e32 v161, 0
	s_mov_b32 s24, exec_lo
	v_cmpx_ne_u32_e32 0, v162
	s_cbranch_execz .LBB2_3269
; %bb.3264:                             ;   in Loop: Header=BB2_3046 Depth=3
	v_bfe_u32 v161, v162, 23, 8
	v_and_b32_e32 v163, 0x7fffff, v162
	s_delay_alu instid0(VALU_DEP_2) | instskip(SKIP_1) | instid1(VALU_DEP_3)
	v_sub_nc_u32_e32 v164, 0x78, v161
	v_cmp_gt_u32_e64 s13, 0x79, v161
	v_or_b32_e32 v165, 0x800000, v163
	s_delay_alu instid0(VALU_DEP_2) | instskip(SKIP_2) | instid1(VALU_DEP_2)
	v_cndmask_b32_e64 v164, 0, v164, s13
	v_cmp_eq_u32_e64 s13, 0, v161
	v_add_nc_u32_e32 v161, 0xffffff89, v161
	v_cndmask_b32_e64 v164, v164, 0x77, s13
	v_cndmask_b32_e64 v163, v165, v163, s13
	s_delay_alu instid0(VALU_DEP_3) | instskip(NEXT) | instid1(VALU_DEP_3)
	v_cndmask_b32_e64 v161, v161, 0xffffff8a, s13
	v_lshl_add_u32 v165, 0x100000, v164, -1
	s_delay_alu instid0(VALU_DEP_3) | instskip(SKIP_1) | instid1(VALU_DEP_4)
	v_lshrrev_b32_e32 v166, v164, v163
	v_lshlrev_b32_e64 v176, v164, 0x80000
	v_add_nc_u32_e32 v164, v164, v161
	s_delay_alu instid0(VALU_DEP_4) | instskip(NEXT) | instid1(VALU_DEP_4)
	v_and_b32_e32 v163, v165, v163
	v_bfe_u32 v167, v166, 20, 1
	s_delay_alu instid0(VALU_DEP_2) | instskip(NEXT) | instid1(VALU_DEP_2)
	v_cmp_eq_u32_e64 s14, v163, v176
	v_add_nc_u32_e32 v165, -1, v167
	s_delay_alu instid0(VALU_DEP_1) | instskip(SKIP_2) | instid1(VALU_DEP_2)
	v_cndmask_b32_e64 v163, 0, v165, s14
	v_lshrrev_b32_e32 v165, 23, v166
	s_mov_b32 s14, exec_lo
	v_add_nc_u32_e32 v163, v163, v166
	s_delay_alu instid0(VALU_DEP_2) | instskip(NEXT) | instid1(VALU_DEP_2)
	v_xor_b32_e32 v165, 1, v165
	v_and_b32_e32 v161, 0xfffff, v163
	s_delay_alu instid0(VALU_DEP_1) | instskip(NEXT) | instid1(VALU_DEP_3)
	v_add_nc_u32_e32 v163, v161, v166
                                        ; implicit-def: $vgpr161
	v_cmpx_ne_u32_e64 v164, v165
	s_xor_b32 s14, exec_lo, s14
; %bb.3265:                             ;   in Loop: Header=BB2_3046 Depth=3
	s_delay_alu instid0(VALU_DEP_2) | instskip(SKIP_1) | instid1(VALU_DEP_2)
	v_cmp_lt_u32_e64 s13, 0xffffff, v163
	v_sub_nc_u32_e32 v161, v164, v165
	v_cndmask_b32_e64 v164, 0, 1, s13
	s_delay_alu instid0(VALU_DEP_2) | instskip(NEXT) | instid1(VALU_DEP_2)
	v_add_co_ci_u32_e64 v161, s13, 0, v161, s13
	v_lshrrev_b32_e32 v163, v164, v163
; %bb.3266:                             ;   in Loop: Header=BB2_3046 Depth=3
	s_and_not1_saveexec_b32 s13, s14
; %bb.3267:                             ;   in Loop: Header=BB2_3046 Depth=3
	s_delay_alu instid0(VALU_DEP_1)
	v_bfe_u32 v161, v163, 23, 1
; %bb.3268:                             ;   in Loop: Header=BB2_3046 Depth=3
	s_or_b32 exec_lo, exec_lo, s13
	v_lshrrev_b32_e32 v163, 20, v163
	s_delay_alu instid0(VALU_DEP_2) | instskip(SKIP_2) | instid1(VALU_DEP_3)
	v_min_i32_e32 v164, 15, v161
	v_cmp_gt_i32_e64 s13, 16, v161
	v_lshrrev_b32_e32 v162, 24, v162
	v_lshlrev_b32_e32 v164, 3, v164
	s_delay_alu instid0(VALU_DEP_3) | instskip(NEXT) | instid1(VALU_DEP_3)
	v_cndmask_b32_e64 v163, 7, v163, s13
	v_and_b32_e32 v162, 0x80, v162
	s_delay_alu instid0(VALU_DEP_3) | instskip(NEXT) | instid1(VALU_DEP_3)
	v_and_b32_e32 v164, 0xf8, v164
	v_and_b32_e32 v165, 7, v163
	v_or_b32_e32 v161, v161, v163
	s_delay_alu instid0(VALU_DEP_2) | instskip(NEXT) | instid1(VALU_DEP_2)
	v_or3_b32 v162, v162, v164, v165
	v_cmp_ne_u32_e64 s13, 0, v161
	s_delay_alu instid0(VALU_DEP_2) | instskip(NEXT) | instid1(VALU_DEP_1)
	v_lshlrev_b32_e32 v162, 8, v162
	v_cndmask_b32_e64 v161, 0, v162, s13
.LBB2_3269:                             ;   in Loop: Header=BB2_3046 Depth=3
	s_or_b32 exec_lo, exec_lo, s24
.LBB2_3270:                             ;   in Loop: Header=BB2_3046 Depth=3
	s_delay_alu instid0(SALU_CYCLE_1) | instskip(SKIP_3) | instid1(VALU_DEP_1)
	s_or_b32 exec_lo, exec_lo, s3
	v_lshrrev_b32_e32 v163, 16, v15
	s_mov_b32 s3, 0
	s_mov_b32 s24, exec_lo
                                        ; implicit-def: $sgpr14
	v_and_b32_e32 v164, 0xff, v163
	s_delay_alu instid0(VALU_DEP_1)
	v_cmpx_lt_i16_e64 0x7f, v164
	s_xor_b32 s24, exec_lo, s24
	s_cbranch_execnz .LBB2_3412
; %bb.3271:                             ;   in Loop: Header=BB2_3046 Depth=3
	s_or_saveexec_b32 s24, s24
	v_mov_b32_e32 v162, s14
	s_xor_b32 exec_lo, exec_lo, s24
	s_cbranch_execnz .LBB2_3415
.LBB2_3272:                             ;   in Loop: Header=BB2_3046 Depth=3
	s_or_b32 exec_lo, exec_lo, s24
	s_and_saveexec_b32 s14, s3
	s_cbranch_execz .LBB2_3274
.LBB2_3273:                             ;   in Loop: Header=BB2_3046 Depth=3
	v_bfe_u32 v162, v15, 16, 3
	v_lshlrev_b32_e32 v166, 8, v15
	s_delay_alu instid0(VALU_DEP_2) | instskip(NEXT) | instid1(VALU_DEP_1)
	v_clz_i32_u32_e32 v164, v162
	v_min_u32_e32 v164, 32, v164
	s_delay_alu instid0(VALU_DEP_1) | instskip(SKIP_1) | instid1(VALU_DEP_2)
	v_subrev_nc_u32_e32 v165, 28, v164
	v_sub_nc_u32_e32 v164, 29, v164
	v_lshlrev_b32_e32 v163, v165, v163
	v_bfe_u32 v165, v15, 19, 4
	s_delay_alu instid0(VALU_DEP_2) | instskip(NEXT) | instid1(VALU_DEP_2)
	v_and_b32_e32 v163, 7, v163
	v_cmp_eq_u32_e64 s13, 0, v165
	s_delay_alu instid0(VALU_DEP_1) | instskip(NEXT) | instid1(VALU_DEP_3)
	v_cndmask_b32_e64 v164, v165, v164, s13
	v_cndmask_b32_e64 v162, v162, v163, s13
	v_and_b32_e32 v163, 0x80000000, v166
	s_delay_alu instid0(VALU_DEP_3) | instskip(NEXT) | instid1(VALU_DEP_3)
	v_lshl_add_u32 v164, v164, 23, 0x3b800000
	v_lshlrev_b32_e32 v162, 20, v162
	s_delay_alu instid0(VALU_DEP_1)
	v_or3_b32 v162, v163, v164, v162
.LBB2_3274:                             ;   in Loop: Header=BB2_3046 Depth=3
	s_or_b32 exec_lo, exec_lo, s14
	v_lshrrev_b32_e32 v163, 16, v11
	s_mov_b32 s3, 0
	s_mov_b32 s24, exec_lo
                                        ; implicit-def: $sgpr14
	s_delay_alu instid0(VALU_DEP_1) | instskip(NEXT) | instid1(VALU_DEP_1)
	v_and_b32_e32 v165, 0xff, v163
	v_cmpx_lt_i16_e64 0x7f, v165
	s_xor_b32 s24, exec_lo, s24
	s_cbranch_execnz .LBB2_3416
; %bb.3275:                             ;   in Loop: Header=BB2_3046 Depth=3
	s_or_saveexec_b32 s24, s24
	v_mov_b32_e32 v164, s14
	s_xor_b32 exec_lo, exec_lo, s24
	s_cbranch_execnz .LBB2_3419
.LBB2_3276:                             ;   in Loop: Header=BB2_3046 Depth=3
	s_or_b32 exec_lo, exec_lo, s24
	s_and_saveexec_b32 s14, s3
	s_cbranch_execz .LBB2_3278
.LBB2_3277:                             ;   in Loop: Header=BB2_3046 Depth=3
	v_bfe_u32 v164, v11, 16, 3
	v_lshlrev_b32_e32 v167, 8, v11
	s_delay_alu instid0(VALU_DEP_2) | instskip(NEXT) | instid1(VALU_DEP_1)
	v_clz_i32_u32_e32 v165, v164
	v_min_u32_e32 v165, 32, v165
	s_delay_alu instid0(VALU_DEP_1) | instskip(SKIP_1) | instid1(VALU_DEP_2)
	v_subrev_nc_u32_e32 v166, 28, v165
	v_sub_nc_u32_e32 v165, 29, v165
	v_lshlrev_b32_e32 v163, v166, v163
	v_bfe_u32 v166, v11, 19, 4
	s_delay_alu instid0(VALU_DEP_2) | instskip(NEXT) | instid1(VALU_DEP_2)
	v_and_b32_e32 v163, 7, v163
	v_cmp_eq_u32_e64 s13, 0, v166
	s_delay_alu instid0(VALU_DEP_1) | instskip(NEXT) | instid1(VALU_DEP_3)
	v_cndmask_b32_e64 v165, v166, v165, s13
	v_cndmask_b32_e64 v163, v164, v163, s13
	v_and_b32_e32 v164, 0x80000000, v167
	s_delay_alu instid0(VALU_DEP_3) | instskip(NEXT) | instid1(VALU_DEP_3)
	v_lshl_add_u32 v165, v165, 23, 0x3b800000
	v_lshlrev_b32_e32 v163, 20, v163
	s_delay_alu instid0(VALU_DEP_1)
	v_or3_b32 v164, v164, v165, v163
.LBB2_3278:                             ;   in Loop: Header=BB2_3046 Depth=3
	s_or_b32 exec_lo, exec_lo, s14
	s_delay_alu instid0(VALU_DEP_1) | instskip(NEXT) | instid1(VALU_DEP_1)
	v_add_f32_e32 v163, v162, v164
	v_and_b32_e32 v162, 0x7f800000, v163
	s_delay_alu instid0(VALU_DEP_1) | instskip(SKIP_1) | instid1(VALU_DEP_2)
	v_cmp_ne_u32_e64 s13, 0x7f800000, v162
	v_mov_b32_e32 v162, 0x80
	s_and_saveexec_b32 s3, s13
	s_cbranch_execz .LBB2_3286
; %bb.3279:                             ;   in Loop: Header=BB2_3046 Depth=3
	v_mov_b32_e32 v162, 0
	s_mov_b32 s24, exec_lo
	v_cmpx_ne_u32_e32 0, v163
	s_cbranch_execz .LBB2_3285
; %bb.3280:                             ;   in Loop: Header=BB2_3046 Depth=3
	v_bfe_u32 v162, v163, 23, 8
	v_and_b32_e32 v164, 0x7fffff, v163
	s_delay_alu instid0(VALU_DEP_2) | instskip(SKIP_1) | instid1(VALU_DEP_3)
	v_sub_nc_u32_e32 v165, 0x78, v162
	v_cmp_gt_u32_e64 s13, 0x79, v162
	v_or_b32_e32 v166, 0x800000, v164
	s_delay_alu instid0(VALU_DEP_2) | instskip(SKIP_2) | instid1(VALU_DEP_2)
	v_cndmask_b32_e64 v165, 0, v165, s13
	v_cmp_eq_u32_e64 s13, 0, v162
	v_add_nc_u32_e32 v162, 0xffffff89, v162
	v_cndmask_b32_e64 v165, v165, 0x77, s13
	v_cndmask_b32_e64 v164, v166, v164, s13
	s_delay_alu instid0(VALU_DEP_3) | instskip(NEXT) | instid1(VALU_DEP_3)
	v_cndmask_b32_e64 v162, v162, 0xffffff8a, s13
	v_lshl_add_u32 v166, 0x100000, v165, -1
	s_delay_alu instid0(VALU_DEP_3) | instskip(SKIP_1) | instid1(VALU_DEP_4)
	v_lshrrev_b32_e32 v167, v165, v164
	v_lshlrev_b32_e64 v177, v165, 0x80000
	v_add_nc_u32_e32 v165, v165, v162
	s_delay_alu instid0(VALU_DEP_4) | instskip(NEXT) | instid1(VALU_DEP_4)
	v_and_b32_e32 v164, v166, v164
	v_bfe_u32 v176, v167, 20, 1
	s_delay_alu instid0(VALU_DEP_2) | instskip(NEXT) | instid1(VALU_DEP_2)
	v_cmp_eq_u32_e64 s14, v164, v177
	v_add_nc_u32_e32 v166, -1, v176
	s_delay_alu instid0(VALU_DEP_1) | instskip(SKIP_2) | instid1(VALU_DEP_2)
	v_cndmask_b32_e64 v164, 0, v166, s14
	v_lshrrev_b32_e32 v166, 23, v167
	s_mov_b32 s14, exec_lo
	v_add_nc_u32_e32 v164, v164, v167
	s_delay_alu instid0(VALU_DEP_2) | instskip(NEXT) | instid1(VALU_DEP_2)
	v_xor_b32_e32 v166, 1, v166
	v_and_b32_e32 v162, 0xfffff, v164
	s_delay_alu instid0(VALU_DEP_1) | instskip(NEXT) | instid1(VALU_DEP_3)
	v_add_nc_u32_e32 v164, v162, v167
                                        ; implicit-def: $vgpr162
	v_cmpx_ne_u32_e64 v165, v166
	s_xor_b32 s14, exec_lo, s14
; %bb.3281:                             ;   in Loop: Header=BB2_3046 Depth=3
	s_delay_alu instid0(VALU_DEP_2) | instskip(SKIP_1) | instid1(VALU_DEP_2)
	v_cmp_lt_u32_e64 s13, 0xffffff, v164
	v_sub_nc_u32_e32 v162, v165, v166
	v_cndmask_b32_e64 v165, 0, 1, s13
	s_delay_alu instid0(VALU_DEP_2) | instskip(NEXT) | instid1(VALU_DEP_2)
	v_add_co_ci_u32_e64 v162, s13, 0, v162, s13
	v_lshrrev_b32_e32 v164, v165, v164
; %bb.3282:                             ;   in Loop: Header=BB2_3046 Depth=3
	s_and_not1_saveexec_b32 s13, s14
; %bb.3283:                             ;   in Loop: Header=BB2_3046 Depth=3
	s_delay_alu instid0(VALU_DEP_1)
	v_bfe_u32 v162, v164, 23, 1
; %bb.3284:                             ;   in Loop: Header=BB2_3046 Depth=3
	s_or_b32 exec_lo, exec_lo, s13
	v_lshrrev_b32_e32 v164, 20, v164
	s_delay_alu instid0(VALU_DEP_2) | instskip(SKIP_2) | instid1(VALU_DEP_3)
	v_min_i32_e32 v165, 15, v162
	v_cmp_gt_i32_e64 s13, 16, v162
	v_lshrrev_b32_e32 v163, 24, v163
	v_lshlrev_b32_e32 v165, 3, v165
	s_delay_alu instid0(VALU_DEP_3) | instskip(NEXT) | instid1(VALU_DEP_3)
	v_cndmask_b32_e64 v164, 7, v164, s13
	v_and_b32_e32 v163, 0x80, v163
	s_delay_alu instid0(VALU_DEP_3) | instskip(NEXT) | instid1(VALU_DEP_3)
	v_and_b32_e32 v165, 0xf8, v165
	v_and_b32_e32 v166, 7, v164
	v_or_b32_e32 v162, v162, v164
	s_delay_alu instid0(VALU_DEP_2) | instskip(NEXT) | instid1(VALU_DEP_2)
	v_or3_b32 v163, v165, v163, v166
	v_cmp_ne_u32_e64 s13, 0, v162
	s_delay_alu instid0(VALU_DEP_1)
	v_cndmask_b32_e64 v162, 0, v163, s13
.LBB2_3285:                             ;   in Loop: Header=BB2_3046 Depth=3
	s_or_b32 exec_lo, exec_lo, s24
.LBB2_3286:                             ;   in Loop: Header=BB2_3046 Depth=3
	s_delay_alu instid0(SALU_CYCLE_1) | instskip(SKIP_3) | instid1(VALU_DEP_1)
	s_or_b32 exec_lo, exec_lo, s3
	v_lshrrev_b32_e32 v164, 24, v15
	s_mov_b32 s3, 0
	s_mov_b32 s24, exec_lo
                                        ; implicit-def: $sgpr14
	v_cmpx_lt_i16_e64 0x7f, v164
	s_xor_b32 s24, exec_lo, s24
	s_cbranch_execnz .LBB2_3420
; %bb.3287:                             ;   in Loop: Header=BB2_3046 Depth=3
	s_or_saveexec_b32 s24, s24
	v_mov_b32_e32 v163, s14
	s_xor_b32 exec_lo, exec_lo, s24
	s_cbranch_execnz .LBB2_3423
.LBB2_3288:                             ;   in Loop: Header=BB2_3046 Depth=3
	s_or_b32 exec_lo, exec_lo, s24
	s_and_saveexec_b32 s14, s3
	s_cbranch_execz .LBB2_3290
.LBB2_3289:                             ;   in Loop: Header=BB2_3046 Depth=3
	v_bfe_u32 v163, v15, 24, 3
	s_delay_alu instid0(VALU_DEP_1) | instskip(NEXT) | instid1(VALU_DEP_1)
	v_clz_i32_u32_e32 v165, v163
	v_min_u32_e32 v165, 32, v165
	s_delay_alu instid0(VALU_DEP_1) | instskip(SKIP_1) | instid1(VALU_DEP_2)
	v_subrev_nc_u32_e32 v166, 28, v165
	v_sub_nc_u32_e32 v165, 29, v165
	v_lshlrev_b32_e32 v164, v166, v164
	v_bfe_u32 v166, v15, 27, 4
	v_and_b32_e32 v15, 0x80000000, v15
	s_delay_alu instid0(VALU_DEP_3) | instskip(NEXT) | instid1(VALU_DEP_3)
	v_and_b32_e32 v164, 7, v164
	v_cmp_eq_u32_e64 s13, 0, v166
	s_delay_alu instid0(VALU_DEP_1) | instskip(NEXT) | instid1(VALU_DEP_3)
	v_cndmask_b32_e64 v165, v166, v165, s13
	v_cndmask_b32_e64 v163, v163, v164, s13
	s_delay_alu instid0(VALU_DEP_2) | instskip(NEXT) | instid1(VALU_DEP_2)
	v_lshl_add_u32 v164, v165, 23, 0x3b800000
	v_lshlrev_b32_e32 v163, 20, v163
	s_delay_alu instid0(VALU_DEP_1)
	v_or3_b32 v163, v15, v164, v163
.LBB2_3290:                             ;   in Loop: Header=BB2_3046 Depth=3
	s_or_b32 exec_lo, exec_lo, s14
	v_lshrrev_b32_e32 v15, 24, v11
	s_mov_b32 s3, 0
	s_mov_b32 s24, exec_lo
                                        ; implicit-def: $sgpr14
	s_delay_alu instid0(VALU_DEP_1)
	v_cmpx_lt_i16_e32 0x7f, v15
	s_xor_b32 s24, exec_lo, s24
	s_cbranch_execnz .LBB2_3424
; %bb.3291:                             ;   in Loop: Header=BB2_3046 Depth=3
	s_or_saveexec_b32 s24, s24
	v_mov_b32_e32 v164, s14
	s_xor_b32 exec_lo, exec_lo, s24
	s_cbranch_execnz .LBB2_3427
.LBB2_3292:                             ;   in Loop: Header=BB2_3046 Depth=3
	s_or_b32 exec_lo, exec_lo, s24
	s_and_saveexec_b32 s14, s3
	s_cbranch_execz .LBB2_3294
.LBB2_3293:                             ;   in Loop: Header=BB2_3046 Depth=3
	v_bfe_u32 v164, v11, 24, 3
	s_delay_alu instid0(VALU_DEP_1) | instskip(NEXT) | instid1(VALU_DEP_1)
	v_clz_i32_u32_e32 v165, v164
	v_min_u32_e32 v165, 32, v165
	s_delay_alu instid0(VALU_DEP_1) | instskip(SKIP_1) | instid1(VALU_DEP_2)
	v_subrev_nc_u32_e32 v166, 28, v165
	v_sub_nc_u32_e32 v165, 29, v165
	v_lshlrev_b32_e32 v15, v166, v15
	v_bfe_u32 v166, v11, 27, 4
	v_and_b32_e32 v11, 0x80000000, v11
	s_delay_alu instid0(VALU_DEP_3) | instskip(NEXT) | instid1(VALU_DEP_3)
	v_and_b32_e32 v15, 7, v15
	v_cmp_eq_u32_e64 s13, 0, v166
	s_delay_alu instid0(VALU_DEP_1) | instskip(NEXT) | instid1(VALU_DEP_3)
	v_cndmask_b32_e64 v165, v166, v165, s13
	v_cndmask_b32_e64 v15, v164, v15, s13
	s_delay_alu instid0(VALU_DEP_2) | instskip(NEXT) | instid1(VALU_DEP_2)
	v_lshl_add_u32 v164, v165, 23, 0x3b800000
	v_lshlrev_b32_e32 v15, 20, v15
	s_delay_alu instid0(VALU_DEP_1)
	v_or3_b32 v164, v11, v164, v15
.LBB2_3294:                             ;   in Loop: Header=BB2_3046 Depth=3
	s_or_b32 exec_lo, exec_lo, s14
	s_delay_alu instid0(VALU_DEP_1) | instskip(NEXT) | instid1(VALU_DEP_1)
	v_add_f32_e32 v11, v163, v164
	v_and_b32_e32 v15, 0x7f800000, v11
	s_delay_alu instid0(VALU_DEP_1) | instskip(SKIP_1) | instid1(VALU_DEP_2)
	v_cmp_ne_u32_e64 s13, 0x7f800000, v15
	v_mov_b32_e32 v15, 0x8000
	s_and_saveexec_b32 s3, s13
	s_cbranch_execz .LBB2_3045
; %bb.3295:                             ;   in Loop: Header=BB2_3046 Depth=3
	v_mov_b32_e32 v15, 0
	s_mov_b32 s24, exec_lo
	v_cmpx_ne_u32_e32 0, v11
	s_cbranch_execz .LBB2_3044
; %bb.3296:                             ;   in Loop: Header=BB2_3046 Depth=3
	v_bfe_u32 v15, v11, 23, 8
	v_and_b32_e32 v163, 0x7fffff, v11
	s_delay_alu instid0(VALU_DEP_2) | instskip(SKIP_1) | instid1(VALU_DEP_3)
	v_sub_nc_u32_e32 v164, 0x78, v15
	v_cmp_gt_u32_e64 s13, 0x79, v15
	v_or_b32_e32 v165, 0x800000, v163
	s_delay_alu instid0(VALU_DEP_2) | instskip(SKIP_2) | instid1(VALU_DEP_2)
	v_cndmask_b32_e64 v164, 0, v164, s13
	v_cmp_eq_u32_e64 s13, 0, v15
	v_add_nc_u32_e32 v15, 0xffffff89, v15
	v_cndmask_b32_e64 v164, v164, 0x77, s13
	v_cndmask_b32_e64 v163, v165, v163, s13
	s_delay_alu instid0(VALU_DEP_3) | instskip(NEXT) | instid1(VALU_DEP_3)
	v_cndmask_b32_e64 v15, v15, 0xffffff8a, s13
	v_lshl_add_u32 v165, 0x100000, v164, -1
	s_delay_alu instid0(VALU_DEP_3) | instskip(SKIP_1) | instid1(VALU_DEP_4)
	v_lshrrev_b32_e32 v166, v164, v163
	v_lshlrev_b32_e64 v176, v164, 0x80000
	v_add_nc_u32_e32 v164, v164, v15
	s_delay_alu instid0(VALU_DEP_4) | instskip(NEXT) | instid1(VALU_DEP_4)
	v_and_b32_e32 v163, v165, v163
	v_bfe_u32 v167, v166, 20, 1
	s_delay_alu instid0(VALU_DEP_2) | instskip(NEXT) | instid1(VALU_DEP_2)
	v_cmp_eq_u32_e64 s14, v163, v176
	v_add_nc_u32_e32 v165, -1, v167
	s_delay_alu instid0(VALU_DEP_1) | instskip(SKIP_2) | instid1(VALU_DEP_2)
	v_cndmask_b32_e64 v163, 0, v165, s14
	v_lshrrev_b32_e32 v165, 23, v166
	s_mov_b32 s14, exec_lo
	v_add_nc_u32_e32 v163, v163, v166
	s_delay_alu instid0(VALU_DEP_2) | instskip(NEXT) | instid1(VALU_DEP_2)
	v_xor_b32_e32 v165, 1, v165
	v_and_b32_e32 v15, 0xfffff, v163
	s_delay_alu instid0(VALU_DEP_1) | instskip(NEXT) | instid1(VALU_DEP_3)
	v_add_nc_u32_e32 v163, v15, v166
                                        ; implicit-def: $vgpr15
	v_cmpx_ne_u32_e64 v164, v165
	s_xor_b32 s14, exec_lo, s14
; %bb.3297:                             ;   in Loop: Header=BB2_3046 Depth=3
	s_delay_alu instid0(VALU_DEP_2) | instskip(SKIP_1) | instid1(VALU_DEP_2)
	v_cmp_lt_u32_e64 s13, 0xffffff, v163
	v_sub_nc_u32_e32 v15, v164, v165
	v_cndmask_b32_e64 v164, 0, 1, s13
	s_delay_alu instid0(VALU_DEP_2) | instskip(NEXT) | instid1(VALU_DEP_2)
	v_add_co_ci_u32_e64 v15, s13, 0, v15, s13
	v_lshrrev_b32_e32 v163, v164, v163
; %bb.3298:                             ;   in Loop: Header=BB2_3046 Depth=3
	s_and_not1_saveexec_b32 s13, s14
	s_cbranch_execz .LBB2_3043
; %bb.3299:                             ;   in Loop: Header=BB2_3046 Depth=3
	s_delay_alu instid0(VALU_DEP_1)
	v_bfe_u32 v15, v163, 23, 1
	s_branch .LBB2_3043
.LBB2_3300:                             ;   in Loop: Header=BB2_3046 Depth=3
	s_mov_b32 s3, -1
	s_mov_b32 s30, exec_lo
                                        ; implicit-def: $sgpr14
	v_cmpx_eq_u16_e64 0x80, v147
; %bb.3301:                             ;   in Loop: Header=BB2_3046 Depth=3
	s_mov_b32 s14, 0x7f800001
	s_xor_b32 s3, exec_lo, -1
; %bb.3302:                             ;   in Loop: Header=BB2_3046 Depth=3
	s_or_b32 exec_lo, exec_lo, s30
	s_delay_alu instid0(SALU_CYCLE_1)
	s_and_b32 s3, s3, exec_lo
                                        ; implicit-def: $vgpr147
	s_or_saveexec_b32 s24, s24
	v_mov_b32_e32 v146, s14
	s_xor_b32 exec_lo, exec_lo, s24
	s_cbranch_execz .LBB2_3048
.LBB2_3303:                             ;   in Loop: Header=BB2_3046 Depth=3
	v_cmp_ne_u16_e64 s13, 0, v147
	v_mov_b32_e32 v146, 0
	s_and_not1_b32 s3, s3, exec_lo
	s_delay_alu instid0(VALU_DEP_2) | instskip(NEXT) | instid1(SALU_CYCLE_1)
	s_and_b32 s13, s13, exec_lo
	s_or_b32 s3, s3, s13
	s_or_b32 exec_lo, exec_lo, s24
	s_and_saveexec_b32 s14, s3
	s_cbranch_execnz .LBB2_3049
	s_branch .LBB2_3050
.LBB2_3304:                             ;   in Loop: Header=BB2_3046 Depth=3
	s_mov_b32 s3, -1
	s_mov_b32 s30, exec_lo
                                        ; implicit-def: $sgpr14
	v_cmpx_eq_u16_e64 0x80, v148
; %bb.3305:                             ;   in Loop: Header=BB2_3046 Depth=3
	s_mov_b32 s14, 0x7f800001
	s_xor_b32 s3, exec_lo, -1
; %bb.3306:                             ;   in Loop: Header=BB2_3046 Depth=3
	s_or_b32 exec_lo, exec_lo, s30
	s_delay_alu instid0(SALU_CYCLE_1)
	s_and_b32 s3, s3, exec_lo
                                        ; implicit-def: $vgpr148
	s_or_saveexec_b32 s24, s24
	v_mov_b32_e32 v147, s14
	s_xor_b32 exec_lo, exec_lo, s24
	s_cbranch_execz .LBB2_3052
.LBB2_3307:                             ;   in Loop: Header=BB2_3046 Depth=3
	v_cmp_ne_u16_e64 s13, 0, v148
	v_mov_b32_e32 v147, 0
	s_and_not1_b32 s3, s3, exec_lo
	s_delay_alu instid0(VALU_DEP_2) | instskip(NEXT) | instid1(SALU_CYCLE_1)
	s_and_b32 s13, s13, exec_lo
	s_or_b32 s3, s3, s13
	s_or_b32 exec_lo, exec_lo, s24
	s_and_saveexec_b32 s14, s3
	s_cbranch_execnz .LBB2_3053
	s_branch .LBB2_3054
.LBB2_3308:                             ;   in Loop: Header=BB2_3046 Depth=3
	s_mov_b32 s3, -1
	s_mov_b32 s30, exec_lo
                                        ; implicit-def: $sgpr14
	v_cmpx_eq_u16_e64 0x80, v148
; %bb.3309:                             ;   in Loop: Header=BB2_3046 Depth=3
	s_mov_b32 s14, 0x7f800001
	s_xor_b32 s3, exec_lo, -1
; %bb.3310:                             ;   in Loop: Header=BB2_3046 Depth=3
	s_or_b32 exec_lo, exec_lo, s30
	s_delay_alu instid0(SALU_CYCLE_1)
	s_and_b32 s3, s3, exec_lo
	s_or_saveexec_b32 s24, s24
	v_mov_b32_e32 v147, s14
	s_xor_b32 exec_lo, exec_lo, s24
	s_cbranch_execz .LBB2_3064
.LBB2_3311:                             ;   in Loop: Header=BB2_3046 Depth=3
	v_cmp_ne_u16_e64 s13, 0, v148
	v_mov_b32_e32 v147, 0
	s_and_not1_b32 s3, s3, exec_lo
	s_delay_alu instid0(VALU_DEP_2) | instskip(NEXT) | instid1(SALU_CYCLE_1)
	s_and_b32 s13, s13, exec_lo
	s_or_b32 s3, s3, s13
	s_or_b32 exec_lo, exec_lo, s24
	s_and_saveexec_b32 s14, s3
	s_cbranch_execnz .LBB2_3065
	s_branch .LBB2_3066
.LBB2_3312:                             ;   in Loop: Header=BB2_3046 Depth=3
	s_mov_b32 s3, -1
	s_mov_b32 s30, exec_lo
                                        ; implicit-def: $sgpr14
	v_cmpx_eq_u16_e64 0x80, v148
; %bb.3313:                             ;   in Loop: Header=BB2_3046 Depth=3
	s_mov_b32 s14, 0x7f800001
	s_xor_b32 s3, exec_lo, -1
; %bb.3314:                             ;   in Loop: Header=BB2_3046 Depth=3
	s_or_b32 exec_lo, exec_lo, s30
	s_delay_alu instid0(SALU_CYCLE_1)
	s_and_b32 s3, s3, exec_lo
	s_or_saveexec_b32 s24, s24
	v_mov_b32_e32 v149, s14
	s_xor_b32 exec_lo, exec_lo, s24
	s_cbranch_execz .LBB2_3068
.LBB2_3315:                             ;   in Loop: Header=BB2_3046 Depth=3
	v_cmp_ne_u16_e64 s13, 0, v148
	v_mov_b32_e32 v149, 0
	s_and_not1_b32 s3, s3, exec_lo
	s_delay_alu instid0(VALU_DEP_2) | instskip(NEXT) | instid1(SALU_CYCLE_1)
	s_and_b32 s13, s13, exec_lo
	s_or_b32 s3, s3, s13
	s_or_b32 exec_lo, exec_lo, s24
	s_and_saveexec_b32 s14, s3
	s_cbranch_execnz .LBB2_3069
	s_branch .LBB2_3070
.LBB2_3316:                             ;   in Loop: Header=BB2_3046 Depth=3
	s_mov_b32 s3, -1
	s_mov_b32 s30, exec_lo
                                        ; implicit-def: $sgpr14
	v_cmpx_eq_u16_e64 0x80, v150
; %bb.3317:                             ;   in Loop: Header=BB2_3046 Depth=3
	s_mov_b32 s14, 0x7f800001
	s_xor_b32 s3, exec_lo, -1
; %bb.3318:                             ;   in Loop: Header=BB2_3046 Depth=3
	s_or_b32 exec_lo, exec_lo, s30
	s_delay_alu instid0(SALU_CYCLE_1)
	s_and_b32 s3, s3, exec_lo
                                        ; implicit-def: $vgpr150
	s_or_saveexec_b32 s24, s24
	v_mov_b32_e32 v148, s14
	s_xor_b32 exec_lo, exec_lo, s24
	s_cbranch_execz .LBB2_3080
.LBB2_3319:                             ;   in Loop: Header=BB2_3046 Depth=3
	v_cmp_ne_u16_e64 s13, 0, v150
	v_mov_b32_e32 v148, 0
	s_and_not1_b32 s3, s3, exec_lo
	s_delay_alu instid0(VALU_DEP_2) | instskip(NEXT) | instid1(SALU_CYCLE_1)
	s_and_b32 s13, s13, exec_lo
	s_or_b32 s3, s3, s13
	s_or_b32 exec_lo, exec_lo, s24
	s_and_saveexec_b32 s14, s3
	s_cbranch_execnz .LBB2_3081
	s_branch .LBB2_3082
.LBB2_3320:                             ;   in Loop: Header=BB2_3046 Depth=3
	s_mov_b32 s3, -1
	s_mov_b32 s30, exec_lo
                                        ; implicit-def: $sgpr14
	v_cmpx_eq_u16_e64 0x80, v151
; %bb.3321:                             ;   in Loop: Header=BB2_3046 Depth=3
	s_mov_b32 s14, 0x7f800001
	s_xor_b32 s3, exec_lo, -1
; %bb.3322:                             ;   in Loop: Header=BB2_3046 Depth=3
	s_or_b32 exec_lo, exec_lo, s30
	s_delay_alu instid0(SALU_CYCLE_1)
	s_and_b32 s3, s3, exec_lo
                                        ; implicit-def: $vgpr151
	s_or_saveexec_b32 s24, s24
	v_mov_b32_e32 v150, s14
	s_xor_b32 exec_lo, exec_lo, s24
	s_cbranch_execz .LBB2_3084
.LBB2_3323:                             ;   in Loop: Header=BB2_3046 Depth=3
	v_cmp_ne_u16_e64 s13, 0, v151
	v_mov_b32_e32 v150, 0
	s_and_not1_b32 s3, s3, exec_lo
	s_delay_alu instid0(VALU_DEP_2) | instskip(NEXT) | instid1(SALU_CYCLE_1)
	s_and_b32 s13, s13, exec_lo
	s_or_b32 s3, s3, s13
	s_or_b32 exec_lo, exec_lo, s24
	s_and_saveexec_b32 s14, s3
	s_cbranch_execnz .LBB2_3085
	s_branch .LBB2_3086
.LBB2_3324:                             ;   in Loop: Header=BB2_3046 Depth=3
	s_mov_b32 s3, -1
	s_mov_b32 s30, exec_lo
                                        ; implicit-def: $sgpr14
	v_cmpx_eq_u16_e64 0x80, v150
; %bb.3325:                             ;   in Loop: Header=BB2_3046 Depth=3
	s_mov_b32 s14, 0x7f800001
	s_xor_b32 s3, exec_lo, -1
; %bb.3326:                             ;   in Loop: Header=BB2_3046 Depth=3
	s_or_b32 exec_lo, exec_lo, s30
	s_delay_alu instid0(SALU_CYCLE_1)
	s_and_b32 s3, s3, exec_lo
	s_or_saveexec_b32 s24, s24
	v_mov_b32_e32 v149, s14
	s_xor_b32 exec_lo, exec_lo, s24
	s_cbranch_execz .LBB2_3096
.LBB2_3327:                             ;   in Loop: Header=BB2_3046 Depth=3
	v_cmp_ne_u16_e64 s13, 0, v150
	v_mov_b32_e32 v149, 0
	s_and_not1_b32 s3, s3, exec_lo
	s_delay_alu instid0(VALU_DEP_2) | instskip(NEXT) | instid1(SALU_CYCLE_1)
	s_and_b32 s13, s13, exec_lo
	s_or_b32 s3, s3, s13
	s_or_b32 exec_lo, exec_lo, s24
	s_and_saveexec_b32 s14, s3
	s_cbranch_execnz .LBB2_3097
	s_branch .LBB2_3098
.LBB2_3328:                             ;   in Loop: Header=BB2_3046 Depth=3
	s_mov_b32 s3, -1
	s_mov_b32 s30, exec_lo
                                        ; implicit-def: $sgpr14
	v_cmpx_eq_u16_e32 0x80, v12
; %bb.3329:                             ;   in Loop: Header=BB2_3046 Depth=3
	s_mov_b32 s14, 0x7f800001
	s_xor_b32 s3, exec_lo, -1
; %bb.3330:                             ;   in Loop: Header=BB2_3046 Depth=3
	s_or_b32 exec_lo, exec_lo, s30
	s_delay_alu instid0(SALU_CYCLE_1)
	s_and_b32 s3, s3, exec_lo
	s_or_saveexec_b32 s24, s24
	v_mov_b32_e32 v150, s14
	s_xor_b32 exec_lo, exec_lo, s24
	s_cbranch_execz .LBB2_3100
.LBB2_3331:                             ;   in Loop: Header=BB2_3046 Depth=3
	v_cmp_ne_u16_e64 s13, 0, v12
	v_mov_b32_e32 v150, 0
	s_and_not1_b32 s3, s3, exec_lo
	s_delay_alu instid0(VALU_DEP_2) | instskip(NEXT) | instid1(SALU_CYCLE_1)
	s_and_b32 s13, s13, exec_lo
	s_or_b32 s3, s3, s13
	s_or_b32 exec_lo, exec_lo, s24
	s_and_saveexec_b32 s14, s3
	s_cbranch_execnz .LBB2_3101
	s_branch .LBB2_3102
.LBB2_3332:                             ;   in Loop: Header=BB2_3046 Depth=3
	s_mov_b32 s3, -1
	s_mov_b32 s30, exec_lo
                                        ; implicit-def: $sgpr14
	v_cmpx_eq_u16_e64 0x80, v149
; %bb.3333:                             ;   in Loop: Header=BB2_3046 Depth=3
	s_mov_b32 s14, 0x7f800001
	s_xor_b32 s3, exec_lo, -1
; %bb.3334:                             ;   in Loop: Header=BB2_3046 Depth=3
	s_or_b32 exec_lo, exec_lo, s30
	s_delay_alu instid0(SALU_CYCLE_1)
	s_and_b32 s3, s3, exec_lo
                                        ; implicit-def: $vgpr149
	s_or_saveexec_b32 s24, s24
	v_mov_b32_e32 v12, s14
	s_xor_b32 exec_lo, exec_lo, s24
	s_cbranch_execz .LBB2_3112
.LBB2_3335:                             ;   in Loop: Header=BB2_3046 Depth=3
	v_cmp_ne_u16_e64 s13, 0, v149
	v_mov_b32_e32 v12, 0
	s_and_not1_b32 s3, s3, exec_lo
	s_delay_alu instid0(VALU_DEP_2) | instskip(NEXT) | instid1(SALU_CYCLE_1)
	s_and_b32 s13, s13, exec_lo
	s_or_b32 s3, s3, s13
	s_or_b32 exec_lo, exec_lo, s24
	s_and_saveexec_b32 s14, s3
	s_cbranch_execnz .LBB2_3113
	s_branch .LBB2_3114
.LBB2_3336:                             ;   in Loop: Header=BB2_3046 Depth=3
	s_mov_b32 s3, -1
	s_mov_b32 s30, exec_lo
                                        ; implicit-def: $sgpr14
	v_cmpx_eq_u16_e64 0x80, v150
; %bb.3337:                             ;   in Loop: Header=BB2_3046 Depth=3
	s_mov_b32 s14, 0x7f800001
	s_xor_b32 s3, exec_lo, -1
; %bb.3338:                             ;   in Loop: Header=BB2_3046 Depth=3
	s_or_b32 exec_lo, exec_lo, s30
	s_delay_alu instid0(SALU_CYCLE_1)
	s_and_b32 s3, s3, exec_lo
                                        ; implicit-def: $vgpr150
	s_or_saveexec_b32 s24, s24
	v_mov_b32_e32 v149, s14
	s_xor_b32 exec_lo, exec_lo, s24
	s_cbranch_execz .LBB2_3116
.LBB2_3339:                             ;   in Loop: Header=BB2_3046 Depth=3
	v_cmp_ne_u16_e64 s13, 0, v150
	v_mov_b32_e32 v149, 0
	s_and_not1_b32 s3, s3, exec_lo
	s_delay_alu instid0(VALU_DEP_2) | instskip(NEXT) | instid1(SALU_CYCLE_1)
	s_and_b32 s13, s13, exec_lo
	s_or_b32 s3, s3, s13
	s_or_b32 exec_lo, exec_lo, s24
	s_and_saveexec_b32 s14, s3
	s_cbranch_execnz .LBB2_3117
	s_branch .LBB2_3118
.LBB2_3340:                             ;   in Loop: Header=BB2_3046 Depth=3
	s_mov_b32 s3, -1
	s_mov_b32 s30, exec_lo
                                        ; implicit-def: $sgpr14
	v_cmpx_eq_u16_e64 0x80, v150
; %bb.3341:                             ;   in Loop: Header=BB2_3046 Depth=3
	s_mov_b32 s14, 0x7f800001
	s_xor_b32 s3, exec_lo, -1
; %bb.3342:                             ;   in Loop: Header=BB2_3046 Depth=3
	s_or_b32 exec_lo, exec_lo, s30
	s_delay_alu instid0(SALU_CYCLE_1)
	s_and_b32 s3, s3, exec_lo
	s_or_saveexec_b32 s24, s24
	v_mov_b32_e32 v149, s14
	s_xor_b32 exec_lo, exec_lo, s24
	s_cbranch_execz .LBB2_3128
.LBB2_3343:                             ;   in Loop: Header=BB2_3046 Depth=3
	v_cmp_ne_u16_e64 s13, 0, v150
	v_mov_b32_e32 v149, 0
	s_and_not1_b32 s3, s3, exec_lo
	s_delay_alu instid0(VALU_DEP_2) | instskip(NEXT) | instid1(SALU_CYCLE_1)
	s_and_b32 s13, s13, exec_lo
	s_or_b32 s3, s3, s13
	s_or_b32 exec_lo, exec_lo, s24
	s_and_saveexec_b32 s14, s3
	s_cbranch_execnz .LBB2_3129
	s_branch .LBB2_3130
.LBB2_3344:                             ;   in Loop: Header=BB2_3046 Depth=3
	s_mov_b32 s3, -1
	s_mov_b32 s30, exec_lo
                                        ; implicit-def: $sgpr14
	v_cmpx_eq_u16_e64 0x80, v150
; %bb.3345:                             ;   in Loop: Header=BB2_3046 Depth=3
	s_mov_b32 s14, 0x7f800001
	s_xor_b32 s3, exec_lo, -1
; %bb.3346:                             ;   in Loop: Header=BB2_3046 Depth=3
	s_or_b32 exec_lo, exec_lo, s30
	s_delay_alu instid0(SALU_CYCLE_1)
	s_and_b32 s3, s3, exec_lo
	s_or_saveexec_b32 s24, s24
	v_mov_b32_e32 v151, s14
	s_xor_b32 exec_lo, exec_lo, s24
	s_cbranch_execz .LBB2_3132
.LBB2_3347:                             ;   in Loop: Header=BB2_3046 Depth=3
	v_cmp_ne_u16_e64 s13, 0, v150
	v_mov_b32_e32 v151, 0
	s_and_not1_b32 s3, s3, exec_lo
	s_delay_alu instid0(VALU_DEP_2) | instskip(NEXT) | instid1(SALU_CYCLE_1)
	s_and_b32 s13, s13, exec_lo
	s_or_b32 s3, s3, s13
	s_or_b32 exec_lo, exec_lo, s24
	s_and_saveexec_b32 s14, s3
	s_cbranch_execnz .LBB2_3133
	s_branch .LBB2_3134
.LBB2_3348:                             ;   in Loop: Header=BB2_3046 Depth=3
	s_mov_b32 s3, -1
	s_mov_b32 s30, exec_lo
                                        ; implicit-def: $sgpr14
	v_cmpx_eq_u16_e64 0x80, v160
; %bb.3349:                             ;   in Loop: Header=BB2_3046 Depth=3
	s_mov_b32 s14, 0x7f800001
	s_xor_b32 s3, exec_lo, -1
; %bb.3350:                             ;   in Loop: Header=BB2_3046 Depth=3
	s_or_b32 exec_lo, exec_lo, s30
	s_delay_alu instid0(SALU_CYCLE_1)
	s_and_b32 s3, s3, exec_lo
                                        ; implicit-def: $vgpr160
	s_or_saveexec_b32 s24, s24
	v_mov_b32_e32 v150, s14
	s_xor_b32 exec_lo, exec_lo, s24
	s_cbranch_execz .LBB2_3144
.LBB2_3351:                             ;   in Loop: Header=BB2_3046 Depth=3
	v_cmp_ne_u16_e64 s13, 0, v160
	v_mov_b32_e32 v150, 0
	s_and_not1_b32 s3, s3, exec_lo
	s_delay_alu instid0(VALU_DEP_2) | instskip(NEXT) | instid1(SALU_CYCLE_1)
	s_and_b32 s13, s13, exec_lo
	s_or_b32 s3, s3, s13
	s_or_b32 exec_lo, exec_lo, s24
	s_and_saveexec_b32 s14, s3
	s_cbranch_execnz .LBB2_3145
	s_branch .LBB2_3146
.LBB2_3352:                             ;   in Loop: Header=BB2_3046 Depth=3
	s_mov_b32 s3, -1
	s_mov_b32 s30, exec_lo
                                        ; implicit-def: $sgpr14
	v_cmpx_eq_u16_e64 0x80, v161
; %bb.3353:                             ;   in Loop: Header=BB2_3046 Depth=3
	s_mov_b32 s14, 0x7f800001
	s_xor_b32 s3, exec_lo, -1
; %bb.3354:                             ;   in Loop: Header=BB2_3046 Depth=3
	s_or_b32 exec_lo, exec_lo, s30
	s_delay_alu instid0(SALU_CYCLE_1)
	s_and_b32 s3, s3, exec_lo
                                        ; implicit-def: $vgpr161
	s_or_saveexec_b32 s24, s24
	v_mov_b32_e32 v160, s14
	s_xor_b32 exec_lo, exec_lo, s24
	s_cbranch_execz .LBB2_3148
.LBB2_3355:                             ;   in Loop: Header=BB2_3046 Depth=3
	v_cmp_ne_u16_e64 s13, 0, v161
	v_mov_b32_e32 v160, 0
	s_and_not1_b32 s3, s3, exec_lo
	s_delay_alu instid0(VALU_DEP_2) | instskip(NEXT) | instid1(SALU_CYCLE_1)
	s_and_b32 s13, s13, exec_lo
	s_or_b32 s3, s3, s13
	s_or_b32 exec_lo, exec_lo, s24
	s_and_saveexec_b32 s14, s3
	s_cbranch_execnz .LBB2_3149
	s_branch .LBB2_3150
.LBB2_3356:                             ;   in Loop: Header=BB2_3046 Depth=3
	s_mov_b32 s3, -1
	s_mov_b32 s30, exec_lo
                                        ; implicit-def: $sgpr14
	v_cmpx_eq_u16_e64 0x80, v160
; %bb.3357:                             ;   in Loop: Header=BB2_3046 Depth=3
	s_mov_b32 s14, 0x7f800001
	s_xor_b32 s3, exec_lo, -1
; %bb.3358:                             ;   in Loop: Header=BB2_3046 Depth=3
	s_or_b32 exec_lo, exec_lo, s30
	s_delay_alu instid0(SALU_CYCLE_1)
	s_and_b32 s3, s3, exec_lo
	s_or_saveexec_b32 s24, s24
	v_mov_b32_e32 v151, s14
	s_xor_b32 exec_lo, exec_lo, s24
	s_cbranch_execz .LBB2_3160
.LBB2_3359:                             ;   in Loop: Header=BB2_3046 Depth=3
	v_cmp_ne_u16_e64 s13, 0, v160
	v_mov_b32_e32 v151, 0
	s_and_not1_b32 s3, s3, exec_lo
	s_delay_alu instid0(VALU_DEP_2) | instskip(NEXT) | instid1(SALU_CYCLE_1)
	s_and_b32 s13, s13, exec_lo
	s_or_b32 s3, s3, s13
	s_or_b32 exec_lo, exec_lo, s24
	s_and_saveexec_b32 s14, s3
	s_cbranch_execnz .LBB2_3161
	s_branch .LBB2_3162
.LBB2_3360:                             ;   in Loop: Header=BB2_3046 Depth=3
	s_mov_b32 s3, -1
	s_mov_b32 s30, exec_lo
                                        ; implicit-def: $sgpr14
	v_cmpx_eq_u16_e32 0x80, v13
; %bb.3361:                             ;   in Loop: Header=BB2_3046 Depth=3
	s_mov_b32 s14, 0x7f800001
	s_xor_b32 s3, exec_lo, -1
; %bb.3362:                             ;   in Loop: Header=BB2_3046 Depth=3
	s_or_b32 exec_lo, exec_lo, s30
	s_delay_alu instid0(SALU_CYCLE_1)
	s_and_b32 s3, s3, exec_lo
	s_or_saveexec_b32 s24, s24
	v_mov_b32_e32 v160, s14
	s_xor_b32 exec_lo, exec_lo, s24
	s_cbranch_execz .LBB2_3164
.LBB2_3363:                             ;   in Loop: Header=BB2_3046 Depth=3
	v_cmp_ne_u16_e64 s13, 0, v13
	v_mov_b32_e32 v160, 0
	s_and_not1_b32 s3, s3, exec_lo
	s_delay_alu instid0(VALU_DEP_2) | instskip(NEXT) | instid1(SALU_CYCLE_1)
	s_and_b32 s13, s13, exec_lo
	s_or_b32 s3, s3, s13
	s_or_b32 exec_lo, exec_lo, s24
	s_and_saveexec_b32 s14, s3
	s_cbranch_execnz .LBB2_3165
	s_branch .LBB2_3166
.LBB2_3364:                             ;   in Loop: Header=BB2_3046 Depth=3
	s_mov_b32 s3, -1
	s_mov_b32 s30, exec_lo
                                        ; implicit-def: $sgpr14
	v_cmpx_eq_u16_e64 0x80, v151
; %bb.3365:                             ;   in Loop: Header=BB2_3046 Depth=3
	s_mov_b32 s14, 0x7f800001
	s_xor_b32 s3, exec_lo, -1
; %bb.3366:                             ;   in Loop: Header=BB2_3046 Depth=3
	s_or_b32 exec_lo, exec_lo, s30
	s_delay_alu instid0(SALU_CYCLE_1)
	s_and_b32 s3, s3, exec_lo
                                        ; implicit-def: $vgpr151
	s_or_saveexec_b32 s24, s24
	v_mov_b32_e32 v13, s14
	s_xor_b32 exec_lo, exec_lo, s24
	s_cbranch_execz .LBB2_3176
.LBB2_3367:                             ;   in Loop: Header=BB2_3046 Depth=3
	v_cmp_ne_u16_e64 s13, 0, v151
	v_mov_b32_e32 v13, 0
	s_and_not1_b32 s3, s3, exec_lo
	s_delay_alu instid0(VALU_DEP_2) | instskip(NEXT) | instid1(SALU_CYCLE_1)
	s_and_b32 s13, s13, exec_lo
	s_or_b32 s3, s3, s13
	s_or_b32 exec_lo, exec_lo, s24
	s_and_saveexec_b32 s14, s3
	s_cbranch_execnz .LBB2_3177
	s_branch .LBB2_3178
.LBB2_3368:                             ;   in Loop: Header=BB2_3046 Depth=3
	s_mov_b32 s3, -1
	s_mov_b32 s30, exec_lo
                                        ; implicit-def: $sgpr14
	v_cmpx_eq_u16_e64 0x80, v160
; %bb.3369:                             ;   in Loop: Header=BB2_3046 Depth=3
	s_mov_b32 s14, 0x7f800001
	s_xor_b32 s3, exec_lo, -1
; %bb.3370:                             ;   in Loop: Header=BB2_3046 Depth=3
	s_or_b32 exec_lo, exec_lo, s30
	s_delay_alu instid0(SALU_CYCLE_1)
	s_and_b32 s3, s3, exec_lo
                                        ; implicit-def: $vgpr160
	s_or_saveexec_b32 s24, s24
	v_mov_b32_e32 v151, s14
	s_xor_b32 exec_lo, exec_lo, s24
	s_cbranch_execz .LBB2_3180
.LBB2_3371:                             ;   in Loop: Header=BB2_3046 Depth=3
	v_cmp_ne_u16_e64 s13, 0, v160
	v_mov_b32_e32 v151, 0
	s_and_not1_b32 s3, s3, exec_lo
	s_delay_alu instid0(VALU_DEP_2) | instskip(NEXT) | instid1(SALU_CYCLE_1)
	s_and_b32 s13, s13, exec_lo
	s_or_b32 s3, s3, s13
	s_or_b32 exec_lo, exec_lo, s24
	s_and_saveexec_b32 s14, s3
	s_cbranch_execnz .LBB2_3181
	s_branch .LBB2_3182
.LBB2_3372:                             ;   in Loop: Header=BB2_3046 Depth=3
	s_mov_b32 s3, -1
	s_mov_b32 s30, exec_lo
                                        ; implicit-def: $sgpr14
	v_cmpx_eq_u16_e64 0x80, v160
; %bb.3373:                             ;   in Loop: Header=BB2_3046 Depth=3
	s_mov_b32 s14, 0x7f800001
	s_xor_b32 s3, exec_lo, -1
; %bb.3374:                             ;   in Loop: Header=BB2_3046 Depth=3
	s_or_b32 exec_lo, exec_lo, s30
	s_delay_alu instid0(SALU_CYCLE_1)
	s_and_b32 s3, s3, exec_lo
	s_or_saveexec_b32 s24, s24
	v_mov_b32_e32 v151, s14
	s_xor_b32 exec_lo, exec_lo, s24
	s_cbranch_execz .LBB2_3192
.LBB2_3375:                             ;   in Loop: Header=BB2_3046 Depth=3
	v_cmp_ne_u16_e64 s13, 0, v160
	v_mov_b32_e32 v151, 0
	s_and_not1_b32 s3, s3, exec_lo
	s_delay_alu instid0(VALU_DEP_2) | instskip(NEXT) | instid1(SALU_CYCLE_1)
	s_and_b32 s13, s13, exec_lo
	s_or_b32 s3, s3, s13
	s_or_b32 exec_lo, exec_lo, s24
	s_and_saveexec_b32 s14, s3
	s_cbranch_execnz .LBB2_3193
	s_branch .LBB2_3194
.LBB2_3376:                             ;   in Loop: Header=BB2_3046 Depth=3
	s_mov_b32 s3, -1
	s_mov_b32 s30, exec_lo
                                        ; implicit-def: $sgpr14
	v_cmpx_eq_u16_e64 0x80, v160
; %bb.3377:                             ;   in Loop: Header=BB2_3046 Depth=3
	s_mov_b32 s14, 0x7f800001
	s_xor_b32 s3, exec_lo, -1
; %bb.3378:                             ;   in Loop: Header=BB2_3046 Depth=3
	s_or_b32 exec_lo, exec_lo, s30
	s_delay_alu instid0(SALU_CYCLE_1)
	s_and_b32 s3, s3, exec_lo
	s_or_saveexec_b32 s24, s24
	v_mov_b32_e32 v161, s14
	s_xor_b32 exec_lo, exec_lo, s24
	s_cbranch_execz .LBB2_3196
.LBB2_3379:                             ;   in Loop: Header=BB2_3046 Depth=3
	v_cmp_ne_u16_e64 s13, 0, v160
	v_mov_b32_e32 v161, 0
	s_and_not1_b32 s3, s3, exec_lo
	s_delay_alu instid0(VALU_DEP_2) | instskip(NEXT) | instid1(SALU_CYCLE_1)
	s_and_b32 s13, s13, exec_lo
	s_or_b32 s3, s3, s13
	s_or_b32 exec_lo, exec_lo, s24
	s_and_saveexec_b32 s14, s3
	s_cbranch_execnz .LBB2_3197
	s_branch .LBB2_3198
.LBB2_3380:                             ;   in Loop: Header=BB2_3046 Depth=3
	s_mov_b32 s3, -1
	s_mov_b32 s30, exec_lo
                                        ; implicit-def: $sgpr14
	v_cmpx_eq_u16_e64 0x80, v162
; %bb.3381:                             ;   in Loop: Header=BB2_3046 Depth=3
	s_mov_b32 s14, 0x7f800001
	s_xor_b32 s3, exec_lo, -1
; %bb.3382:                             ;   in Loop: Header=BB2_3046 Depth=3
	s_or_b32 exec_lo, exec_lo, s30
	s_delay_alu instid0(SALU_CYCLE_1)
	s_and_b32 s3, s3, exec_lo
                                        ; implicit-def: $vgpr162
	s_or_saveexec_b32 s24, s24
	v_mov_b32_e32 v160, s14
	s_xor_b32 exec_lo, exec_lo, s24
	s_cbranch_execz .LBB2_3208
.LBB2_3383:                             ;   in Loop: Header=BB2_3046 Depth=3
	v_cmp_ne_u16_e64 s13, 0, v162
	v_mov_b32_e32 v160, 0
	s_and_not1_b32 s3, s3, exec_lo
	s_delay_alu instid0(VALU_DEP_2) | instskip(NEXT) | instid1(SALU_CYCLE_1)
	s_and_b32 s13, s13, exec_lo
	s_or_b32 s3, s3, s13
	s_or_b32 exec_lo, exec_lo, s24
	s_and_saveexec_b32 s14, s3
	s_cbranch_execnz .LBB2_3209
	s_branch .LBB2_3210
.LBB2_3384:                             ;   in Loop: Header=BB2_3046 Depth=3
	s_mov_b32 s3, -1
	s_mov_b32 s30, exec_lo
                                        ; implicit-def: $sgpr14
	v_cmpx_eq_u16_e64 0x80, v163
; %bb.3385:                             ;   in Loop: Header=BB2_3046 Depth=3
	s_mov_b32 s14, 0x7f800001
	s_xor_b32 s3, exec_lo, -1
; %bb.3386:                             ;   in Loop: Header=BB2_3046 Depth=3
	s_or_b32 exec_lo, exec_lo, s30
	s_delay_alu instid0(SALU_CYCLE_1)
	s_and_b32 s3, s3, exec_lo
                                        ; implicit-def: $vgpr163
	s_or_saveexec_b32 s24, s24
	v_mov_b32_e32 v162, s14
	s_xor_b32 exec_lo, exec_lo, s24
	s_cbranch_execz .LBB2_3212
.LBB2_3387:                             ;   in Loop: Header=BB2_3046 Depth=3
	v_cmp_ne_u16_e64 s13, 0, v163
	v_mov_b32_e32 v162, 0
	s_and_not1_b32 s3, s3, exec_lo
	s_delay_alu instid0(VALU_DEP_2) | instskip(NEXT) | instid1(SALU_CYCLE_1)
	s_and_b32 s13, s13, exec_lo
	s_or_b32 s3, s3, s13
	s_or_b32 exec_lo, exec_lo, s24
	s_and_saveexec_b32 s14, s3
	s_cbranch_execnz .LBB2_3213
	s_branch .LBB2_3214
.LBB2_3388:                             ;   in Loop: Header=BB2_3046 Depth=3
	s_mov_b32 s3, -1
	s_mov_b32 s30, exec_lo
                                        ; implicit-def: $sgpr14
	v_cmpx_eq_u16_e64 0x80, v162
; %bb.3389:                             ;   in Loop: Header=BB2_3046 Depth=3
	s_mov_b32 s14, 0x7f800001
	s_xor_b32 s3, exec_lo, -1
; %bb.3390:                             ;   in Loop: Header=BB2_3046 Depth=3
	s_or_b32 exec_lo, exec_lo, s30
	s_delay_alu instid0(SALU_CYCLE_1)
	s_and_b32 s3, s3, exec_lo
	s_or_saveexec_b32 s24, s24
	v_mov_b32_e32 v161, s14
	s_xor_b32 exec_lo, exec_lo, s24
	s_cbranch_execz .LBB2_3224
.LBB2_3391:                             ;   in Loop: Header=BB2_3046 Depth=3
	v_cmp_ne_u16_e64 s13, 0, v162
	v_mov_b32_e32 v161, 0
	s_and_not1_b32 s3, s3, exec_lo
	s_delay_alu instid0(VALU_DEP_2) | instskip(NEXT) | instid1(SALU_CYCLE_1)
	s_and_b32 s13, s13, exec_lo
	s_or_b32 s3, s3, s13
	s_or_b32 exec_lo, exec_lo, s24
	s_and_saveexec_b32 s14, s3
	s_cbranch_execnz .LBB2_3225
	s_branch .LBB2_3226
.LBB2_3392:                             ;   in Loop: Header=BB2_3046 Depth=3
	s_mov_b32 s3, -1
	s_mov_b32 s30, exec_lo
                                        ; implicit-def: $sgpr14
	v_cmpx_eq_u16_e32 0x80, v14
; %bb.3393:                             ;   in Loop: Header=BB2_3046 Depth=3
	s_mov_b32 s14, 0x7f800001
	s_xor_b32 s3, exec_lo, -1
; %bb.3394:                             ;   in Loop: Header=BB2_3046 Depth=3
	s_or_b32 exec_lo, exec_lo, s30
	s_delay_alu instid0(SALU_CYCLE_1)
	s_and_b32 s3, s3, exec_lo
	s_or_saveexec_b32 s24, s24
	v_mov_b32_e32 v162, s14
	s_xor_b32 exec_lo, exec_lo, s24
	s_cbranch_execz .LBB2_3228
.LBB2_3395:                             ;   in Loop: Header=BB2_3046 Depth=3
	v_cmp_ne_u16_e64 s13, 0, v14
	v_mov_b32_e32 v162, 0
	s_and_not1_b32 s3, s3, exec_lo
	s_delay_alu instid0(VALU_DEP_2) | instskip(NEXT) | instid1(SALU_CYCLE_1)
	s_and_b32 s13, s13, exec_lo
	s_or_b32 s3, s3, s13
	s_or_b32 exec_lo, exec_lo, s24
	s_and_saveexec_b32 s14, s3
	s_cbranch_execnz .LBB2_3229
	s_branch .LBB2_3230
.LBB2_3396:                             ;   in Loop: Header=BB2_3046 Depth=3
	s_mov_b32 s3, -1
	s_mov_b32 s30, exec_lo
                                        ; implicit-def: $sgpr14
	v_cmpx_eq_u16_e64 0x80, v161
; %bb.3397:                             ;   in Loop: Header=BB2_3046 Depth=3
	s_mov_b32 s14, 0x7f800001
	s_xor_b32 s3, exec_lo, -1
; %bb.3398:                             ;   in Loop: Header=BB2_3046 Depth=3
	s_or_b32 exec_lo, exec_lo, s30
	s_delay_alu instid0(SALU_CYCLE_1)
	s_and_b32 s3, s3, exec_lo
                                        ; implicit-def: $vgpr161
	s_or_saveexec_b32 s24, s24
	v_mov_b32_e32 v14, s14
	s_xor_b32 exec_lo, exec_lo, s24
	s_cbranch_execz .LBB2_3240
.LBB2_3399:                             ;   in Loop: Header=BB2_3046 Depth=3
	v_cmp_ne_u16_e64 s13, 0, v161
	v_mov_b32_e32 v14, 0
	s_and_not1_b32 s3, s3, exec_lo
	s_delay_alu instid0(VALU_DEP_2) | instskip(NEXT) | instid1(SALU_CYCLE_1)
	s_and_b32 s13, s13, exec_lo
	s_or_b32 s3, s3, s13
	s_or_b32 exec_lo, exec_lo, s24
	s_and_saveexec_b32 s14, s3
	s_cbranch_execnz .LBB2_3241
	s_branch .LBB2_3242
.LBB2_3400:                             ;   in Loop: Header=BB2_3046 Depth=3
	s_mov_b32 s3, -1
	s_mov_b32 s30, exec_lo
                                        ; implicit-def: $sgpr14
	v_cmpx_eq_u16_e64 0x80, v162
; %bb.3401:                             ;   in Loop: Header=BB2_3046 Depth=3
	s_mov_b32 s14, 0x7f800001
	s_xor_b32 s3, exec_lo, -1
; %bb.3402:                             ;   in Loop: Header=BB2_3046 Depth=3
	s_or_b32 exec_lo, exec_lo, s30
	s_delay_alu instid0(SALU_CYCLE_1)
	s_and_b32 s3, s3, exec_lo
                                        ; implicit-def: $vgpr162
	s_or_saveexec_b32 s24, s24
	v_mov_b32_e32 v161, s14
	s_xor_b32 exec_lo, exec_lo, s24
	s_cbranch_execz .LBB2_3244
.LBB2_3403:                             ;   in Loop: Header=BB2_3046 Depth=3
	v_cmp_ne_u16_e64 s13, 0, v162
	v_mov_b32_e32 v161, 0
	s_and_not1_b32 s3, s3, exec_lo
	s_delay_alu instid0(VALU_DEP_2) | instskip(NEXT) | instid1(SALU_CYCLE_1)
	s_and_b32 s13, s13, exec_lo
	s_or_b32 s3, s3, s13
	s_or_b32 exec_lo, exec_lo, s24
	s_and_saveexec_b32 s14, s3
	s_cbranch_execnz .LBB2_3245
	s_branch .LBB2_3246
.LBB2_3404:                             ;   in Loop: Header=BB2_3046 Depth=3
	s_mov_b32 s3, -1
	s_mov_b32 s30, exec_lo
                                        ; implicit-def: $sgpr14
	v_cmpx_eq_u16_e64 0x80, v162
; %bb.3405:                             ;   in Loop: Header=BB2_3046 Depth=3
	s_mov_b32 s14, 0x7f800001
	s_xor_b32 s3, exec_lo, -1
; %bb.3406:                             ;   in Loop: Header=BB2_3046 Depth=3
	s_or_b32 exec_lo, exec_lo, s30
	s_delay_alu instid0(SALU_CYCLE_1)
	s_and_b32 s3, s3, exec_lo
	s_or_saveexec_b32 s24, s24
	v_mov_b32_e32 v161, s14
	s_xor_b32 exec_lo, exec_lo, s24
	s_cbranch_execz .LBB2_3256
.LBB2_3407:                             ;   in Loop: Header=BB2_3046 Depth=3
	v_cmp_ne_u16_e64 s13, 0, v162
	v_mov_b32_e32 v161, 0
	s_and_not1_b32 s3, s3, exec_lo
	s_delay_alu instid0(VALU_DEP_2) | instskip(NEXT) | instid1(SALU_CYCLE_1)
	s_and_b32 s13, s13, exec_lo
	s_or_b32 s3, s3, s13
	s_or_b32 exec_lo, exec_lo, s24
	s_and_saveexec_b32 s14, s3
	s_cbranch_execnz .LBB2_3257
	s_branch .LBB2_3258
.LBB2_3408:                             ;   in Loop: Header=BB2_3046 Depth=3
	s_mov_b32 s3, -1
	s_mov_b32 s30, exec_lo
                                        ; implicit-def: $sgpr14
	v_cmpx_eq_u16_e64 0x80, v162
; %bb.3409:                             ;   in Loop: Header=BB2_3046 Depth=3
	s_mov_b32 s14, 0x7f800001
	s_xor_b32 s3, exec_lo, -1
; %bb.3410:                             ;   in Loop: Header=BB2_3046 Depth=3
	s_or_b32 exec_lo, exec_lo, s30
	s_delay_alu instid0(SALU_CYCLE_1)
	s_and_b32 s3, s3, exec_lo
	s_or_saveexec_b32 s24, s24
	v_mov_b32_e32 v163, s14
	s_xor_b32 exec_lo, exec_lo, s24
	s_cbranch_execz .LBB2_3260
.LBB2_3411:                             ;   in Loop: Header=BB2_3046 Depth=3
	v_cmp_ne_u16_e64 s13, 0, v162
	v_mov_b32_e32 v163, 0
	s_and_not1_b32 s3, s3, exec_lo
	s_delay_alu instid0(VALU_DEP_2) | instskip(NEXT) | instid1(SALU_CYCLE_1)
	s_and_b32 s13, s13, exec_lo
	s_or_b32 s3, s3, s13
	s_or_b32 exec_lo, exec_lo, s24
	s_and_saveexec_b32 s14, s3
	s_cbranch_execnz .LBB2_3261
	s_branch .LBB2_3262
.LBB2_3412:                             ;   in Loop: Header=BB2_3046 Depth=3
	s_mov_b32 s3, -1
	s_mov_b32 s30, exec_lo
                                        ; implicit-def: $sgpr14
	v_cmpx_eq_u16_e64 0x80, v164
; %bb.3413:                             ;   in Loop: Header=BB2_3046 Depth=3
	s_mov_b32 s14, 0x7f800001
	s_xor_b32 s3, exec_lo, -1
; %bb.3414:                             ;   in Loop: Header=BB2_3046 Depth=3
	s_or_b32 exec_lo, exec_lo, s30
	s_delay_alu instid0(SALU_CYCLE_1)
	s_and_b32 s3, s3, exec_lo
                                        ; implicit-def: $vgpr164
	s_or_saveexec_b32 s24, s24
	v_mov_b32_e32 v162, s14
	s_xor_b32 exec_lo, exec_lo, s24
	s_cbranch_execz .LBB2_3272
.LBB2_3415:                             ;   in Loop: Header=BB2_3046 Depth=3
	v_cmp_ne_u16_e64 s13, 0, v164
	v_mov_b32_e32 v162, 0
	s_and_not1_b32 s3, s3, exec_lo
	s_delay_alu instid0(VALU_DEP_2) | instskip(NEXT) | instid1(SALU_CYCLE_1)
	s_and_b32 s13, s13, exec_lo
	s_or_b32 s3, s3, s13
	s_or_b32 exec_lo, exec_lo, s24
	s_and_saveexec_b32 s14, s3
	s_cbranch_execnz .LBB2_3273
	s_branch .LBB2_3274
.LBB2_3416:                             ;   in Loop: Header=BB2_3046 Depth=3
	s_mov_b32 s3, -1
	s_mov_b32 s30, exec_lo
                                        ; implicit-def: $sgpr14
	v_cmpx_eq_u16_e64 0x80, v165
; %bb.3417:                             ;   in Loop: Header=BB2_3046 Depth=3
	s_mov_b32 s14, 0x7f800001
	s_xor_b32 s3, exec_lo, -1
; %bb.3418:                             ;   in Loop: Header=BB2_3046 Depth=3
	s_or_b32 exec_lo, exec_lo, s30
	s_delay_alu instid0(SALU_CYCLE_1)
	s_and_b32 s3, s3, exec_lo
                                        ; implicit-def: $vgpr165
	s_or_saveexec_b32 s24, s24
	v_mov_b32_e32 v164, s14
	s_xor_b32 exec_lo, exec_lo, s24
	s_cbranch_execz .LBB2_3276
.LBB2_3419:                             ;   in Loop: Header=BB2_3046 Depth=3
	v_cmp_ne_u16_e64 s13, 0, v165
	v_mov_b32_e32 v164, 0
	s_and_not1_b32 s3, s3, exec_lo
	s_delay_alu instid0(VALU_DEP_2) | instskip(NEXT) | instid1(SALU_CYCLE_1)
	s_and_b32 s13, s13, exec_lo
	s_or_b32 s3, s3, s13
	s_or_b32 exec_lo, exec_lo, s24
	s_and_saveexec_b32 s14, s3
	s_cbranch_execnz .LBB2_3277
	s_branch .LBB2_3278
.LBB2_3420:                             ;   in Loop: Header=BB2_3046 Depth=3
	s_mov_b32 s3, -1
	s_mov_b32 s30, exec_lo
                                        ; implicit-def: $sgpr14
	v_cmpx_eq_u16_e64 0x80, v164
; %bb.3421:                             ;   in Loop: Header=BB2_3046 Depth=3
	s_mov_b32 s14, 0x7f800001
	s_xor_b32 s3, exec_lo, -1
; %bb.3422:                             ;   in Loop: Header=BB2_3046 Depth=3
	s_or_b32 exec_lo, exec_lo, s30
	s_delay_alu instid0(SALU_CYCLE_1)
	s_and_b32 s3, s3, exec_lo
	s_or_saveexec_b32 s24, s24
	v_mov_b32_e32 v163, s14
	s_xor_b32 exec_lo, exec_lo, s24
	s_cbranch_execz .LBB2_3288
.LBB2_3423:                             ;   in Loop: Header=BB2_3046 Depth=3
	v_cmp_ne_u16_e64 s13, 0, v164
	v_mov_b32_e32 v163, 0
	s_and_not1_b32 s3, s3, exec_lo
	s_delay_alu instid0(VALU_DEP_2) | instskip(NEXT) | instid1(SALU_CYCLE_1)
	s_and_b32 s13, s13, exec_lo
	s_or_b32 s3, s3, s13
	s_or_b32 exec_lo, exec_lo, s24
	s_and_saveexec_b32 s14, s3
	s_cbranch_execnz .LBB2_3289
	s_branch .LBB2_3290
.LBB2_3424:                             ;   in Loop: Header=BB2_3046 Depth=3
	s_mov_b32 s3, -1
	s_mov_b32 s30, exec_lo
                                        ; implicit-def: $sgpr14
	v_cmpx_eq_u16_e32 0x80, v15
; %bb.3425:                             ;   in Loop: Header=BB2_3046 Depth=3
	s_mov_b32 s14, 0x7f800001
	s_xor_b32 s3, exec_lo, -1
; %bb.3426:                             ;   in Loop: Header=BB2_3046 Depth=3
	s_or_b32 exec_lo, exec_lo, s30
	s_delay_alu instid0(SALU_CYCLE_1)
	s_and_b32 s3, s3, exec_lo
	s_or_saveexec_b32 s24, s24
	v_mov_b32_e32 v164, s14
	s_xor_b32 exec_lo, exec_lo, s24
	s_cbranch_execz .LBB2_3292
.LBB2_3427:                             ;   in Loop: Header=BB2_3046 Depth=3
	v_cmp_ne_u16_e64 s13, 0, v15
	v_mov_b32_e32 v164, 0
	s_and_not1_b32 s3, s3, exec_lo
	s_delay_alu instid0(VALU_DEP_2) | instskip(NEXT) | instid1(SALU_CYCLE_1)
	s_and_b32 s13, s13, exec_lo
	s_or_b32 s3, s3, s13
	s_or_b32 exec_lo, exec_lo, s24
	s_and_saveexec_b32 s14, s3
	s_cbranch_execnz .LBB2_3293
	s_branch .LBB2_3294
.LBB2_3428:                             ;   in Loop: Header=BB2_1542 Depth=2
	s_or_b32 exec_lo, exec_lo, s17
.LBB2_3429:                             ;   in Loop: Header=BB2_1542 Depth=2
	s_delay_alu instid0(SALU_CYCLE_1) | instskip(SKIP_3) | instid1(VALU_DEP_1)
	s_or_b32 exec_lo, exec_lo, s16
	v_dual_mov_b32 v14, 0 :: v_dual_and_b32 v9, 15, v70
	s_mov_b32 s3, 0
	s_mov_b32 s14, exec_lo
                                        ; implicit-def: $vgpr64
                                        ; implicit-def: $vgpr8
	v_cndmask_b32_e32 v15, v71, v9, vcc_lo
	s_delay_alu instid0(VALU_DEP_1)
	v_cmpx_ne_u32_e32 0, v15
; %bb.3430:                             ;   in Loop: Header=BB2_1542 Depth=2
	v_cmp_lt_i32_e64 s13, 0, v144
	v_sub_nc_u32_e32 v9, v71, v9
	s_mov_b32 s3, exec_lo
	s_delay_alu instid0(VALU_DEP_2) | instskip(NEXT) | instid1(VALU_DEP_1)
	v_cndmask_b32_e64 v8, 0, v83, s13
	v_sub_nc_u32_e32 v8, v8, v144
	s_delay_alu instid0(VALU_DEP_1) | instskip(NEXT) | instid1(VALU_DEP_1)
	v_lshl_add_u32 v64, v8, 5, v135
	v_ashrrev_i32_e32 v8, 31, v64
	s_delay_alu instid0(VALU_DEP_1) | instskip(NEXT) | instid1(VALU_DEP_1)
	v_lshrrev_b32_e32 v8, 27, v8
	v_dual_cndmask_b32 v9, 0, v9 :: v_dual_add_nc_u32 v8, v64, v8
	s_delay_alu instid0(VALU_DEP_1) | instskip(NEXT) | instid1(VALU_DEP_2)
	v_add3_u32 v14, v134, v2, v9
	v_ashrrev_i32_e32 v8, 5, v8
; %bb.3431:                             ;   in Loop: Header=BB2_1542 Depth=2
	s_or_b32 exec_lo, exec_lo, s14
	s_delay_alu instid0(SALU_CYCLE_1)
	s_and_b32 s3, s3, exec_lo
.LBB2_3432:                             ;   in Loop: Header=BB2_1542 Depth=2
	s_or_b32 exec_lo, exec_lo, s15
.LBB2_3433:                             ;   in Loop: Header=BB2_1542 Depth=2
	s_and_saveexec_b32 s14, s3
	s_cbranch_execz .LBB2_3661
; %bb.3434:                             ;   in Loop: Header=BB2_1542 Depth=2
	v_ashrrev_i32_e32 v2, 31, v15
	s_mov_b32 s15, exec_lo
	s_delay_alu instid0(VALU_DEP_1) | instskip(NEXT) | instid1(VALU_DEP_1)
	v_lshrrev_b32_e32 v2, 24, v2
	v_add_nc_u32_e32 v2, v15, v2
	s_delay_alu instid0(VALU_DEP_1) | instskip(NEXT) | instid1(VALU_DEP_1)
	v_ashrrev_i32_e32 v65, 8, v2
	v_sub_nc_u32_e32 v2, v65, v8
	s_delay_alu instid0(VALU_DEP_1)
	v_cmpx_lt_i32_e32 0, v2
	s_cbranch_execz .LBB2_3631
; %bb.3435:                             ;   in Loop: Header=BB2_1542 Depth=2
	s_cbranch_execnz .LBB2_4724
; %bb.3436:                             ;   in Loop: Header=BB2_1542 Depth=2
	v_ashrrev_i32_e32 v9, 31, v64
	ds_load_b64 v[66:67], v0
	v_lshlrev_b32_e32 v8, 8, v8
	s_mov_b32 s16, 0
	v_lshrrev_b32_e32 v9, 27, v9
	s_delay_alu instid0(VALU_DEP_1) | instskip(NEXT) | instid1(VALU_DEP_1)
	v_add_nc_u32_e32 v9, v64, v9
	v_and_b32_e32 v13, 0xffffffe0, v9
	ds_load_b128 v[9:12], v0
	v_sub_nc_u32_e32 v13, v64, v13
	s_waitcnt lgkmcnt(1)
	v_add_co_u32 v66, vcc_lo, 0xe0, v66
	v_add_co_ci_u32_e32 v67, vcc_lo, 0, v67, vcc_lo
	s_delay_alu instid0(VALU_DEP_3) | instskip(NEXT) | instid1(VALU_DEP_1)
	v_add3_u32 v13, v14, v13, v8
	v_ashrrev_i32_e32 v68, 31, v13
	s_waitcnt lgkmcnt(0)
	v_add_co_u32 v8, vcc_lo, v9, v13
	s_delay_alu instid0(VALU_DEP_2)
	v_add_co_ci_u32_e32 v9, vcc_lo, v10, v68, vcc_lo
	v_add_co_u32 v10, vcc_lo, v11, v13
	v_add_co_ci_u32_e32 v11, vcc_lo, v12, v68, vcc_lo
	v_add_co_u32 v12, vcc_lo, v66, v13
	v_add_co_ci_u32_e32 v13, vcc_lo, v67, v68, vcc_lo
	s_branch .LBB2_3440
.LBB2_3437:                             ;   in Loop: Header=BB2_3440 Depth=3
	s_or_b32 exec_lo, exec_lo, s13
	s_delay_alu instid0(VALU_DEP_1) | instskip(NEXT) | instid1(VALU_DEP_2)
	v_lshrrev_b32_e32 v70, 20, v70
	v_cmp_gt_i32_e32 vcc_lo, 16, v67
	v_lshrrev_b32_e32 v66, 24, v66
	v_min_i32_e32 v135, 15, v67
	s_delay_alu instid0(VALU_DEP_4) | instskip(NEXT) | instid1(VALU_DEP_3)
	v_cndmask_b32_e32 v70, 7, v70, vcc_lo
	v_and_b32_e32 v66, 0x80, v66
	s_delay_alu instid0(VALU_DEP_3) | instskip(NEXT) | instid1(VALU_DEP_3)
	v_lshlrev_b32_e32 v135, 3, v135
	v_and_b32_e32 v146, 7, v70
	v_or_b32_e32 v67, v67, v70
	s_delay_alu instid0(VALU_DEP_2) | instskip(NEXT) | instid1(VALU_DEP_2)
	v_or3_b32 v66, v135, v66, v146
	v_cmp_ne_u32_e32 vcc_lo, 0, v67
	s_delay_alu instid0(VALU_DEP_2)
	v_cndmask_b32_e32 v67, 0, v66, vcc_lo
.LBB2_3438:                             ;   in Loop: Header=BB2_3440 Depth=3
	s_or_b32 exec_lo, exec_lo, s17
.LBB2_3439:                             ;   in Loop: Header=BB2_3440 Depth=3
	s_delay_alu instid0(SALU_CYCLE_1)
	s_or_b32 exec_lo, exec_lo, s3
	v_add_co_u32 v148, vcc_lo, 0xffffff20, v12
	v_add_co_ci_u32_e32 v149, vcc_lo, -1, v13, vcc_lo
	v_add_co_u32 v150, vcc_lo, 0xffffff40, v12
	v_add_co_ci_u32_e32 v151, vcc_lo, -1, v13, vcc_lo
	v_add_co_u32 v70, vcc_lo, 0xffffff60, v12
	flat_store_b8 v[148:149], v68 glc slc dlc
	flat_store_b8 v[150:151], v71 glc slc dlc
	v_add_co_ci_u32_e32 v71, vcc_lo, -1, v13, vcc_lo
	v_add_co_u32 v148, vcc_lo, 0xffffff80, v12
	v_add_co_ci_u32_e32 v149, vcc_lo, -1, v13, vcc_lo
	v_add_co_u32 v150, vcc_lo, 0xffffffa0, v12
	;; [unrolled: 2-line block ×5, first 2 shown]
	v_sub_nc_u32_e32 v2, v2, v83
	v_add_co_ci_u32_e32 v9, vcc_lo, v9, v112, vcc_lo
	v_add_co_u32 v10, vcc_lo, v10, v103
	v_add_co_ci_u32_e32 v11, vcc_lo, v11, v112, vcc_lo
	flat_store_b8 v[70:71], v144 glc slc dlc
	flat_store_b8 v[148:149], v147 glc slc dlc
	;; [unrolled: 1-line block ×6, first 2 shown]
	v_cmp_gt_i32_e32 vcc_lo, 1, v2
	v_add_co_u32 v12, s13, v12, v103
	s_delay_alu instid0(VALU_DEP_1) | instskip(SKIP_1) | instid1(SALU_CYCLE_1)
	v_add_co_ci_u32_e64 v13, s13, v13, v112, s13
	s_or_b32 s16, vcc_lo, s16
	s_and_not1_b32 exec_lo, exec_lo, s16
	s_cbranch_execz .LBB2_3630
.LBB2_3440:                             ;   Parent Loop BB2_51 Depth=1
                                        ;     Parent Loop BB2_1542 Depth=2
                                        ; =>    This Inner Loop Header: Depth=3
	s_clause 0x7
	flat_load_u8 v160, v[8:9] slc dlc
	flat_load_u8 v150, v[8:9] offset:32 slc dlc
	flat_load_u8 v149, v[8:9] offset:64 slc dlc
	;; [unrolled: 1-line block ×7, first 2 shown]
	s_clause 0x7
	flat_load_u8 v68, v[10:11] slc dlc
	flat_load_u8 v71, v[10:11] offset:32 slc dlc
	flat_load_u8 v144, v[10:11] offset:64 slc dlc
	;; [unrolled: 1-line block ×7, first 2 shown]
	s_mov_b32 s3, 0
	s_mov_b32 s17, exec_lo
                                        ; implicit-def: $sgpr13
	s_waitcnt vmcnt(15) lgkmcnt(15)
	v_cmpx_lt_i16_e64 0x7f, v160
	s_xor_b32 s17, exec_lo, s17
	s_cbranch_execnz .LBB2_3566
; %bb.3441:                             ;   in Loop: Header=BB2_3440 Depth=3
	s_or_saveexec_b32 s17, s17
	v_mov_b32_e32 v151, s13
	s_xor_b32 exec_lo, exec_lo, s17
	s_cbranch_execnz .LBB2_3569
.LBB2_3442:                             ;   in Loop: Header=BB2_3440 Depth=3
	s_or_b32 exec_lo, exec_lo, s17
	s_and_saveexec_b32 s13, s3
	s_cbranch_execz .LBB2_3444
.LBB2_3443:                             ;   in Loop: Header=BB2_3440 Depth=3
	v_and_b32_e32 v151, 0xffff, v160
	s_delay_alu instid0(VALU_DEP_1) | instskip(NEXT) | instid1(VALU_DEP_1)
	v_and_b32_e32 v161, 7, v151
	v_clz_i32_u32_e32 v162, v161
	s_delay_alu instid0(VALU_DEP_1) | instskip(NEXT) | instid1(VALU_DEP_1)
	v_min_u32_e32 v162, 32, v162
	v_subrev_nc_u32_e32 v163, 28, v162
	v_sub_nc_u32_e32 v162, 29, v162
	s_delay_alu instid0(VALU_DEP_2) | instskip(SKIP_1) | instid1(VALU_DEP_2)
	v_lshlrev_b32_e32 v163, v163, v151
	v_bfe_u32 v151, v151, 3, 4
	v_and_b32_e32 v163, 7, v163
	s_delay_alu instid0(VALU_DEP_2) | instskip(SKIP_1) | instid1(VALU_DEP_1)
	v_cmp_eq_u32_e32 vcc_lo, 0, v151
	v_dual_cndmask_b32 v151, v151, v162 :: v_dual_lshlrev_b32 v160, 24, v160
	v_dual_cndmask_b32 v161, v161, v163 :: v_dual_and_b32 v160, 0x80000000, v160
	s_delay_alu instid0(VALU_DEP_2) | instskip(NEXT) | instid1(VALU_DEP_2)
	v_lshl_add_u32 v151, v151, 23, 0x3b800000
	v_lshlrev_b32_e32 v161, 20, v161
	s_delay_alu instid0(VALU_DEP_1)
	v_or3_b32 v151, v160, v151, v161
.LBB2_3444:                             ;   in Loop: Header=BB2_3440 Depth=3
	s_or_b32 exec_lo, exec_lo, s13
	s_waitcnt vmcnt(7) lgkmcnt(7)
	v_and_b32_e32 v161, 0xff, v68
	s_mov_b32 s3, 0
	s_mov_b32 s17, exec_lo
                                        ; implicit-def: $sgpr13
	s_delay_alu instid0(VALU_DEP_1)
	v_cmpx_lt_i16_e64 0x7f, v161
	s_xor_b32 s17, exec_lo, s17
	s_cbranch_execnz .LBB2_3570
; %bb.3445:                             ;   in Loop: Header=BB2_3440 Depth=3
	s_or_saveexec_b32 s17, s17
	v_mov_b32_e32 v160, s13
	s_xor_b32 exec_lo, exec_lo, s17
	s_cbranch_execnz .LBB2_3573
.LBB2_3446:                             ;   in Loop: Header=BB2_3440 Depth=3
	s_or_b32 exec_lo, exec_lo, s17
	s_and_saveexec_b32 s13, s3
	s_cbranch_execz .LBB2_3448
.LBB2_3447:                             ;   in Loop: Header=BB2_3440 Depth=3
	v_lshrrev_b16 v163, 3, v68
	s_delay_alu instid0(VALU_DEP_1) | instskip(NEXT) | instid1(VALU_DEP_1)
	v_and_b32_e32 v163, 15, v163
	v_cmp_eq_u32_e32 vcc_lo, 0, v163
	v_and_b32_e32 v160, 7, v68
	s_delay_alu instid0(VALU_DEP_1) | instskip(NEXT) | instid1(VALU_DEP_1)
	v_clz_i32_u32_e32 v161, v160
	v_min_u32_e32 v161, 32, v161
	s_delay_alu instid0(VALU_DEP_1) | instskip(SKIP_1) | instid1(VALU_DEP_1)
	v_subrev_nc_u32_e32 v162, 28, v161
	v_sub_nc_u32_e32 v161, 29, v161
	v_dual_cndmask_b32 v161, v163, v161 :: v_dual_lshlrev_b32 v162, v162, v68
	v_lshlrev_b32_e32 v68, 24, v68
	s_delay_alu instid0(VALU_DEP_2) | instskip(NEXT) | instid1(VALU_DEP_3)
	v_and_b32_e32 v162, 7, v162
	v_lshl_add_u32 v161, v161, 23, 0x3b800000
	s_delay_alu instid0(VALU_DEP_3) | instskip(NEXT) | instid1(VALU_DEP_3)
	v_and_b32_e32 v68, 0x80000000, v68
	v_cndmask_b32_e32 v160, v160, v162, vcc_lo
	s_delay_alu instid0(VALU_DEP_1) | instskip(NEXT) | instid1(VALU_DEP_1)
	v_lshlrev_b32_e32 v160, 20, v160
	v_or3_b32 v160, v68, v161, v160
.LBB2_3448:                             ;   in Loop: Header=BB2_3440 Depth=3
	s_or_b32 exec_lo, exec_lo, s13
	s_delay_alu instid0(VALU_DEP_1) | instskip(NEXT) | instid1(VALU_DEP_1)
	v_add_f32_e32 v151, v151, v160
	v_and_b32_e32 v68, 0x7f800000, v151
	s_delay_alu instid0(VALU_DEP_1)
	v_cmp_ne_u32_e32 vcc_lo, 0x7f800000, v68
	v_mov_b32_e32 v68, 0x80
	s_and_saveexec_b32 s3, vcc_lo
	s_cbranch_execz .LBB2_3456
; %bb.3449:                             ;   in Loop: Header=BB2_3440 Depth=3
	v_mov_b32_e32 v68, 0
	s_mov_b32 s17, exec_lo
	v_cmpx_ne_u32_e32 0, v151
	s_cbranch_execz .LBB2_3455
; %bb.3450:                             ;   in Loop: Header=BB2_3440 Depth=3
	v_bfe_u32 v68, v151, 23, 8
	s_delay_alu instid0(VALU_DEP_1) | instskip(SKIP_1) | instid1(VALU_DEP_2)
	v_sub_nc_u32_e32 v161, 0x78, v68
	v_cmp_gt_u32_e32 vcc_lo, 0x79, v68
	v_dual_cndmask_b32 v161, 0, v161 :: v_dual_and_b32 v160, 0x7fffff, v151
	s_delay_alu instid0(VALU_DEP_1) | instskip(SKIP_2) | instid1(VALU_DEP_4)
	v_or_b32_e32 v162, 0x800000, v160
	v_cmp_eq_u32_e32 vcc_lo, 0, v68
	v_add_nc_u32_e32 v68, 0xffffff89, v68
	v_cndmask_b32_e64 v161, v161, 0x77, vcc_lo
	s_delay_alu instid0(VALU_DEP_4) | instskip(NEXT) | instid1(VALU_DEP_3)
	v_cndmask_b32_e32 v160, v162, v160, vcc_lo
	v_cndmask_b32_e64 v68, v68, 0xffffff8a, vcc_lo
	s_delay_alu instid0(VALU_DEP_3) | instskip(NEXT) | instid1(VALU_DEP_3)
	v_lshl_add_u32 v162, 0x100000, v161, -1
	v_lshrrev_b32_e32 v163, v161, v160
	v_lshlrev_b32_e64 v165, v161, 0x80000
	s_delay_alu instid0(VALU_DEP_4) | instskip(NEXT) | instid1(VALU_DEP_4)
	v_add_nc_u32_e32 v161, v161, v68
	v_and_b32_e32 v160, v162, v160
	s_delay_alu instid0(VALU_DEP_4) | instskip(NEXT) | instid1(VALU_DEP_2)
	v_bfe_u32 v164, v163, 20, 1
	v_cmp_eq_u32_e64 s13, v160, v165
	s_delay_alu instid0(VALU_DEP_2) | instskip(NEXT) | instid1(VALU_DEP_1)
	v_add_nc_u32_e32 v162, -1, v164
	v_cndmask_b32_e64 v160, 0, v162, s13
	v_lshrrev_b32_e32 v162, 23, v163
	s_mov_b32 s13, exec_lo
	s_delay_alu instid0(VALU_DEP_2) | instskip(NEXT) | instid1(VALU_DEP_2)
	v_add_nc_u32_e32 v160, v160, v163
	v_xor_b32_e32 v162, 1, v162
	s_delay_alu instid0(VALU_DEP_2) | instskip(NEXT) | instid1(VALU_DEP_1)
	v_and_b32_e32 v68, 0xfffff, v160
	v_add_nc_u32_e32 v160, v68, v163
                                        ; implicit-def: $vgpr68
	s_delay_alu instid0(VALU_DEP_3)
	v_cmpx_ne_u32_e64 v161, v162
	s_xor_b32 s13, exec_lo, s13
; %bb.3451:                             ;   in Loop: Header=BB2_3440 Depth=3
	s_delay_alu instid0(VALU_DEP_2) | instskip(SKIP_2) | instid1(VALU_DEP_2)
	v_cmp_lt_u32_e32 vcc_lo, 0xffffff, v160
	v_sub_nc_u32_e32 v68, v161, v162
	v_cndmask_b32_e64 v161, 0, 1, vcc_lo
	v_add_co_ci_u32_e32 v68, vcc_lo, 0, v68, vcc_lo
	s_delay_alu instid0(VALU_DEP_2)
	v_lshrrev_b32_e32 v160, v161, v160
; %bb.3452:                             ;   in Loop: Header=BB2_3440 Depth=3
	s_and_not1_saveexec_b32 s13, s13
; %bb.3453:                             ;   in Loop: Header=BB2_3440 Depth=3
	s_delay_alu instid0(VALU_DEP_1)
	v_bfe_u32 v68, v160, 23, 1
; %bb.3454:                             ;   in Loop: Header=BB2_3440 Depth=3
	s_or_b32 exec_lo, exec_lo, s13
	v_lshrrev_b32_e32 v160, 20, v160
	s_delay_alu instid0(VALU_DEP_2) | instskip(SKIP_2) | instid1(VALU_DEP_2)
	v_cmp_gt_i32_e32 vcc_lo, 16, v68
	v_lshrrev_b32_e32 v151, 24, v151
	v_min_i32_e32 v161, 15, v68
	v_dual_cndmask_b32 v160, 7, v160 :: v_dual_and_b32 v151, 0x80, v151
	s_delay_alu instid0(VALU_DEP_1) | instskip(SKIP_1) | instid1(VALU_DEP_2)
	v_or_b32_e32 v68, v68, v160
	v_and_b32_e32 v162, 7, v160
	v_cmp_ne_u32_e32 vcc_lo, 0, v68
	v_lshlrev_b32_e32 v161, 3, v161
	s_delay_alu instid0(VALU_DEP_1) | instskip(NEXT) | instid1(VALU_DEP_1)
	v_or3_b32 v151, v161, v151, v162
	v_cndmask_b32_e32 v68, 0, v151, vcc_lo
.LBB2_3455:                             ;   in Loop: Header=BB2_3440 Depth=3
	s_or_b32 exec_lo, exec_lo, s17
.LBB2_3456:                             ;   in Loop: Header=BB2_3440 Depth=3
	s_delay_alu instid0(SALU_CYCLE_1) | instskip(SKIP_3) | instid1(VALU_DEP_1)
	s_or_b32 exec_lo, exec_lo, s3
	v_and_b32_e32 v160, 0xff, v150
	s_mov_b32 s3, 0
	s_mov_b32 s17, exec_lo
                                        ; implicit-def: $sgpr13
	v_cmpx_lt_i16_e64 0x7f, v160
	s_xor_b32 s17, exec_lo, s17
	s_cbranch_execnz .LBB2_3574
; %bb.3457:                             ;   in Loop: Header=BB2_3440 Depth=3
	s_or_saveexec_b32 s17, s17
	v_mov_b32_e32 v151, s13
	s_xor_b32 exec_lo, exec_lo, s17
	s_cbranch_execnz .LBB2_3577
.LBB2_3458:                             ;   in Loop: Header=BB2_3440 Depth=3
	s_or_b32 exec_lo, exec_lo, s17
	s_and_saveexec_b32 s13, s3
	s_cbranch_execz .LBB2_3460
.LBB2_3459:                             ;   in Loop: Header=BB2_3440 Depth=3
	v_lshrrev_b16 v162, 3, v150
	s_delay_alu instid0(VALU_DEP_1) | instskip(NEXT) | instid1(VALU_DEP_1)
	v_and_b32_e32 v162, 15, v162
	v_cmp_eq_u32_e32 vcc_lo, 0, v162
	v_and_b32_e32 v151, 7, v150
	s_delay_alu instid0(VALU_DEP_1) | instskip(NEXT) | instid1(VALU_DEP_1)
	v_clz_i32_u32_e32 v160, v151
	v_min_u32_e32 v160, 32, v160
	s_delay_alu instid0(VALU_DEP_1) | instskip(SKIP_1) | instid1(VALU_DEP_1)
	v_subrev_nc_u32_e32 v161, 28, v160
	v_sub_nc_u32_e32 v160, 29, v160
	v_dual_cndmask_b32 v160, v162, v160 :: v_dual_lshlrev_b32 v161, v161, v150
	v_lshlrev_b32_e32 v150, 24, v150
	s_delay_alu instid0(VALU_DEP_2) | instskip(NEXT) | instid1(VALU_DEP_3)
	v_and_b32_e32 v161, 7, v161
	v_lshl_add_u32 v160, v160, 23, 0x3b800000
	s_delay_alu instid0(VALU_DEP_2) | instskip(NEXT) | instid1(VALU_DEP_1)
	v_dual_cndmask_b32 v151, v151, v161 :: v_dual_and_b32 v150, 0x80000000, v150
	v_lshlrev_b32_e32 v151, 20, v151
	s_delay_alu instid0(VALU_DEP_1)
	v_or3_b32 v151, v150, v160, v151
.LBB2_3460:                             ;   in Loop: Header=BB2_3440 Depth=3
	s_or_b32 exec_lo, exec_lo, s13
	s_waitcnt vmcnt(6) lgkmcnt(6)
	v_and_b32_e32 v160, 0xff, v71
	s_mov_b32 s3, 0
	s_mov_b32 s17, exec_lo
                                        ; implicit-def: $sgpr13
	s_delay_alu instid0(VALU_DEP_1)
	v_cmpx_lt_i16_e64 0x7f, v160
	s_xor_b32 s17, exec_lo, s17
	s_cbranch_execnz .LBB2_3578
; %bb.3461:                             ;   in Loop: Header=BB2_3440 Depth=3
	s_or_saveexec_b32 s17, s17
	v_mov_b32_e32 v150, s13
	s_xor_b32 exec_lo, exec_lo, s17
	s_cbranch_execnz .LBB2_3581
.LBB2_3462:                             ;   in Loop: Header=BB2_3440 Depth=3
	s_or_b32 exec_lo, exec_lo, s17
	s_and_saveexec_b32 s13, s3
	s_cbranch_execz .LBB2_3464
.LBB2_3463:                             ;   in Loop: Header=BB2_3440 Depth=3
	v_and_b32_e32 v150, 7, v71
	v_lshrrev_b16 v162, 3, v71
	s_delay_alu instid0(VALU_DEP_2) | instskip(NEXT) | instid1(VALU_DEP_2)
	v_clz_i32_u32_e32 v160, v150
	v_and_b32_e32 v162, 15, v162
	s_delay_alu instid0(VALU_DEP_2) | instskip(NEXT) | instid1(VALU_DEP_2)
	v_min_u32_e32 v160, 32, v160
	v_cmp_eq_u32_e32 vcc_lo, 0, v162
	s_delay_alu instid0(VALU_DEP_2) | instskip(SKIP_1) | instid1(VALU_DEP_1)
	v_subrev_nc_u32_e32 v161, 28, v160
	v_sub_nc_u32_e32 v160, 29, v160
	v_dual_cndmask_b32 v160, v162, v160 :: v_dual_lshlrev_b32 v161, v161, v71
	s_delay_alu instid0(VALU_DEP_1) | instskip(SKIP_1) | instid1(VALU_DEP_3)
	v_and_b32_e32 v161, 7, v161
	v_lshlrev_b32_e32 v71, 24, v71
	v_lshl_add_u32 v160, v160, 23, 0x3b800000
	s_delay_alu instid0(VALU_DEP_2) | instskip(NEXT) | instid1(VALU_DEP_1)
	v_dual_cndmask_b32 v150, v150, v161 :: v_dual_and_b32 v71, 0x80000000, v71
	v_lshlrev_b32_e32 v150, 20, v150
	s_delay_alu instid0(VALU_DEP_1)
	v_or3_b32 v150, v71, v160, v150
.LBB2_3464:                             ;   in Loop: Header=BB2_3440 Depth=3
	s_or_b32 exec_lo, exec_lo, s13
	s_delay_alu instid0(VALU_DEP_1) | instskip(NEXT) | instid1(VALU_DEP_1)
	v_add_f32_e32 v150, v151, v150
	v_and_b32_e32 v71, 0x7f800000, v150
	s_delay_alu instid0(VALU_DEP_1)
	v_cmp_ne_u32_e32 vcc_lo, 0x7f800000, v71
	v_mov_b32_e32 v71, 0x80
	s_and_saveexec_b32 s3, vcc_lo
	s_cbranch_execz .LBB2_3472
; %bb.3465:                             ;   in Loop: Header=BB2_3440 Depth=3
	v_mov_b32_e32 v71, 0
	s_mov_b32 s17, exec_lo
	v_cmpx_ne_u32_e32 0, v150
	s_cbranch_execz .LBB2_3471
; %bb.3466:                             ;   in Loop: Header=BB2_3440 Depth=3
	v_bfe_u32 v71, v150, 23, 8
	s_delay_alu instid0(VALU_DEP_1) | instskip(SKIP_1) | instid1(VALU_DEP_2)
	v_sub_nc_u32_e32 v160, 0x78, v71
	v_cmp_gt_u32_e32 vcc_lo, 0x79, v71
	v_dual_cndmask_b32 v160, 0, v160 :: v_dual_and_b32 v151, 0x7fffff, v150
	s_delay_alu instid0(VALU_DEP_1) | instskip(SKIP_2) | instid1(VALU_DEP_4)
	v_or_b32_e32 v161, 0x800000, v151
	v_cmp_eq_u32_e32 vcc_lo, 0, v71
	v_add_nc_u32_e32 v71, 0xffffff89, v71
	v_cndmask_b32_e64 v160, v160, 0x77, vcc_lo
	s_delay_alu instid0(VALU_DEP_4) | instskip(NEXT) | instid1(VALU_DEP_3)
	v_cndmask_b32_e32 v151, v161, v151, vcc_lo
	v_cndmask_b32_e64 v71, v71, 0xffffff8a, vcc_lo
	s_delay_alu instid0(VALU_DEP_3) | instskip(NEXT) | instid1(VALU_DEP_3)
	v_lshl_add_u32 v161, 0x100000, v160, -1
	v_lshrrev_b32_e32 v162, v160, v151
	v_lshlrev_b32_e64 v164, v160, 0x80000
	s_delay_alu instid0(VALU_DEP_4) | instskip(NEXT) | instid1(VALU_DEP_4)
	v_add_nc_u32_e32 v160, v160, v71
	v_and_b32_e32 v151, v161, v151
	s_delay_alu instid0(VALU_DEP_4) | instskip(NEXT) | instid1(VALU_DEP_2)
	v_bfe_u32 v163, v162, 20, 1
	v_cmp_eq_u32_e64 s13, v151, v164
	s_delay_alu instid0(VALU_DEP_2) | instskip(NEXT) | instid1(VALU_DEP_1)
	v_add_nc_u32_e32 v161, -1, v163
	v_cndmask_b32_e64 v151, 0, v161, s13
	v_lshrrev_b32_e32 v161, 23, v162
	s_mov_b32 s13, exec_lo
	s_delay_alu instid0(VALU_DEP_2) | instskip(NEXT) | instid1(VALU_DEP_2)
	v_add_nc_u32_e32 v151, v151, v162
	v_xor_b32_e32 v161, 1, v161
	s_delay_alu instid0(VALU_DEP_2) | instskip(NEXT) | instid1(VALU_DEP_1)
	v_and_b32_e32 v71, 0xfffff, v151
	v_add_nc_u32_e32 v151, v71, v162
                                        ; implicit-def: $vgpr71
	s_delay_alu instid0(VALU_DEP_3)
	v_cmpx_ne_u32_e64 v160, v161
	s_xor_b32 s13, exec_lo, s13
; %bb.3467:                             ;   in Loop: Header=BB2_3440 Depth=3
	s_delay_alu instid0(VALU_DEP_2) | instskip(SKIP_2) | instid1(VALU_DEP_2)
	v_cmp_lt_u32_e32 vcc_lo, 0xffffff, v151
	v_sub_nc_u32_e32 v71, v160, v161
	v_cndmask_b32_e64 v160, 0, 1, vcc_lo
	v_add_co_ci_u32_e32 v71, vcc_lo, 0, v71, vcc_lo
	s_delay_alu instid0(VALU_DEP_2)
	v_lshrrev_b32_e32 v151, v160, v151
; %bb.3468:                             ;   in Loop: Header=BB2_3440 Depth=3
	s_and_not1_saveexec_b32 s13, s13
; %bb.3469:                             ;   in Loop: Header=BB2_3440 Depth=3
	s_delay_alu instid0(VALU_DEP_1)
	v_bfe_u32 v71, v151, 23, 1
; %bb.3470:                             ;   in Loop: Header=BB2_3440 Depth=3
	s_or_b32 exec_lo, exec_lo, s13
	v_lshrrev_b32_e32 v151, 20, v151
	s_delay_alu instid0(VALU_DEP_2) | instskip(SKIP_2) | instid1(VALU_DEP_2)
	v_cmp_gt_i32_e32 vcc_lo, 16, v71
	v_lshrrev_b32_e32 v150, 24, v150
	v_min_i32_e32 v160, 15, v71
	v_dual_cndmask_b32 v151, 7, v151 :: v_dual_and_b32 v150, 0x80, v150
	s_delay_alu instid0(VALU_DEP_1) | instskip(SKIP_1) | instid1(VALU_DEP_2)
	v_or_b32_e32 v71, v71, v151
	v_and_b32_e32 v161, 7, v151
	v_cmp_ne_u32_e32 vcc_lo, 0, v71
	v_lshlrev_b32_e32 v160, 3, v160
	s_delay_alu instid0(VALU_DEP_1) | instskip(NEXT) | instid1(VALU_DEP_1)
	v_or3_b32 v150, v160, v150, v161
	v_cndmask_b32_e32 v71, 0, v150, vcc_lo
.LBB2_3471:                             ;   in Loop: Header=BB2_3440 Depth=3
	s_or_b32 exec_lo, exec_lo, s17
.LBB2_3472:                             ;   in Loop: Header=BB2_3440 Depth=3
	s_delay_alu instid0(SALU_CYCLE_1) | instskip(SKIP_3) | instid1(VALU_DEP_1)
	s_or_b32 exec_lo, exec_lo, s3
	v_and_b32_e32 v151, 0xff, v149
	s_mov_b32 s3, 0
	s_mov_b32 s17, exec_lo
                                        ; implicit-def: $sgpr13
	v_cmpx_lt_i16_e64 0x7f, v151
	s_xor_b32 s17, exec_lo, s17
	s_cbranch_execnz .LBB2_3582
; %bb.3473:                             ;   in Loop: Header=BB2_3440 Depth=3
	s_or_saveexec_b32 s17, s17
	v_mov_b32_e32 v150, s13
	s_xor_b32 exec_lo, exec_lo, s17
	s_cbranch_execnz .LBB2_3585
.LBB2_3474:                             ;   in Loop: Header=BB2_3440 Depth=3
	s_or_b32 exec_lo, exec_lo, s17
	s_and_saveexec_b32 s13, s3
	s_cbranch_execz .LBB2_3476
.LBB2_3475:                             ;   in Loop: Header=BB2_3440 Depth=3
	v_lshrrev_b16 v161, 3, v149
	s_delay_alu instid0(VALU_DEP_1) | instskip(NEXT) | instid1(VALU_DEP_1)
	v_and_b32_e32 v161, 15, v161
	v_cmp_eq_u32_e32 vcc_lo, 0, v161
	v_and_b32_e32 v150, 7, v149
	s_delay_alu instid0(VALU_DEP_1) | instskip(NEXT) | instid1(VALU_DEP_1)
	v_clz_i32_u32_e32 v151, v150
	v_min_u32_e32 v151, 32, v151
	s_delay_alu instid0(VALU_DEP_1) | instskip(SKIP_1) | instid1(VALU_DEP_1)
	v_subrev_nc_u32_e32 v160, 28, v151
	v_sub_nc_u32_e32 v151, 29, v151
	v_dual_cndmask_b32 v151, v161, v151 :: v_dual_lshlrev_b32 v160, v160, v149
	v_lshlrev_b32_e32 v149, 24, v149
	s_delay_alu instid0(VALU_DEP_2) | instskip(NEXT) | instid1(VALU_DEP_3)
	v_and_b32_e32 v160, 7, v160
	v_lshl_add_u32 v151, v151, 23, 0x3b800000
	s_delay_alu instid0(VALU_DEP_2) | instskip(NEXT) | instid1(VALU_DEP_1)
	v_dual_cndmask_b32 v150, v150, v160 :: v_dual_and_b32 v149, 0x80000000, v149
	v_lshlrev_b32_e32 v150, 20, v150
	s_delay_alu instid0(VALU_DEP_1)
	v_or3_b32 v150, v149, v151, v150
.LBB2_3476:                             ;   in Loop: Header=BB2_3440 Depth=3
	s_or_b32 exec_lo, exec_lo, s13
	s_waitcnt vmcnt(5) lgkmcnt(5)
	v_and_b32_e32 v151, 0xff, v144
	s_mov_b32 s3, 0
	s_mov_b32 s17, exec_lo
                                        ; implicit-def: $sgpr13
	s_delay_alu instid0(VALU_DEP_1)
	v_cmpx_lt_i16_e64 0x7f, v151
	s_xor_b32 s17, exec_lo, s17
	s_cbranch_execnz .LBB2_3586
; %bb.3477:                             ;   in Loop: Header=BB2_3440 Depth=3
	s_or_saveexec_b32 s17, s17
	v_mov_b32_e32 v149, s13
	s_xor_b32 exec_lo, exec_lo, s17
	s_cbranch_execnz .LBB2_3589
.LBB2_3478:                             ;   in Loop: Header=BB2_3440 Depth=3
	s_or_b32 exec_lo, exec_lo, s17
	s_and_saveexec_b32 s13, s3
	s_cbranch_execz .LBB2_3480
.LBB2_3479:                             ;   in Loop: Header=BB2_3440 Depth=3
	v_and_b32_e32 v149, 7, v144
	v_lshrrev_b16 v161, 3, v144
	s_delay_alu instid0(VALU_DEP_2) | instskip(NEXT) | instid1(VALU_DEP_2)
	v_clz_i32_u32_e32 v151, v149
	v_and_b32_e32 v161, 15, v161
	s_delay_alu instid0(VALU_DEP_2) | instskip(NEXT) | instid1(VALU_DEP_2)
	v_min_u32_e32 v151, 32, v151
	v_cmp_eq_u32_e32 vcc_lo, 0, v161
	s_delay_alu instid0(VALU_DEP_2) | instskip(SKIP_1) | instid1(VALU_DEP_1)
	v_subrev_nc_u32_e32 v160, 28, v151
	v_sub_nc_u32_e32 v151, 29, v151
	v_dual_cndmask_b32 v151, v161, v151 :: v_dual_lshlrev_b32 v160, v160, v144
	v_lshlrev_b32_e32 v144, 24, v144
	s_delay_alu instid0(VALU_DEP_2) | instskip(NEXT) | instid1(VALU_DEP_3)
	v_and_b32_e32 v160, 7, v160
	v_lshl_add_u32 v151, v151, 23, 0x3b800000
	s_delay_alu instid0(VALU_DEP_3) | instskip(NEXT) | instid1(VALU_DEP_3)
	v_and_b32_e32 v144, 0x80000000, v144
	v_cndmask_b32_e32 v149, v149, v160, vcc_lo
	s_delay_alu instid0(VALU_DEP_1) | instskip(NEXT) | instid1(VALU_DEP_1)
	v_lshlrev_b32_e32 v149, 20, v149
	v_or3_b32 v149, v144, v151, v149
.LBB2_3480:                             ;   in Loop: Header=BB2_3440 Depth=3
	s_or_b32 exec_lo, exec_lo, s13
	s_delay_alu instid0(VALU_DEP_1) | instskip(NEXT) | instid1(VALU_DEP_1)
	v_add_f32_e32 v149, v150, v149
	v_and_b32_e32 v144, 0x7f800000, v149
	s_delay_alu instid0(VALU_DEP_1)
	v_cmp_ne_u32_e32 vcc_lo, 0x7f800000, v144
	v_mov_b32_e32 v144, 0x80
	s_and_saveexec_b32 s3, vcc_lo
	s_cbranch_execz .LBB2_3488
; %bb.3481:                             ;   in Loop: Header=BB2_3440 Depth=3
	v_mov_b32_e32 v144, 0
	s_mov_b32 s17, exec_lo
	v_cmpx_ne_u32_e32 0, v149
	s_cbranch_execz .LBB2_3487
; %bb.3482:                             ;   in Loop: Header=BB2_3440 Depth=3
	v_bfe_u32 v144, v149, 23, 8
	s_delay_alu instid0(VALU_DEP_1) | instskip(SKIP_1) | instid1(VALU_DEP_2)
	v_sub_nc_u32_e32 v151, 0x78, v144
	v_cmp_gt_u32_e32 vcc_lo, 0x79, v144
	v_dual_cndmask_b32 v151, 0, v151 :: v_dual_and_b32 v150, 0x7fffff, v149
	s_delay_alu instid0(VALU_DEP_1) | instskip(SKIP_2) | instid1(VALU_DEP_4)
	v_or_b32_e32 v160, 0x800000, v150
	v_cmp_eq_u32_e32 vcc_lo, 0, v144
	v_add_nc_u32_e32 v144, 0xffffff89, v144
	v_cndmask_b32_e64 v151, v151, 0x77, vcc_lo
	s_delay_alu instid0(VALU_DEP_2) | instskip(SKIP_1) | instid1(VALU_DEP_3)
	v_cndmask_b32_e64 v144, v144, 0xffffff8a, vcc_lo
	v_cndmask_b32_e32 v150, v160, v150, vcc_lo
	v_lshl_add_u32 v160, 0x100000, v151, -1
	v_lshlrev_b32_e64 v163, v151, 0x80000
	s_delay_alu instid0(VALU_DEP_3) | instskip(SKIP_1) | instid1(VALU_DEP_4)
	v_lshrrev_b32_e32 v161, v151, v150
	v_add_nc_u32_e32 v151, v151, v144
	v_and_b32_e32 v150, v160, v150
	s_delay_alu instid0(VALU_DEP_3) | instskip(NEXT) | instid1(VALU_DEP_2)
	v_bfe_u32 v162, v161, 20, 1
	v_cmp_eq_u32_e64 s13, v150, v163
	s_delay_alu instid0(VALU_DEP_2) | instskip(NEXT) | instid1(VALU_DEP_1)
	v_add_nc_u32_e32 v160, -1, v162
	v_cndmask_b32_e64 v150, 0, v160, s13
	v_lshrrev_b32_e32 v160, 23, v161
	s_mov_b32 s13, exec_lo
	s_delay_alu instid0(VALU_DEP_2) | instskip(NEXT) | instid1(VALU_DEP_2)
	v_add_nc_u32_e32 v150, v150, v161
	v_xor_b32_e32 v160, 1, v160
	s_delay_alu instid0(VALU_DEP_2) | instskip(NEXT) | instid1(VALU_DEP_1)
	v_and_b32_e32 v144, 0xfffff, v150
	v_add_nc_u32_e32 v150, v144, v161
                                        ; implicit-def: $vgpr144
	s_delay_alu instid0(VALU_DEP_3)
	v_cmpx_ne_u32_e64 v151, v160
	s_xor_b32 s13, exec_lo, s13
; %bb.3483:                             ;   in Loop: Header=BB2_3440 Depth=3
	s_delay_alu instid0(VALU_DEP_2) | instskip(SKIP_2) | instid1(VALU_DEP_2)
	v_cmp_lt_u32_e32 vcc_lo, 0xffffff, v150
	v_sub_nc_u32_e32 v144, v151, v160
	v_cndmask_b32_e64 v151, 0, 1, vcc_lo
	v_add_co_ci_u32_e32 v144, vcc_lo, 0, v144, vcc_lo
	s_delay_alu instid0(VALU_DEP_2)
	v_lshrrev_b32_e32 v150, v151, v150
; %bb.3484:                             ;   in Loop: Header=BB2_3440 Depth=3
	s_and_not1_saveexec_b32 s13, s13
; %bb.3485:                             ;   in Loop: Header=BB2_3440 Depth=3
	s_delay_alu instid0(VALU_DEP_1)
	v_bfe_u32 v144, v150, 23, 1
; %bb.3486:                             ;   in Loop: Header=BB2_3440 Depth=3
	s_or_b32 exec_lo, exec_lo, s13
	v_lshrrev_b32_e32 v150, 20, v150
	s_delay_alu instid0(VALU_DEP_2) | instskip(SKIP_2) | instid1(VALU_DEP_2)
	v_cmp_gt_i32_e32 vcc_lo, 16, v144
	v_lshrrev_b32_e32 v149, 24, v149
	v_min_i32_e32 v151, 15, v144
	v_dual_cndmask_b32 v150, 7, v150 :: v_dual_and_b32 v149, 0x80, v149
	s_delay_alu instid0(VALU_DEP_1) | instskip(SKIP_1) | instid1(VALU_DEP_2)
	v_or_b32_e32 v144, v144, v150
	v_and_b32_e32 v160, 7, v150
	v_cmp_ne_u32_e32 vcc_lo, 0, v144
	v_lshlrev_b32_e32 v151, 3, v151
	s_delay_alu instid0(VALU_DEP_1) | instskip(NEXT) | instid1(VALU_DEP_1)
	v_or3_b32 v149, v151, v149, v160
	v_cndmask_b32_e32 v144, 0, v149, vcc_lo
.LBB2_3487:                             ;   in Loop: Header=BB2_3440 Depth=3
	s_or_b32 exec_lo, exec_lo, s17
.LBB2_3488:                             ;   in Loop: Header=BB2_3440 Depth=3
	s_delay_alu instid0(SALU_CYCLE_1) | instskip(SKIP_3) | instid1(VALU_DEP_1)
	s_or_b32 exec_lo, exec_lo, s3
	v_and_b32_e32 v150, 0xff, v148
	s_mov_b32 s3, 0
	s_mov_b32 s17, exec_lo
                                        ; implicit-def: $sgpr13
	v_cmpx_lt_i16_e64 0x7f, v150
	s_xor_b32 s17, exec_lo, s17
	s_cbranch_execnz .LBB2_3590
; %bb.3489:                             ;   in Loop: Header=BB2_3440 Depth=3
	s_or_saveexec_b32 s17, s17
	v_mov_b32_e32 v149, s13
	s_xor_b32 exec_lo, exec_lo, s17
	s_cbranch_execnz .LBB2_3593
.LBB2_3490:                             ;   in Loop: Header=BB2_3440 Depth=3
	s_or_b32 exec_lo, exec_lo, s17
	s_and_saveexec_b32 s13, s3
	s_cbranch_execz .LBB2_3492
.LBB2_3491:                             ;   in Loop: Header=BB2_3440 Depth=3
	v_lshrrev_b16 v160, 3, v148
	s_delay_alu instid0(VALU_DEP_1) | instskip(NEXT) | instid1(VALU_DEP_1)
	v_and_b32_e32 v160, 15, v160
	v_cmp_eq_u32_e32 vcc_lo, 0, v160
	v_and_b32_e32 v149, 7, v148
	s_delay_alu instid0(VALU_DEP_1) | instskip(NEXT) | instid1(VALU_DEP_1)
	v_clz_i32_u32_e32 v150, v149
	v_min_u32_e32 v150, 32, v150
	s_delay_alu instid0(VALU_DEP_1) | instskip(SKIP_1) | instid1(VALU_DEP_1)
	v_subrev_nc_u32_e32 v151, 28, v150
	v_sub_nc_u32_e32 v150, 29, v150
	v_dual_cndmask_b32 v150, v160, v150 :: v_dual_lshlrev_b32 v151, v151, v148
	v_lshlrev_b32_e32 v148, 24, v148
	s_delay_alu instid0(VALU_DEP_2) | instskip(NEXT) | instid1(VALU_DEP_3)
	v_and_b32_e32 v151, 7, v151
	v_lshl_add_u32 v150, v150, 23, 0x3b800000
	s_delay_alu instid0(VALU_DEP_2) | instskip(NEXT) | instid1(VALU_DEP_1)
	v_dual_cndmask_b32 v149, v149, v151 :: v_dual_and_b32 v148, 0x80000000, v148
	v_lshlrev_b32_e32 v149, 20, v149
	s_delay_alu instid0(VALU_DEP_1)
	v_or3_b32 v149, v148, v150, v149
.LBB2_3492:                             ;   in Loop: Header=BB2_3440 Depth=3
	s_or_b32 exec_lo, exec_lo, s13
	s_waitcnt vmcnt(4) lgkmcnt(4)
	v_and_b32_e32 v150, 0xff, v147
	s_mov_b32 s3, 0
	s_mov_b32 s17, exec_lo
                                        ; implicit-def: $sgpr13
	s_delay_alu instid0(VALU_DEP_1)
	v_cmpx_lt_i16_e64 0x7f, v150
	s_xor_b32 s17, exec_lo, s17
	s_cbranch_execnz .LBB2_3594
; %bb.3493:                             ;   in Loop: Header=BB2_3440 Depth=3
	s_or_saveexec_b32 s17, s17
	v_mov_b32_e32 v148, s13
	s_xor_b32 exec_lo, exec_lo, s17
	s_cbranch_execnz .LBB2_3597
.LBB2_3494:                             ;   in Loop: Header=BB2_3440 Depth=3
	s_or_b32 exec_lo, exec_lo, s17
	s_and_saveexec_b32 s13, s3
	s_cbranch_execz .LBB2_3496
.LBB2_3495:                             ;   in Loop: Header=BB2_3440 Depth=3
	v_and_b32_e32 v148, 7, v147
	v_lshrrev_b16 v160, 3, v147
	s_delay_alu instid0(VALU_DEP_2) | instskip(NEXT) | instid1(VALU_DEP_2)
	v_clz_i32_u32_e32 v150, v148
	v_and_b32_e32 v160, 15, v160
	s_delay_alu instid0(VALU_DEP_2) | instskip(NEXT) | instid1(VALU_DEP_2)
	v_min_u32_e32 v150, 32, v150
	v_cmp_eq_u32_e32 vcc_lo, 0, v160
	s_delay_alu instid0(VALU_DEP_2) | instskip(SKIP_1) | instid1(VALU_DEP_1)
	v_subrev_nc_u32_e32 v151, 28, v150
	v_sub_nc_u32_e32 v150, 29, v150
	v_dual_cndmask_b32 v150, v160, v150 :: v_dual_lshlrev_b32 v151, v151, v147
	v_lshlrev_b32_e32 v147, 24, v147
	s_delay_alu instid0(VALU_DEP_2) | instskip(NEXT) | instid1(VALU_DEP_3)
	v_and_b32_e32 v151, 7, v151
	v_lshl_add_u32 v150, v150, 23, 0x3b800000
	s_delay_alu instid0(VALU_DEP_3) | instskip(NEXT) | instid1(VALU_DEP_3)
	v_and_b32_e32 v147, 0x80000000, v147
	v_cndmask_b32_e32 v148, v148, v151, vcc_lo
	s_delay_alu instid0(VALU_DEP_1) | instskip(NEXT) | instid1(VALU_DEP_1)
	v_lshlrev_b32_e32 v148, 20, v148
	v_or3_b32 v148, v147, v150, v148
.LBB2_3496:                             ;   in Loop: Header=BB2_3440 Depth=3
	s_or_b32 exec_lo, exec_lo, s13
	s_delay_alu instid0(VALU_DEP_1) | instskip(NEXT) | instid1(VALU_DEP_1)
	v_add_f32_e32 v148, v149, v148
	v_and_b32_e32 v147, 0x7f800000, v148
	s_delay_alu instid0(VALU_DEP_1)
	v_cmp_ne_u32_e32 vcc_lo, 0x7f800000, v147
	v_mov_b32_e32 v147, 0x80
	s_and_saveexec_b32 s3, vcc_lo
	s_cbranch_execz .LBB2_3504
; %bb.3497:                             ;   in Loop: Header=BB2_3440 Depth=3
	v_mov_b32_e32 v147, 0
	s_mov_b32 s17, exec_lo
	v_cmpx_ne_u32_e32 0, v148
	s_cbranch_execz .LBB2_3503
; %bb.3498:                             ;   in Loop: Header=BB2_3440 Depth=3
	v_bfe_u32 v147, v148, 23, 8
	s_delay_alu instid0(VALU_DEP_1) | instskip(SKIP_1) | instid1(VALU_DEP_2)
	v_sub_nc_u32_e32 v150, 0x78, v147
	v_cmp_gt_u32_e32 vcc_lo, 0x79, v147
	v_dual_cndmask_b32 v150, 0, v150 :: v_dual_and_b32 v149, 0x7fffff, v148
	s_delay_alu instid0(VALU_DEP_1) | instskip(SKIP_2) | instid1(VALU_DEP_4)
	v_or_b32_e32 v151, 0x800000, v149
	v_cmp_eq_u32_e32 vcc_lo, 0, v147
	v_add_nc_u32_e32 v147, 0xffffff89, v147
	v_cndmask_b32_e64 v150, v150, 0x77, vcc_lo
	s_delay_alu instid0(VALU_DEP_2) | instskip(SKIP_1) | instid1(VALU_DEP_3)
	v_cndmask_b32_e64 v147, v147, 0xffffff8a, vcc_lo
	v_cndmask_b32_e32 v149, v151, v149, vcc_lo
	v_lshl_add_u32 v151, 0x100000, v150, -1
	v_lshlrev_b32_e64 v162, v150, 0x80000
	s_delay_alu instid0(VALU_DEP_3) | instskip(SKIP_1) | instid1(VALU_DEP_4)
	v_lshrrev_b32_e32 v160, v150, v149
	v_add_nc_u32_e32 v150, v150, v147
	v_and_b32_e32 v149, v151, v149
	s_delay_alu instid0(VALU_DEP_3) | instskip(NEXT) | instid1(VALU_DEP_2)
	v_bfe_u32 v161, v160, 20, 1
	v_cmp_eq_u32_e64 s13, v149, v162
	s_delay_alu instid0(VALU_DEP_2) | instskip(NEXT) | instid1(VALU_DEP_1)
	v_add_nc_u32_e32 v151, -1, v161
	v_cndmask_b32_e64 v149, 0, v151, s13
	v_lshrrev_b32_e32 v151, 23, v160
	s_mov_b32 s13, exec_lo
	s_delay_alu instid0(VALU_DEP_2) | instskip(NEXT) | instid1(VALU_DEP_2)
	v_add_nc_u32_e32 v149, v149, v160
	v_xor_b32_e32 v151, 1, v151
	s_delay_alu instid0(VALU_DEP_2) | instskip(NEXT) | instid1(VALU_DEP_1)
	v_and_b32_e32 v147, 0xfffff, v149
	v_add_nc_u32_e32 v149, v147, v160
                                        ; implicit-def: $vgpr147
	s_delay_alu instid0(VALU_DEP_3)
	v_cmpx_ne_u32_e64 v150, v151
	s_xor_b32 s13, exec_lo, s13
; %bb.3499:                             ;   in Loop: Header=BB2_3440 Depth=3
	s_delay_alu instid0(VALU_DEP_2) | instskip(SKIP_2) | instid1(VALU_DEP_2)
	v_cmp_lt_u32_e32 vcc_lo, 0xffffff, v149
	v_sub_nc_u32_e32 v147, v150, v151
	v_cndmask_b32_e64 v150, 0, 1, vcc_lo
	v_add_co_ci_u32_e32 v147, vcc_lo, 0, v147, vcc_lo
	s_delay_alu instid0(VALU_DEP_2)
	v_lshrrev_b32_e32 v149, v150, v149
; %bb.3500:                             ;   in Loop: Header=BB2_3440 Depth=3
	s_and_not1_saveexec_b32 s13, s13
; %bb.3501:                             ;   in Loop: Header=BB2_3440 Depth=3
	s_delay_alu instid0(VALU_DEP_1)
	v_bfe_u32 v147, v149, 23, 1
; %bb.3502:                             ;   in Loop: Header=BB2_3440 Depth=3
	s_or_b32 exec_lo, exec_lo, s13
	v_lshrrev_b32_e32 v149, 20, v149
	s_delay_alu instid0(VALU_DEP_2) | instskip(SKIP_2) | instid1(VALU_DEP_2)
	v_cmp_gt_i32_e32 vcc_lo, 16, v147
	v_lshrrev_b32_e32 v148, 24, v148
	v_min_i32_e32 v150, 15, v147
	v_dual_cndmask_b32 v149, 7, v149 :: v_dual_and_b32 v148, 0x80, v148
	s_delay_alu instid0(VALU_DEP_1) | instskip(SKIP_1) | instid1(VALU_DEP_2)
	v_or_b32_e32 v147, v147, v149
	v_and_b32_e32 v151, 7, v149
	v_cmp_ne_u32_e32 vcc_lo, 0, v147
	v_lshlrev_b32_e32 v150, 3, v150
	s_delay_alu instid0(VALU_DEP_1) | instskip(NEXT) | instid1(VALU_DEP_1)
	v_or3_b32 v148, v150, v148, v151
	v_cndmask_b32_e32 v147, 0, v148, vcc_lo
.LBB2_3503:                             ;   in Loop: Header=BB2_3440 Depth=3
	s_or_b32 exec_lo, exec_lo, s17
.LBB2_3504:                             ;   in Loop: Header=BB2_3440 Depth=3
	s_delay_alu instid0(SALU_CYCLE_1) | instskip(SKIP_3) | instid1(VALU_DEP_1)
	s_or_b32 exec_lo, exec_lo, s3
	v_and_b32_e32 v149, 0xff, v146
	s_mov_b32 s3, 0
	s_mov_b32 s17, exec_lo
                                        ; implicit-def: $sgpr13
	v_cmpx_lt_i16_e64 0x7f, v149
	s_xor_b32 s17, exec_lo, s17
	s_cbranch_execnz .LBB2_3598
; %bb.3505:                             ;   in Loop: Header=BB2_3440 Depth=3
	s_or_saveexec_b32 s17, s17
	v_mov_b32_e32 v148, s13
	s_xor_b32 exec_lo, exec_lo, s17
	s_cbranch_execnz .LBB2_3601
.LBB2_3506:                             ;   in Loop: Header=BB2_3440 Depth=3
	s_or_b32 exec_lo, exec_lo, s17
	s_and_saveexec_b32 s13, s3
	s_cbranch_execz .LBB2_3508
.LBB2_3507:                             ;   in Loop: Header=BB2_3440 Depth=3
	v_lshrrev_b16 v151, 3, v146
	s_delay_alu instid0(VALU_DEP_1) | instskip(NEXT) | instid1(VALU_DEP_1)
	v_and_b32_e32 v151, 15, v151
	v_cmp_eq_u32_e32 vcc_lo, 0, v151
	v_and_b32_e32 v148, 7, v146
	s_delay_alu instid0(VALU_DEP_1) | instskip(NEXT) | instid1(VALU_DEP_1)
	v_clz_i32_u32_e32 v149, v148
	v_min_u32_e32 v149, 32, v149
	s_delay_alu instid0(VALU_DEP_1) | instskip(SKIP_1) | instid1(VALU_DEP_1)
	v_subrev_nc_u32_e32 v150, 28, v149
	v_sub_nc_u32_e32 v149, 29, v149
	v_dual_cndmask_b32 v149, v151, v149 :: v_dual_lshlrev_b32 v150, v150, v146
	v_lshlrev_b32_e32 v146, 24, v146
	s_delay_alu instid0(VALU_DEP_2) | instskip(NEXT) | instid1(VALU_DEP_3)
	v_and_b32_e32 v150, 7, v150
	v_lshl_add_u32 v149, v149, 23, 0x3b800000
	s_delay_alu instid0(VALU_DEP_3) | instskip(NEXT) | instid1(VALU_DEP_3)
	v_and_b32_e32 v146, 0x80000000, v146
	v_cndmask_b32_e32 v148, v148, v150, vcc_lo
	s_delay_alu instid0(VALU_DEP_1) | instskip(NEXT) | instid1(VALU_DEP_1)
	v_lshlrev_b32_e32 v148, 20, v148
	v_or3_b32 v148, v146, v149, v148
.LBB2_3508:                             ;   in Loop: Header=BB2_3440 Depth=3
	s_or_b32 exec_lo, exec_lo, s13
	s_waitcnt vmcnt(3) lgkmcnt(3)
	v_and_b32_e32 v149, 0xff, v145
	s_mov_b32 s3, 0
	s_mov_b32 s17, exec_lo
                                        ; implicit-def: $sgpr13
	s_delay_alu instid0(VALU_DEP_1)
	v_cmpx_lt_i16_e64 0x7f, v149
	s_xor_b32 s17, exec_lo, s17
	s_cbranch_execnz .LBB2_3602
; %bb.3509:                             ;   in Loop: Header=BB2_3440 Depth=3
	s_or_saveexec_b32 s17, s17
	v_mov_b32_e32 v146, s13
	s_xor_b32 exec_lo, exec_lo, s17
	s_cbranch_execnz .LBB2_3605
.LBB2_3510:                             ;   in Loop: Header=BB2_3440 Depth=3
	s_or_b32 exec_lo, exec_lo, s17
	s_and_saveexec_b32 s13, s3
	s_cbranch_execz .LBB2_3512
.LBB2_3511:                             ;   in Loop: Header=BB2_3440 Depth=3
	v_and_b32_e32 v146, 7, v145
	v_lshrrev_b16 v151, 3, v145
	s_delay_alu instid0(VALU_DEP_2) | instskip(NEXT) | instid1(VALU_DEP_1)
	v_clz_i32_u32_e32 v149, v146
	v_min_u32_e32 v149, 32, v149
	s_delay_alu instid0(VALU_DEP_1) | instskip(SKIP_1) | instid1(VALU_DEP_2)
	v_subrev_nc_u32_e32 v150, 28, v149
	v_sub_nc_u32_e32 v149, 29, v149
	v_lshlrev_b32_e32 v150, v150, v145
	v_lshlrev_b32_e32 v145, 24, v145
	s_delay_alu instid0(VALU_DEP_2) | instskip(SKIP_1) | instid1(VALU_DEP_3)
	v_and_b32_e32 v150, 7, v150
	v_and_b32_e32 v151, 15, v151
	;; [unrolled: 1-line block ×3, first 2 shown]
	s_delay_alu instid0(VALU_DEP_2) | instskip(NEXT) | instid1(VALU_DEP_4)
	v_cmp_eq_u32_e32 vcc_lo, 0, v151
	v_dual_cndmask_b32 v146, v146, v150 :: v_dual_cndmask_b32 v149, v151, v149
	s_delay_alu instid0(VALU_DEP_1) | instskip(NEXT) | instid1(VALU_DEP_2)
	v_lshlrev_b32_e32 v146, 20, v146
	v_lshl_add_u32 v149, v149, 23, 0x3b800000
	s_delay_alu instid0(VALU_DEP_1)
	v_or3_b32 v146, v145, v149, v146
.LBB2_3512:                             ;   in Loop: Header=BB2_3440 Depth=3
	s_or_b32 exec_lo, exec_lo, s13
	s_delay_alu instid0(VALU_DEP_1) | instskip(NEXT) | instid1(VALU_DEP_1)
	v_add_f32_e32 v146, v148, v146
	v_and_b32_e32 v145, 0x7f800000, v146
	s_delay_alu instid0(VALU_DEP_1)
	v_cmp_ne_u32_e32 vcc_lo, 0x7f800000, v145
	v_mov_b32_e32 v145, 0x80
	s_and_saveexec_b32 s3, vcc_lo
	s_cbranch_execz .LBB2_3520
; %bb.3513:                             ;   in Loop: Header=BB2_3440 Depth=3
	v_mov_b32_e32 v145, 0
	s_mov_b32 s17, exec_lo
	v_cmpx_ne_u32_e32 0, v146
	s_cbranch_execz .LBB2_3519
; %bb.3514:                             ;   in Loop: Header=BB2_3440 Depth=3
	v_bfe_u32 v145, v146, 23, 8
	s_delay_alu instid0(VALU_DEP_1) | instskip(SKIP_1) | instid1(VALU_DEP_2)
	v_sub_nc_u32_e32 v149, 0x78, v145
	v_cmp_gt_u32_e32 vcc_lo, 0x79, v145
	v_dual_cndmask_b32 v149, 0, v149 :: v_dual_and_b32 v148, 0x7fffff, v146
	s_delay_alu instid0(VALU_DEP_1) | instskip(SKIP_2) | instid1(VALU_DEP_4)
	v_or_b32_e32 v150, 0x800000, v148
	v_cmp_eq_u32_e32 vcc_lo, 0, v145
	v_add_nc_u32_e32 v145, 0xffffff89, v145
	v_cndmask_b32_e64 v149, v149, 0x77, vcc_lo
	s_delay_alu instid0(VALU_DEP_4) | instskip(NEXT) | instid1(VALU_DEP_3)
	v_cndmask_b32_e32 v148, v150, v148, vcc_lo
	v_cndmask_b32_e64 v145, v145, 0xffffff8a, vcc_lo
	s_delay_alu instid0(VALU_DEP_3) | instskip(NEXT) | instid1(VALU_DEP_3)
	v_lshl_add_u32 v150, 0x100000, v149, -1
	v_lshrrev_b32_e32 v151, v149, v148
	v_lshlrev_b32_e64 v161, v149, 0x80000
	s_delay_alu instid0(VALU_DEP_4) | instskip(NEXT) | instid1(VALU_DEP_4)
	v_add_nc_u32_e32 v149, v149, v145
	v_and_b32_e32 v148, v150, v148
	s_delay_alu instid0(VALU_DEP_4) | instskip(NEXT) | instid1(VALU_DEP_2)
	v_bfe_u32 v160, v151, 20, 1
	v_cmp_eq_u32_e64 s13, v148, v161
	s_delay_alu instid0(VALU_DEP_2) | instskip(NEXT) | instid1(VALU_DEP_1)
	v_add_nc_u32_e32 v150, -1, v160
	v_cndmask_b32_e64 v148, 0, v150, s13
	v_lshrrev_b32_e32 v150, 23, v151
	s_mov_b32 s13, exec_lo
	s_delay_alu instid0(VALU_DEP_2) | instskip(NEXT) | instid1(VALU_DEP_2)
	v_add_nc_u32_e32 v148, v148, v151
	v_xor_b32_e32 v150, 1, v150
	s_delay_alu instid0(VALU_DEP_2) | instskip(NEXT) | instid1(VALU_DEP_1)
	v_and_b32_e32 v145, 0xfffff, v148
	v_add_nc_u32_e32 v148, v145, v151
                                        ; implicit-def: $vgpr145
	s_delay_alu instid0(VALU_DEP_3)
	v_cmpx_ne_u32_e64 v149, v150
	s_xor_b32 s13, exec_lo, s13
; %bb.3515:                             ;   in Loop: Header=BB2_3440 Depth=3
	s_delay_alu instid0(VALU_DEP_2) | instskip(SKIP_2) | instid1(VALU_DEP_2)
	v_cmp_lt_u32_e32 vcc_lo, 0xffffff, v148
	v_sub_nc_u32_e32 v145, v149, v150
	v_cndmask_b32_e64 v149, 0, 1, vcc_lo
	v_add_co_ci_u32_e32 v145, vcc_lo, 0, v145, vcc_lo
	s_delay_alu instid0(VALU_DEP_2)
	v_lshrrev_b32_e32 v148, v149, v148
; %bb.3516:                             ;   in Loop: Header=BB2_3440 Depth=3
	s_and_not1_saveexec_b32 s13, s13
; %bb.3517:                             ;   in Loop: Header=BB2_3440 Depth=3
	s_delay_alu instid0(VALU_DEP_1)
	v_bfe_u32 v145, v148, 23, 1
; %bb.3518:                             ;   in Loop: Header=BB2_3440 Depth=3
	s_or_b32 exec_lo, exec_lo, s13
	v_lshrrev_b32_e32 v148, 20, v148
	s_delay_alu instid0(VALU_DEP_2) | instskip(SKIP_2) | instid1(VALU_DEP_2)
	v_cmp_gt_i32_e32 vcc_lo, 16, v145
	v_min_i32_e32 v149, 15, v145
	v_lshrrev_b32_e32 v146, 24, v146
	v_dual_cndmask_b32 v148, 7, v148 :: v_dual_lshlrev_b32 v149, 3, v149
	s_delay_alu instid0(VALU_DEP_2) | instskip(NEXT) | instid1(VALU_DEP_2)
	v_and_b32_e32 v146, 0x80, v146
	v_or_b32_e32 v145, v145, v148
	s_delay_alu instid0(VALU_DEP_1) | instskip(SKIP_1) | instid1(VALU_DEP_1)
	v_cmp_ne_u32_e32 vcc_lo, 0, v145
	v_and_b32_e32 v150, 7, v148
	v_or3_b32 v146, v149, v146, v150
	s_delay_alu instid0(VALU_DEP_1)
	v_cndmask_b32_e32 v145, 0, v146, vcc_lo
.LBB2_3519:                             ;   in Loop: Header=BB2_3440 Depth=3
	s_or_b32 exec_lo, exec_lo, s17
.LBB2_3520:                             ;   in Loop: Header=BB2_3440 Depth=3
	s_delay_alu instid0(SALU_CYCLE_1) | instskip(SKIP_3) | instid1(VALU_DEP_1)
	s_or_b32 exec_lo, exec_lo, s3
	v_and_b32_e32 v148, 0xff, v135
	s_mov_b32 s3, 0
	s_mov_b32 s17, exec_lo
                                        ; implicit-def: $sgpr13
	v_cmpx_lt_i16_e64 0x7f, v148
	s_xor_b32 s17, exec_lo, s17
	s_cbranch_execnz .LBB2_3606
; %bb.3521:                             ;   in Loop: Header=BB2_3440 Depth=3
	s_or_saveexec_b32 s17, s17
	v_mov_b32_e32 v146, s13
	s_xor_b32 exec_lo, exec_lo, s17
	s_cbranch_execnz .LBB2_3609
.LBB2_3522:                             ;   in Loop: Header=BB2_3440 Depth=3
	s_or_b32 exec_lo, exec_lo, s17
	s_and_saveexec_b32 s13, s3
	s_cbranch_execz .LBB2_3524
.LBB2_3523:                             ;   in Loop: Header=BB2_3440 Depth=3
	v_and_b32_e32 v146, 7, v135
	v_lshrrev_b16 v150, 3, v135
	s_delay_alu instid0(VALU_DEP_2) | instskip(NEXT) | instid1(VALU_DEP_2)
	v_clz_i32_u32_e32 v148, v146
	v_and_b32_e32 v150, 15, v150
	s_delay_alu instid0(VALU_DEP_2) | instskip(NEXT) | instid1(VALU_DEP_2)
	v_min_u32_e32 v148, 32, v148
	v_cmp_eq_u32_e32 vcc_lo, 0, v150
	s_delay_alu instid0(VALU_DEP_2) | instskip(SKIP_1) | instid1(VALU_DEP_1)
	v_subrev_nc_u32_e32 v149, 28, v148
	v_sub_nc_u32_e32 v148, 29, v148
	v_dual_cndmask_b32 v148, v150, v148 :: v_dual_lshlrev_b32 v149, v149, v135
	s_delay_alu instid0(VALU_DEP_1) | instskip(SKIP_1) | instid1(VALU_DEP_3)
	v_and_b32_e32 v149, 7, v149
	v_lshlrev_b32_e32 v135, 24, v135
	v_lshl_add_u32 v148, v148, 23, 0x3b800000
	s_delay_alu instid0(VALU_DEP_2) | instskip(NEXT) | instid1(VALU_DEP_1)
	v_dual_cndmask_b32 v146, v146, v149 :: v_dual_and_b32 v135, 0x80000000, v135
	v_lshlrev_b32_e32 v146, 20, v146
	s_delay_alu instid0(VALU_DEP_1)
	v_or3_b32 v146, v135, v148, v146
.LBB2_3524:                             ;   in Loop: Header=BB2_3440 Depth=3
	s_or_b32 exec_lo, exec_lo, s13
	s_waitcnt vmcnt(2) lgkmcnt(2)
	v_and_b32_e32 v148, 0xff, v134
	s_mov_b32 s3, 0
	s_mov_b32 s17, exec_lo
                                        ; implicit-def: $sgpr13
	s_delay_alu instid0(VALU_DEP_1)
	v_cmpx_lt_i16_e64 0x7f, v148
	s_xor_b32 s17, exec_lo, s17
	s_cbranch_execnz .LBB2_3610
; %bb.3525:                             ;   in Loop: Header=BB2_3440 Depth=3
	s_or_saveexec_b32 s17, s17
	v_mov_b32_e32 v135, s13
	s_xor_b32 exec_lo, exec_lo, s17
	s_cbranch_execnz .LBB2_3613
.LBB2_3526:                             ;   in Loop: Header=BB2_3440 Depth=3
	s_or_b32 exec_lo, exec_lo, s17
	s_and_saveexec_b32 s13, s3
	s_cbranch_execz .LBB2_3528
.LBB2_3527:                             ;   in Loop: Header=BB2_3440 Depth=3
	v_lshrrev_b16 v150, 3, v134
	s_delay_alu instid0(VALU_DEP_1) | instskip(NEXT) | instid1(VALU_DEP_1)
	v_and_b32_e32 v150, 15, v150
	v_cmp_eq_u32_e32 vcc_lo, 0, v150
	v_and_b32_e32 v135, 7, v134
	s_delay_alu instid0(VALU_DEP_1) | instskip(NEXT) | instid1(VALU_DEP_1)
	v_clz_i32_u32_e32 v148, v135
	v_min_u32_e32 v148, 32, v148
	s_delay_alu instid0(VALU_DEP_1) | instskip(SKIP_1) | instid1(VALU_DEP_1)
	v_subrev_nc_u32_e32 v149, 28, v148
	v_sub_nc_u32_e32 v148, 29, v148
	v_dual_cndmask_b32 v148, v150, v148 :: v_dual_lshlrev_b32 v149, v149, v134
	v_lshlrev_b32_e32 v134, 24, v134
	s_delay_alu instid0(VALU_DEP_2) | instskip(NEXT) | instid1(VALU_DEP_3)
	v_and_b32_e32 v149, 7, v149
	v_lshl_add_u32 v148, v148, 23, 0x3b800000
	s_delay_alu instid0(VALU_DEP_2) | instskip(NEXT) | instid1(VALU_DEP_1)
	v_dual_cndmask_b32 v135, v135, v149 :: v_dual_and_b32 v134, 0x80000000, v134
	v_lshlrev_b32_e32 v135, 20, v135
	s_delay_alu instid0(VALU_DEP_1)
	v_or3_b32 v135, v134, v148, v135
.LBB2_3528:                             ;   in Loop: Header=BB2_3440 Depth=3
	s_or_b32 exec_lo, exec_lo, s13
	s_delay_alu instid0(VALU_DEP_1) | instskip(NEXT) | instid1(VALU_DEP_1)
	v_add_f32_e32 v135, v146, v135
	v_and_b32_e32 v134, 0x7f800000, v135
	s_delay_alu instid0(VALU_DEP_1)
	v_cmp_ne_u32_e32 vcc_lo, 0x7f800000, v134
	v_mov_b32_e32 v134, 0x80
	s_and_saveexec_b32 s3, vcc_lo
	s_cbranch_execz .LBB2_3536
; %bb.3529:                             ;   in Loop: Header=BB2_3440 Depth=3
	v_mov_b32_e32 v134, 0
	s_mov_b32 s17, exec_lo
	v_cmpx_ne_u32_e32 0, v135
	s_cbranch_execz .LBB2_3535
; %bb.3530:                             ;   in Loop: Header=BB2_3440 Depth=3
	v_bfe_u32 v134, v135, 23, 8
	v_and_b32_e32 v146, 0x7fffff, v135
	s_delay_alu instid0(VALU_DEP_2) | instskip(SKIP_1) | instid1(VALU_DEP_3)
	v_sub_nc_u32_e32 v148, 0x78, v134
	v_cmp_gt_u32_e32 vcc_lo, 0x79, v134
	v_or_b32_e32 v149, 0x800000, v146
	s_delay_alu instid0(VALU_DEP_3) | instskip(SKIP_2) | instid1(VALU_DEP_3)
	v_cndmask_b32_e32 v148, 0, v148, vcc_lo
	v_cmp_eq_u32_e32 vcc_lo, 0, v134
	v_add_nc_u32_e32 v134, 0xffffff89, v134
	v_cndmask_b32_e64 v148, v148, 0x77, vcc_lo
	v_cndmask_b32_e32 v146, v149, v146, vcc_lo
	s_delay_alu instid0(VALU_DEP_3) | instskip(NEXT) | instid1(VALU_DEP_3)
	v_cndmask_b32_e64 v134, v134, 0xffffff8a, vcc_lo
	v_lshl_add_u32 v149, 0x100000, v148, -1
	s_delay_alu instid0(VALU_DEP_3) | instskip(SKIP_1) | instid1(VALU_DEP_4)
	v_lshrrev_b32_e32 v150, v148, v146
	v_lshlrev_b32_e64 v160, v148, 0x80000
	v_add_nc_u32_e32 v148, v148, v134
	s_delay_alu instid0(VALU_DEP_4) | instskip(NEXT) | instid1(VALU_DEP_4)
	v_and_b32_e32 v146, v149, v146
	v_bfe_u32 v151, v150, 20, 1
	s_delay_alu instid0(VALU_DEP_2) | instskip(NEXT) | instid1(VALU_DEP_2)
	v_cmp_eq_u32_e64 s13, v146, v160
	v_add_nc_u32_e32 v149, -1, v151
	s_delay_alu instid0(VALU_DEP_1) | instskip(SKIP_2) | instid1(VALU_DEP_2)
	v_cndmask_b32_e64 v146, 0, v149, s13
	v_lshrrev_b32_e32 v149, 23, v150
	s_mov_b32 s13, exec_lo
	v_add_nc_u32_e32 v146, v146, v150
	s_delay_alu instid0(VALU_DEP_2) | instskip(NEXT) | instid1(VALU_DEP_2)
	v_xor_b32_e32 v149, 1, v149
	v_and_b32_e32 v134, 0xfffff, v146
	s_delay_alu instid0(VALU_DEP_1) | instskip(NEXT) | instid1(VALU_DEP_3)
	v_add_nc_u32_e32 v146, v134, v150
                                        ; implicit-def: $vgpr134
	v_cmpx_ne_u32_e64 v148, v149
	s_xor_b32 s13, exec_lo, s13
; %bb.3531:                             ;   in Loop: Header=BB2_3440 Depth=3
	s_delay_alu instid0(VALU_DEP_2) | instskip(SKIP_2) | instid1(VALU_DEP_2)
	v_cmp_lt_u32_e32 vcc_lo, 0xffffff, v146
	v_sub_nc_u32_e32 v134, v148, v149
	v_cndmask_b32_e64 v148, 0, 1, vcc_lo
	v_add_co_ci_u32_e32 v134, vcc_lo, 0, v134, vcc_lo
	s_delay_alu instid0(VALU_DEP_2)
	v_lshrrev_b32_e32 v146, v148, v146
; %bb.3532:                             ;   in Loop: Header=BB2_3440 Depth=3
	s_and_not1_saveexec_b32 s13, s13
; %bb.3533:                             ;   in Loop: Header=BB2_3440 Depth=3
	s_delay_alu instid0(VALU_DEP_1)
	v_bfe_u32 v134, v146, 23, 1
; %bb.3534:                             ;   in Loop: Header=BB2_3440 Depth=3
	s_or_b32 exec_lo, exec_lo, s13
	v_lshrrev_b32_e32 v146, 20, v146
	s_delay_alu instid0(VALU_DEP_2) | instskip(SKIP_2) | instid1(VALU_DEP_2)
	v_cmp_gt_i32_e32 vcc_lo, 16, v134
	v_lshrrev_b32_e32 v135, 24, v135
	v_min_i32_e32 v148, 15, v134
	v_dual_cndmask_b32 v146, 7, v146 :: v_dual_and_b32 v135, 0x80, v135
	s_delay_alu instid0(VALU_DEP_2) | instskip(NEXT) | instid1(VALU_DEP_2)
	v_lshlrev_b32_e32 v148, 3, v148
	v_or_b32_e32 v134, v134, v146
	s_delay_alu instid0(VALU_DEP_1) | instskip(SKIP_1) | instid1(VALU_DEP_1)
	v_cmp_ne_u32_e32 vcc_lo, 0, v134
	v_and_b32_e32 v149, 7, v146
	v_or3_b32 v135, v148, v135, v149
	s_delay_alu instid0(VALU_DEP_1)
	v_cndmask_b32_e32 v134, 0, v135, vcc_lo
.LBB2_3535:                             ;   in Loop: Header=BB2_3440 Depth=3
	s_or_b32 exec_lo, exec_lo, s17
.LBB2_3536:                             ;   in Loop: Header=BB2_3440 Depth=3
	s_delay_alu instid0(SALU_CYCLE_1) | instskip(SKIP_3) | instid1(VALU_DEP_1)
	s_or_b32 exec_lo, exec_lo, s3
	v_and_b32_e32 v146, 0xff, v70
	s_mov_b32 s3, 0
	s_mov_b32 s17, exec_lo
                                        ; implicit-def: $sgpr13
	v_cmpx_lt_i16_e64 0x7f, v146
	s_xor_b32 s17, exec_lo, s17
	s_cbranch_execnz .LBB2_3614
; %bb.3537:                             ;   in Loop: Header=BB2_3440 Depth=3
	s_or_saveexec_b32 s17, s17
	v_mov_b32_e32 v135, s13
	s_xor_b32 exec_lo, exec_lo, s17
	s_cbranch_execnz .LBB2_3617
.LBB2_3538:                             ;   in Loop: Header=BB2_3440 Depth=3
	s_or_b32 exec_lo, exec_lo, s17
	s_and_saveexec_b32 s13, s3
	s_cbranch_execz .LBB2_3540
.LBB2_3539:                             ;   in Loop: Header=BB2_3440 Depth=3
	v_and_b32_e32 v135, 7, v70
	v_lshrrev_b16 v149, 3, v70
	s_delay_alu instid0(VALU_DEP_2) | instskip(NEXT) | instid1(VALU_DEP_2)
	v_clz_i32_u32_e32 v146, v135
	v_and_b32_e32 v149, 15, v149
	s_delay_alu instid0(VALU_DEP_2) | instskip(NEXT) | instid1(VALU_DEP_2)
	v_min_u32_e32 v146, 32, v146
	v_cmp_eq_u32_e32 vcc_lo, 0, v149
	s_delay_alu instid0(VALU_DEP_2) | instskip(SKIP_1) | instid1(VALU_DEP_2)
	v_subrev_nc_u32_e32 v148, 28, v146
	v_sub_nc_u32_e32 v146, 29, v146
	v_lshlrev_b32_e32 v148, v148, v70
	s_delay_alu instid0(VALU_DEP_1) | instskip(NEXT) | instid1(VALU_DEP_1)
	v_and_b32_e32 v148, 7, v148
	v_dual_cndmask_b32 v135, v135, v148 :: v_dual_lshlrev_b32 v70, 24, v70
	s_delay_alu instid0(VALU_DEP_4) | instskip(NEXT) | instid1(VALU_DEP_2)
	v_cndmask_b32_e32 v146, v149, v146, vcc_lo
	v_and_b32_e32 v70, 0x80000000, v70
	s_delay_alu instid0(VALU_DEP_3) | instskip(NEXT) | instid1(VALU_DEP_3)
	v_lshlrev_b32_e32 v135, 20, v135
	v_lshl_add_u32 v146, v146, 23, 0x3b800000
	s_delay_alu instid0(VALU_DEP_1)
	v_or3_b32 v135, v70, v146, v135
.LBB2_3540:                             ;   in Loop: Header=BB2_3440 Depth=3
	s_or_b32 exec_lo, exec_lo, s13
	s_waitcnt vmcnt(1) lgkmcnt(1)
	v_and_b32_e32 v146, 0xff, v69
	s_mov_b32 s3, 0
	s_mov_b32 s17, exec_lo
                                        ; implicit-def: $sgpr13
	s_delay_alu instid0(VALU_DEP_1)
	v_cmpx_lt_i16_e64 0x7f, v146
	s_xor_b32 s17, exec_lo, s17
	s_cbranch_execnz .LBB2_3618
; %bb.3541:                             ;   in Loop: Header=BB2_3440 Depth=3
	s_or_saveexec_b32 s17, s17
	v_mov_b32_e32 v70, s13
	s_xor_b32 exec_lo, exec_lo, s17
	s_cbranch_execnz .LBB2_3621
.LBB2_3542:                             ;   in Loop: Header=BB2_3440 Depth=3
	s_or_b32 exec_lo, exec_lo, s17
	s_and_saveexec_b32 s13, s3
	s_cbranch_execz .LBB2_3544
.LBB2_3543:                             ;   in Loop: Header=BB2_3440 Depth=3
	v_and_b32_e32 v70, 7, v69
	v_lshrrev_b16 v149, 3, v69
	s_delay_alu instid0(VALU_DEP_2) | instskip(NEXT) | instid1(VALU_DEP_1)
	v_clz_i32_u32_e32 v146, v70
	v_min_u32_e32 v146, 32, v146
	s_delay_alu instid0(VALU_DEP_1) | instskip(SKIP_1) | instid1(VALU_DEP_2)
	v_subrev_nc_u32_e32 v148, 28, v146
	v_sub_nc_u32_e32 v146, 29, v146
	v_lshlrev_b32_e32 v148, v148, v69
	s_delay_alu instid0(VALU_DEP_1) | instskip(SKIP_1) | instid1(VALU_DEP_1)
	v_and_b32_e32 v148, 7, v148
	v_and_b32_e32 v149, 15, v149
	v_cmp_eq_u32_e32 vcc_lo, 0, v149
	s_delay_alu instid0(VALU_DEP_3) | instskip(SKIP_1) | instid1(VALU_DEP_2)
	v_dual_cndmask_b32 v70, v70, v148 :: v_dual_lshlrev_b32 v69, 24, v69
	v_cndmask_b32_e32 v146, v149, v146, vcc_lo
	v_lshlrev_b32_e32 v70, 20, v70
	s_delay_alu instid0(VALU_DEP_3) | instskip(NEXT) | instid1(VALU_DEP_3)
	v_and_b32_e32 v69, 0x80000000, v69
	v_lshl_add_u32 v146, v146, 23, 0x3b800000
	s_delay_alu instid0(VALU_DEP_1)
	v_or3_b32 v70, v69, v146, v70
.LBB2_3544:                             ;   in Loop: Header=BB2_3440 Depth=3
	s_or_b32 exec_lo, exec_lo, s13
	s_delay_alu instid0(VALU_DEP_1) | instskip(NEXT) | instid1(VALU_DEP_1)
	v_add_f32_e32 v70, v135, v70
	v_and_b32_e32 v69, 0x7f800000, v70
	s_delay_alu instid0(VALU_DEP_1)
	v_cmp_ne_u32_e32 vcc_lo, 0x7f800000, v69
	v_mov_b32_e32 v69, 0x80
	s_and_saveexec_b32 s3, vcc_lo
	s_cbranch_execz .LBB2_3552
; %bb.3545:                             ;   in Loop: Header=BB2_3440 Depth=3
	v_mov_b32_e32 v69, 0
	s_mov_b32 s17, exec_lo
	v_cmpx_ne_u32_e32 0, v70
	s_cbranch_execz .LBB2_3551
; %bb.3546:                             ;   in Loop: Header=BB2_3440 Depth=3
	v_bfe_u32 v69, v70, 23, 8
	v_and_b32_e32 v135, 0x7fffff, v70
	s_delay_alu instid0(VALU_DEP_2) | instskip(SKIP_1) | instid1(VALU_DEP_3)
	v_sub_nc_u32_e32 v146, 0x78, v69
	v_cmp_gt_u32_e32 vcc_lo, 0x79, v69
	v_or_b32_e32 v148, 0x800000, v135
	s_delay_alu instid0(VALU_DEP_3) | instskip(SKIP_2) | instid1(VALU_DEP_4)
	v_cndmask_b32_e32 v146, 0, v146, vcc_lo
	v_cmp_eq_u32_e32 vcc_lo, 0, v69
	v_add_nc_u32_e32 v69, 0xffffff89, v69
	v_cndmask_b32_e32 v135, v148, v135, vcc_lo
	s_delay_alu instid0(VALU_DEP_4) | instskip(NEXT) | instid1(VALU_DEP_3)
	v_cndmask_b32_e64 v146, v146, 0x77, vcc_lo
	v_cndmask_b32_e64 v69, v69, 0xffffff8a, vcc_lo
	s_delay_alu instid0(VALU_DEP_2) | instskip(SKIP_2) | instid1(VALU_DEP_4)
	v_lshrrev_b32_e32 v149, v146, v135
	v_lshl_add_u32 v148, 0x100000, v146, -1
	v_lshlrev_b32_e64 v151, v146, 0x80000
	v_add_nc_u32_e32 v146, v146, v69
	s_delay_alu instid0(VALU_DEP_4) | instskip(NEXT) | instid1(VALU_DEP_4)
	v_bfe_u32 v150, v149, 20, 1
	v_and_b32_e32 v135, v148, v135
	s_delay_alu instid0(VALU_DEP_2) | instskip(NEXT) | instid1(VALU_DEP_2)
	v_add_nc_u32_e32 v148, -1, v150
	v_cmp_eq_u32_e64 s13, v135, v151
	s_delay_alu instid0(VALU_DEP_1) | instskip(SKIP_2) | instid1(VALU_DEP_2)
	v_cndmask_b32_e64 v135, 0, v148, s13
	v_lshrrev_b32_e32 v148, 23, v149
	s_mov_b32 s13, exec_lo
	v_add_nc_u32_e32 v135, v135, v149
	s_delay_alu instid0(VALU_DEP_2) | instskip(NEXT) | instid1(VALU_DEP_2)
	v_xor_b32_e32 v148, 1, v148
	v_and_b32_e32 v69, 0xfffff, v135
	s_delay_alu instid0(VALU_DEP_1) | instskip(NEXT) | instid1(VALU_DEP_3)
	v_add_nc_u32_e32 v135, v69, v149
                                        ; implicit-def: $vgpr69
	v_cmpx_ne_u32_e64 v146, v148
	s_xor_b32 s13, exec_lo, s13
; %bb.3547:                             ;   in Loop: Header=BB2_3440 Depth=3
	s_delay_alu instid0(VALU_DEP_2) | instskip(SKIP_2) | instid1(VALU_DEP_2)
	v_cmp_lt_u32_e32 vcc_lo, 0xffffff, v135
	v_sub_nc_u32_e32 v69, v146, v148
	v_cndmask_b32_e64 v146, 0, 1, vcc_lo
	v_add_co_ci_u32_e32 v69, vcc_lo, 0, v69, vcc_lo
	s_delay_alu instid0(VALU_DEP_2)
	v_lshrrev_b32_e32 v135, v146, v135
; %bb.3548:                             ;   in Loop: Header=BB2_3440 Depth=3
	s_and_not1_saveexec_b32 s13, s13
; %bb.3549:                             ;   in Loop: Header=BB2_3440 Depth=3
	s_delay_alu instid0(VALU_DEP_1)
	v_bfe_u32 v69, v135, 23, 1
; %bb.3550:                             ;   in Loop: Header=BB2_3440 Depth=3
	s_or_b32 exec_lo, exec_lo, s13
	v_lshrrev_b32_e32 v135, 20, v135
	s_delay_alu instid0(VALU_DEP_2) | instskip(SKIP_2) | instid1(VALU_DEP_2)
	v_cmp_gt_i32_e32 vcc_lo, 16, v69
	v_lshrrev_b32_e32 v70, 24, v70
	v_min_i32_e32 v146, 15, v69
	v_dual_cndmask_b32 v135, 7, v135 :: v_dual_and_b32 v70, 0x80, v70
	s_delay_alu instid0(VALU_DEP_2) | instskip(NEXT) | instid1(VALU_DEP_2)
	v_lshlrev_b32_e32 v146, 3, v146
	v_or_b32_e32 v69, v69, v135
	s_delay_alu instid0(VALU_DEP_1) | instskip(SKIP_1) | instid1(VALU_DEP_1)
	v_cmp_ne_u32_e32 vcc_lo, 0, v69
	v_and_b32_e32 v148, 7, v135
	v_or3_b32 v70, v146, v70, v148
	s_delay_alu instid0(VALU_DEP_1)
	v_cndmask_b32_e32 v69, 0, v70, vcc_lo
.LBB2_3551:                             ;   in Loop: Header=BB2_3440 Depth=3
	s_or_b32 exec_lo, exec_lo, s17
.LBB2_3552:                             ;   in Loop: Header=BB2_3440 Depth=3
	s_delay_alu instid0(SALU_CYCLE_1) | instskip(SKIP_3) | instid1(VALU_DEP_1)
	s_or_b32 exec_lo, exec_lo, s3
	v_and_b32_e32 v135, 0xff, v67
	s_mov_b32 s3, 0
	s_mov_b32 s17, exec_lo
                                        ; implicit-def: $sgpr13
	v_cmpx_lt_i16_e64 0x7f, v135
	s_xor_b32 s17, exec_lo, s17
	s_cbranch_execnz .LBB2_3622
; %bb.3553:                             ;   in Loop: Header=BB2_3440 Depth=3
	s_or_saveexec_b32 s17, s17
	v_mov_b32_e32 v70, s13
	s_xor_b32 exec_lo, exec_lo, s17
	s_cbranch_execnz .LBB2_3625
.LBB2_3554:                             ;   in Loop: Header=BB2_3440 Depth=3
	s_or_b32 exec_lo, exec_lo, s17
	s_and_saveexec_b32 s13, s3
	s_cbranch_execz .LBB2_3556
.LBB2_3555:                             ;   in Loop: Header=BB2_3440 Depth=3
	v_and_b32_e32 v70, 7, v67
	v_lshrrev_b16 v148, 3, v67
	s_delay_alu instid0(VALU_DEP_2) | instskip(NEXT) | instid1(VALU_DEP_2)
	v_clz_i32_u32_e32 v135, v70
	v_and_b32_e32 v148, 15, v148
	s_delay_alu instid0(VALU_DEP_2) | instskip(NEXT) | instid1(VALU_DEP_2)
	v_min_u32_e32 v135, 32, v135
	v_cmp_eq_u32_e32 vcc_lo, 0, v148
	s_delay_alu instid0(VALU_DEP_2) | instskip(SKIP_1) | instid1(VALU_DEP_2)
	v_subrev_nc_u32_e32 v146, 28, v135
	v_sub_nc_u32_e32 v135, 29, v135
	v_lshlrev_b32_e32 v146, v146, v67
	s_delay_alu instid0(VALU_DEP_1) | instskip(SKIP_1) | instid1(VALU_DEP_2)
	v_dual_cndmask_b32 v135, v148, v135 :: v_dual_and_b32 v146, 7, v146
	v_lshlrev_b32_e32 v67, 24, v67
	v_lshl_add_u32 v135, v135, 23, 0x3b800000
	s_delay_alu instid0(VALU_DEP_2) | instskip(NEXT) | instid1(VALU_DEP_1)
	v_dual_cndmask_b32 v70, v70, v146 :: v_dual_and_b32 v67, 0x80000000, v67
	v_lshlrev_b32_e32 v70, 20, v70
	s_delay_alu instid0(VALU_DEP_1)
	v_or3_b32 v70, v67, v135, v70
.LBB2_3556:                             ;   in Loop: Header=BB2_3440 Depth=3
	s_or_b32 exec_lo, exec_lo, s13
	s_waitcnt vmcnt(0) lgkmcnt(0)
	v_and_b32_e32 v135, 0xff, v66
	s_mov_b32 s3, 0
	s_mov_b32 s17, exec_lo
                                        ; implicit-def: $sgpr13
	s_delay_alu instid0(VALU_DEP_1)
	v_cmpx_lt_i16_e64 0x7f, v135
	s_xor_b32 s17, exec_lo, s17
	s_cbranch_execnz .LBB2_3626
; %bb.3557:                             ;   in Loop: Header=BB2_3440 Depth=3
	s_or_saveexec_b32 s17, s17
	v_mov_b32_e32 v67, s13
	s_xor_b32 exec_lo, exec_lo, s17
	s_cbranch_execnz .LBB2_3629
.LBB2_3558:                             ;   in Loop: Header=BB2_3440 Depth=3
	s_or_b32 exec_lo, exec_lo, s17
	s_and_saveexec_b32 s13, s3
	s_cbranch_execz .LBB2_3560
.LBB2_3559:                             ;   in Loop: Header=BB2_3440 Depth=3
	v_and_b32_e32 v67, 7, v66
	v_lshrrev_b16 v148, 3, v66
	s_delay_alu instid0(VALU_DEP_2) | instskip(NEXT) | instid1(VALU_DEP_2)
	v_clz_i32_u32_e32 v135, v67
	v_and_b32_e32 v148, 15, v148
	s_delay_alu instid0(VALU_DEP_2) | instskip(NEXT) | instid1(VALU_DEP_2)
	v_min_u32_e32 v135, 32, v135
	v_cmp_eq_u32_e32 vcc_lo, 0, v148
	s_delay_alu instid0(VALU_DEP_2) | instskip(SKIP_1) | instid1(VALU_DEP_1)
	v_subrev_nc_u32_e32 v146, 28, v135
	v_sub_nc_u32_e32 v135, 29, v135
	v_dual_cndmask_b32 v135, v148, v135 :: v_dual_lshlrev_b32 v146, v146, v66
	v_lshlrev_b32_e32 v66, 24, v66
	s_delay_alu instid0(VALU_DEP_2) | instskip(NEXT) | instid1(VALU_DEP_3)
	v_and_b32_e32 v146, 7, v146
	v_lshl_add_u32 v135, v135, 23, 0x3b800000
	s_delay_alu instid0(VALU_DEP_3) | instskip(NEXT) | instid1(VALU_DEP_3)
	v_and_b32_e32 v66, 0x80000000, v66
	v_cndmask_b32_e32 v67, v67, v146, vcc_lo
	s_delay_alu instid0(VALU_DEP_1) | instskip(NEXT) | instid1(VALU_DEP_1)
	v_lshlrev_b32_e32 v67, 20, v67
	v_or3_b32 v67, v66, v135, v67
.LBB2_3560:                             ;   in Loop: Header=BB2_3440 Depth=3
	s_or_b32 exec_lo, exec_lo, s13
	s_delay_alu instid0(VALU_DEP_1) | instskip(NEXT) | instid1(VALU_DEP_1)
	v_add_f32_e32 v66, v70, v67
	v_and_b32_e32 v67, 0x7f800000, v66
	s_delay_alu instid0(VALU_DEP_1)
	v_cmp_ne_u32_e32 vcc_lo, 0x7f800000, v67
	v_mov_b32_e32 v67, 0x80
	s_and_saveexec_b32 s3, vcc_lo
	s_cbranch_execz .LBB2_3439
; %bb.3561:                             ;   in Loop: Header=BB2_3440 Depth=3
	v_mov_b32_e32 v67, 0
	s_mov_b32 s17, exec_lo
	v_cmpx_ne_u32_e32 0, v66
	s_cbranch_execz .LBB2_3438
; %bb.3562:                             ;   in Loop: Header=BB2_3440 Depth=3
	v_bfe_u32 v67, v66, 23, 8
	s_delay_alu instid0(VALU_DEP_1) | instskip(SKIP_1) | instid1(VALU_DEP_2)
	v_sub_nc_u32_e32 v135, 0x78, v67
	v_cmp_gt_u32_e32 vcc_lo, 0x79, v67
	v_dual_cndmask_b32 v135, 0, v135 :: v_dual_and_b32 v70, 0x7fffff, v66
	s_delay_alu instid0(VALU_DEP_1) | instskip(SKIP_2) | instid1(VALU_DEP_4)
	v_or_b32_e32 v146, 0x800000, v70
	v_cmp_eq_u32_e32 vcc_lo, 0, v67
	v_add_nc_u32_e32 v67, 0xffffff89, v67
	v_cndmask_b32_e64 v135, v135, 0x77, vcc_lo
	s_delay_alu instid0(VALU_DEP_4) | instskip(NEXT) | instid1(VALU_DEP_3)
	v_cndmask_b32_e32 v70, v146, v70, vcc_lo
	v_cndmask_b32_e64 v67, v67, 0xffffff8a, vcc_lo
	s_delay_alu instid0(VALU_DEP_3) | instskip(NEXT) | instid1(VALU_DEP_3)
	v_lshl_add_u32 v146, 0x100000, v135, -1
	v_lshrrev_b32_e32 v148, v135, v70
	v_lshlrev_b32_e64 v150, v135, 0x80000
	s_delay_alu instid0(VALU_DEP_4) | instskip(NEXT) | instid1(VALU_DEP_4)
	v_add_nc_u32_e32 v135, v135, v67
	v_and_b32_e32 v70, v146, v70
	s_delay_alu instid0(VALU_DEP_4) | instskip(NEXT) | instid1(VALU_DEP_2)
	v_bfe_u32 v149, v148, 20, 1
	v_cmp_eq_u32_e64 s13, v70, v150
	s_delay_alu instid0(VALU_DEP_2) | instskip(NEXT) | instid1(VALU_DEP_1)
	v_add_nc_u32_e32 v146, -1, v149
	v_cndmask_b32_e64 v70, 0, v146, s13
	v_lshrrev_b32_e32 v146, 23, v148
	s_mov_b32 s13, exec_lo
	s_delay_alu instid0(VALU_DEP_2) | instskip(NEXT) | instid1(VALU_DEP_2)
	v_add_nc_u32_e32 v70, v70, v148
	v_xor_b32_e32 v146, 1, v146
	s_delay_alu instid0(VALU_DEP_2) | instskip(NEXT) | instid1(VALU_DEP_1)
	v_and_b32_e32 v67, 0xfffff, v70
	v_add_nc_u32_e32 v70, v67, v148
                                        ; implicit-def: $vgpr67
	s_delay_alu instid0(VALU_DEP_3)
	v_cmpx_ne_u32_e64 v135, v146
	s_xor_b32 s13, exec_lo, s13
; %bb.3563:                             ;   in Loop: Header=BB2_3440 Depth=3
	s_delay_alu instid0(VALU_DEP_2) | instskip(SKIP_2) | instid1(VALU_DEP_2)
	v_cmp_lt_u32_e32 vcc_lo, 0xffffff, v70
	v_sub_nc_u32_e32 v67, v135, v146
	v_cndmask_b32_e64 v135, 0, 1, vcc_lo
	v_add_co_ci_u32_e32 v67, vcc_lo, 0, v67, vcc_lo
	s_delay_alu instid0(VALU_DEP_2)
	v_lshrrev_b32_e32 v70, v135, v70
; %bb.3564:                             ;   in Loop: Header=BB2_3440 Depth=3
	s_and_not1_saveexec_b32 s13, s13
	s_cbranch_execz .LBB2_3437
; %bb.3565:                             ;   in Loop: Header=BB2_3440 Depth=3
	s_delay_alu instid0(VALU_DEP_1)
	v_bfe_u32 v67, v70, 23, 1
	s_branch .LBB2_3437
.LBB2_3566:                             ;   in Loop: Header=BB2_3440 Depth=3
	s_mov_b32 s3, -1
	s_mov_b32 s24, exec_lo
                                        ; implicit-def: $sgpr13
	v_cmpx_eq_u16_e64 0x80, v160
; %bb.3567:                             ;   in Loop: Header=BB2_3440 Depth=3
	s_mov_b32 s13, 0x7f800001
	s_xor_b32 s3, exec_lo, -1
; %bb.3568:                             ;   in Loop: Header=BB2_3440 Depth=3
	s_or_b32 exec_lo, exec_lo, s24
	s_delay_alu instid0(SALU_CYCLE_1)
	s_and_b32 s3, s3, exec_lo
	s_or_saveexec_b32 s17, s17
	v_mov_b32_e32 v151, s13
	s_xor_b32 exec_lo, exec_lo, s17
	s_cbranch_execz .LBB2_3442
.LBB2_3569:                             ;   in Loop: Header=BB2_3440 Depth=3
	v_cmp_ne_u16_e64 vcc_lo, 0, v160
	v_mov_b32_e32 v151, 0
	s_and_not1_b32 s3, s3, exec_lo
	s_delay_alu instid0(VALU_DEP_2) | instskip(NEXT) | instid1(SALU_CYCLE_1)
	s_and_b32 s13, vcc_lo, exec_lo
	s_or_b32 s3, s3, s13
	s_or_b32 exec_lo, exec_lo, s17
	s_and_saveexec_b32 s13, s3
	s_cbranch_execnz .LBB2_3443
	s_branch .LBB2_3444
.LBB2_3570:                             ;   in Loop: Header=BB2_3440 Depth=3
	s_mov_b32 s3, -1
	s_mov_b32 s24, exec_lo
                                        ; implicit-def: $sgpr13
	v_cmpx_eq_u16_e64 0x80, v161
; %bb.3571:                             ;   in Loop: Header=BB2_3440 Depth=3
	s_mov_b32 s13, 0x7f800001
	s_xor_b32 s3, exec_lo, -1
; %bb.3572:                             ;   in Loop: Header=BB2_3440 Depth=3
	s_or_b32 exec_lo, exec_lo, s24
	s_delay_alu instid0(SALU_CYCLE_1)
	s_and_b32 s3, s3, exec_lo
                                        ; implicit-def: $vgpr161
	s_or_saveexec_b32 s17, s17
	v_mov_b32_e32 v160, s13
	s_xor_b32 exec_lo, exec_lo, s17
	s_cbranch_execz .LBB2_3446
.LBB2_3573:                             ;   in Loop: Header=BB2_3440 Depth=3
	v_cmp_ne_u16_e64 vcc_lo, 0, v161
	v_mov_b32_e32 v160, 0
	s_and_not1_b32 s3, s3, exec_lo
	s_delay_alu instid0(VALU_DEP_2) | instskip(NEXT) | instid1(SALU_CYCLE_1)
	s_and_b32 s13, vcc_lo, exec_lo
	s_or_b32 s3, s3, s13
	s_or_b32 exec_lo, exec_lo, s17
	s_and_saveexec_b32 s13, s3
	s_cbranch_execnz .LBB2_3447
	s_branch .LBB2_3448
.LBB2_3574:                             ;   in Loop: Header=BB2_3440 Depth=3
	s_mov_b32 s3, -1
	s_mov_b32 s24, exec_lo
                                        ; implicit-def: $sgpr13
	v_cmpx_eq_u16_e64 0x80, v160
; %bb.3575:                             ;   in Loop: Header=BB2_3440 Depth=3
	s_mov_b32 s13, 0x7f800001
	s_xor_b32 s3, exec_lo, -1
; %bb.3576:                             ;   in Loop: Header=BB2_3440 Depth=3
	s_or_b32 exec_lo, exec_lo, s24
	s_delay_alu instid0(SALU_CYCLE_1)
	s_and_b32 s3, s3, exec_lo
                                        ; implicit-def: $vgpr160
	s_or_saveexec_b32 s17, s17
	v_mov_b32_e32 v151, s13
	s_xor_b32 exec_lo, exec_lo, s17
	s_cbranch_execz .LBB2_3458
.LBB2_3577:                             ;   in Loop: Header=BB2_3440 Depth=3
	v_cmp_ne_u16_e64 vcc_lo, 0, v160
	v_mov_b32_e32 v151, 0
	s_and_not1_b32 s3, s3, exec_lo
	s_delay_alu instid0(VALU_DEP_2) | instskip(NEXT) | instid1(SALU_CYCLE_1)
	s_and_b32 s13, vcc_lo, exec_lo
	s_or_b32 s3, s3, s13
	s_or_b32 exec_lo, exec_lo, s17
	s_and_saveexec_b32 s13, s3
	s_cbranch_execnz .LBB2_3459
	s_branch .LBB2_3460
.LBB2_3578:                             ;   in Loop: Header=BB2_3440 Depth=3
	s_mov_b32 s3, -1
	s_mov_b32 s24, exec_lo
                                        ; implicit-def: $sgpr13
	v_cmpx_eq_u16_e64 0x80, v160
; %bb.3579:                             ;   in Loop: Header=BB2_3440 Depth=3
	s_mov_b32 s13, 0x7f800001
	s_xor_b32 s3, exec_lo, -1
; %bb.3580:                             ;   in Loop: Header=BB2_3440 Depth=3
	s_or_b32 exec_lo, exec_lo, s24
	s_delay_alu instid0(SALU_CYCLE_1)
	s_and_b32 s3, s3, exec_lo
                                        ; implicit-def: $vgpr160
	s_or_saveexec_b32 s17, s17
	v_mov_b32_e32 v150, s13
	s_xor_b32 exec_lo, exec_lo, s17
	s_cbranch_execz .LBB2_3462
.LBB2_3581:                             ;   in Loop: Header=BB2_3440 Depth=3
	v_cmp_ne_u16_e64 vcc_lo, 0, v160
	v_mov_b32_e32 v150, 0
	s_and_not1_b32 s3, s3, exec_lo
	s_delay_alu instid0(VALU_DEP_2) | instskip(NEXT) | instid1(SALU_CYCLE_1)
	s_and_b32 s13, vcc_lo, exec_lo
	s_or_b32 s3, s3, s13
	s_or_b32 exec_lo, exec_lo, s17
	s_and_saveexec_b32 s13, s3
	s_cbranch_execnz .LBB2_3463
	s_branch .LBB2_3464
.LBB2_3582:                             ;   in Loop: Header=BB2_3440 Depth=3
	s_mov_b32 s3, -1
	s_mov_b32 s24, exec_lo
                                        ; implicit-def: $sgpr13
	v_cmpx_eq_u16_e64 0x80, v151
; %bb.3583:                             ;   in Loop: Header=BB2_3440 Depth=3
	s_mov_b32 s13, 0x7f800001
	s_xor_b32 s3, exec_lo, -1
; %bb.3584:                             ;   in Loop: Header=BB2_3440 Depth=3
	s_or_b32 exec_lo, exec_lo, s24
	s_delay_alu instid0(SALU_CYCLE_1)
	s_and_b32 s3, s3, exec_lo
                                        ; implicit-def: $vgpr151
	s_or_saveexec_b32 s17, s17
	v_mov_b32_e32 v150, s13
	s_xor_b32 exec_lo, exec_lo, s17
	s_cbranch_execz .LBB2_3474
.LBB2_3585:                             ;   in Loop: Header=BB2_3440 Depth=3
	v_cmp_ne_u16_e64 vcc_lo, 0, v151
	v_mov_b32_e32 v150, 0
	s_and_not1_b32 s3, s3, exec_lo
	s_delay_alu instid0(VALU_DEP_2) | instskip(NEXT) | instid1(SALU_CYCLE_1)
	s_and_b32 s13, vcc_lo, exec_lo
	s_or_b32 s3, s3, s13
	s_or_b32 exec_lo, exec_lo, s17
	s_and_saveexec_b32 s13, s3
	s_cbranch_execnz .LBB2_3475
	s_branch .LBB2_3476
.LBB2_3586:                             ;   in Loop: Header=BB2_3440 Depth=3
	s_mov_b32 s3, -1
	s_mov_b32 s24, exec_lo
                                        ; implicit-def: $sgpr13
	v_cmpx_eq_u16_e64 0x80, v151
; %bb.3587:                             ;   in Loop: Header=BB2_3440 Depth=3
	s_mov_b32 s13, 0x7f800001
	s_xor_b32 s3, exec_lo, -1
; %bb.3588:                             ;   in Loop: Header=BB2_3440 Depth=3
	s_or_b32 exec_lo, exec_lo, s24
	s_delay_alu instid0(SALU_CYCLE_1)
	s_and_b32 s3, s3, exec_lo
                                        ; implicit-def: $vgpr151
	s_or_saveexec_b32 s17, s17
	v_mov_b32_e32 v149, s13
	s_xor_b32 exec_lo, exec_lo, s17
	s_cbranch_execz .LBB2_3478
.LBB2_3589:                             ;   in Loop: Header=BB2_3440 Depth=3
	v_cmp_ne_u16_e64 vcc_lo, 0, v151
	v_mov_b32_e32 v149, 0
	s_and_not1_b32 s3, s3, exec_lo
	s_delay_alu instid0(VALU_DEP_2) | instskip(NEXT) | instid1(SALU_CYCLE_1)
	s_and_b32 s13, vcc_lo, exec_lo
	s_or_b32 s3, s3, s13
	s_or_b32 exec_lo, exec_lo, s17
	s_and_saveexec_b32 s13, s3
	s_cbranch_execnz .LBB2_3479
	s_branch .LBB2_3480
.LBB2_3590:                             ;   in Loop: Header=BB2_3440 Depth=3
	s_mov_b32 s3, -1
	s_mov_b32 s24, exec_lo
                                        ; implicit-def: $sgpr13
	v_cmpx_eq_u16_e64 0x80, v150
; %bb.3591:                             ;   in Loop: Header=BB2_3440 Depth=3
	s_mov_b32 s13, 0x7f800001
	s_xor_b32 s3, exec_lo, -1
; %bb.3592:                             ;   in Loop: Header=BB2_3440 Depth=3
	s_or_b32 exec_lo, exec_lo, s24
	s_delay_alu instid0(SALU_CYCLE_1)
	s_and_b32 s3, s3, exec_lo
                                        ; implicit-def: $vgpr150
	s_or_saveexec_b32 s17, s17
	v_mov_b32_e32 v149, s13
	s_xor_b32 exec_lo, exec_lo, s17
	s_cbranch_execz .LBB2_3490
.LBB2_3593:                             ;   in Loop: Header=BB2_3440 Depth=3
	v_cmp_ne_u16_e64 vcc_lo, 0, v150
	v_mov_b32_e32 v149, 0
	s_and_not1_b32 s3, s3, exec_lo
	s_delay_alu instid0(VALU_DEP_2) | instskip(NEXT) | instid1(SALU_CYCLE_1)
	s_and_b32 s13, vcc_lo, exec_lo
	s_or_b32 s3, s3, s13
	s_or_b32 exec_lo, exec_lo, s17
	s_and_saveexec_b32 s13, s3
	s_cbranch_execnz .LBB2_3491
	s_branch .LBB2_3492
.LBB2_3594:                             ;   in Loop: Header=BB2_3440 Depth=3
	s_mov_b32 s3, -1
	s_mov_b32 s24, exec_lo
                                        ; implicit-def: $sgpr13
	v_cmpx_eq_u16_e64 0x80, v150
; %bb.3595:                             ;   in Loop: Header=BB2_3440 Depth=3
	s_mov_b32 s13, 0x7f800001
	s_xor_b32 s3, exec_lo, -1
; %bb.3596:                             ;   in Loop: Header=BB2_3440 Depth=3
	s_or_b32 exec_lo, exec_lo, s24
	s_delay_alu instid0(SALU_CYCLE_1)
	s_and_b32 s3, s3, exec_lo
                                        ; implicit-def: $vgpr150
	s_or_saveexec_b32 s17, s17
	v_mov_b32_e32 v148, s13
	s_xor_b32 exec_lo, exec_lo, s17
	s_cbranch_execz .LBB2_3494
.LBB2_3597:                             ;   in Loop: Header=BB2_3440 Depth=3
	v_cmp_ne_u16_e64 vcc_lo, 0, v150
	v_mov_b32_e32 v148, 0
	s_and_not1_b32 s3, s3, exec_lo
	s_delay_alu instid0(VALU_DEP_2) | instskip(NEXT) | instid1(SALU_CYCLE_1)
	s_and_b32 s13, vcc_lo, exec_lo
	s_or_b32 s3, s3, s13
	s_or_b32 exec_lo, exec_lo, s17
	s_and_saveexec_b32 s13, s3
	s_cbranch_execnz .LBB2_3495
	s_branch .LBB2_3496
.LBB2_3598:                             ;   in Loop: Header=BB2_3440 Depth=3
	s_mov_b32 s3, -1
	s_mov_b32 s24, exec_lo
                                        ; implicit-def: $sgpr13
	v_cmpx_eq_u16_e64 0x80, v149
; %bb.3599:                             ;   in Loop: Header=BB2_3440 Depth=3
	s_mov_b32 s13, 0x7f800001
	s_xor_b32 s3, exec_lo, -1
; %bb.3600:                             ;   in Loop: Header=BB2_3440 Depth=3
	s_or_b32 exec_lo, exec_lo, s24
	s_delay_alu instid0(SALU_CYCLE_1)
	s_and_b32 s3, s3, exec_lo
                                        ; implicit-def: $vgpr149
	s_or_saveexec_b32 s17, s17
	v_mov_b32_e32 v148, s13
	s_xor_b32 exec_lo, exec_lo, s17
	s_cbranch_execz .LBB2_3506
.LBB2_3601:                             ;   in Loop: Header=BB2_3440 Depth=3
	v_cmp_ne_u16_e64 vcc_lo, 0, v149
	v_mov_b32_e32 v148, 0
	s_and_not1_b32 s3, s3, exec_lo
	s_delay_alu instid0(VALU_DEP_2) | instskip(NEXT) | instid1(SALU_CYCLE_1)
	s_and_b32 s13, vcc_lo, exec_lo
	s_or_b32 s3, s3, s13
	s_or_b32 exec_lo, exec_lo, s17
	s_and_saveexec_b32 s13, s3
	s_cbranch_execnz .LBB2_3507
	s_branch .LBB2_3508
.LBB2_3602:                             ;   in Loop: Header=BB2_3440 Depth=3
	s_mov_b32 s3, -1
	s_mov_b32 s24, exec_lo
                                        ; implicit-def: $sgpr13
	v_cmpx_eq_u16_e64 0x80, v149
; %bb.3603:                             ;   in Loop: Header=BB2_3440 Depth=3
	s_mov_b32 s13, 0x7f800001
	s_xor_b32 s3, exec_lo, -1
; %bb.3604:                             ;   in Loop: Header=BB2_3440 Depth=3
	s_or_b32 exec_lo, exec_lo, s24
	s_delay_alu instid0(SALU_CYCLE_1)
	s_and_b32 s3, s3, exec_lo
                                        ; implicit-def: $vgpr149
	s_or_saveexec_b32 s17, s17
	v_mov_b32_e32 v146, s13
	s_xor_b32 exec_lo, exec_lo, s17
	s_cbranch_execz .LBB2_3510
.LBB2_3605:                             ;   in Loop: Header=BB2_3440 Depth=3
	v_cmp_ne_u16_e64 vcc_lo, 0, v149
	v_mov_b32_e32 v146, 0
	s_and_not1_b32 s3, s3, exec_lo
	s_delay_alu instid0(VALU_DEP_2) | instskip(NEXT) | instid1(SALU_CYCLE_1)
	s_and_b32 s13, vcc_lo, exec_lo
	s_or_b32 s3, s3, s13
	s_or_b32 exec_lo, exec_lo, s17
	s_and_saveexec_b32 s13, s3
	s_cbranch_execnz .LBB2_3511
	s_branch .LBB2_3512
.LBB2_3606:                             ;   in Loop: Header=BB2_3440 Depth=3
	s_mov_b32 s3, -1
	s_mov_b32 s24, exec_lo
                                        ; implicit-def: $sgpr13
	v_cmpx_eq_u16_e64 0x80, v148
; %bb.3607:                             ;   in Loop: Header=BB2_3440 Depth=3
	s_mov_b32 s13, 0x7f800001
	s_xor_b32 s3, exec_lo, -1
; %bb.3608:                             ;   in Loop: Header=BB2_3440 Depth=3
	s_or_b32 exec_lo, exec_lo, s24
	s_delay_alu instid0(SALU_CYCLE_1)
	s_and_b32 s3, s3, exec_lo
                                        ; implicit-def: $vgpr148
	s_or_saveexec_b32 s17, s17
	v_mov_b32_e32 v146, s13
	s_xor_b32 exec_lo, exec_lo, s17
	s_cbranch_execz .LBB2_3522
.LBB2_3609:                             ;   in Loop: Header=BB2_3440 Depth=3
	v_cmp_ne_u16_e64 vcc_lo, 0, v148
	v_mov_b32_e32 v146, 0
	s_and_not1_b32 s3, s3, exec_lo
	s_delay_alu instid0(VALU_DEP_2) | instskip(NEXT) | instid1(SALU_CYCLE_1)
	s_and_b32 s13, vcc_lo, exec_lo
	s_or_b32 s3, s3, s13
	s_or_b32 exec_lo, exec_lo, s17
	s_and_saveexec_b32 s13, s3
	s_cbranch_execnz .LBB2_3523
	s_branch .LBB2_3524
.LBB2_3610:                             ;   in Loop: Header=BB2_3440 Depth=3
	s_mov_b32 s3, -1
	s_mov_b32 s24, exec_lo
                                        ; implicit-def: $sgpr13
	v_cmpx_eq_u16_e64 0x80, v148
; %bb.3611:                             ;   in Loop: Header=BB2_3440 Depth=3
	s_mov_b32 s13, 0x7f800001
	s_xor_b32 s3, exec_lo, -1
; %bb.3612:                             ;   in Loop: Header=BB2_3440 Depth=3
	s_or_b32 exec_lo, exec_lo, s24
	s_delay_alu instid0(SALU_CYCLE_1)
	s_and_b32 s3, s3, exec_lo
                                        ; implicit-def: $vgpr148
	s_or_saveexec_b32 s17, s17
	v_mov_b32_e32 v135, s13
	s_xor_b32 exec_lo, exec_lo, s17
	s_cbranch_execz .LBB2_3526
.LBB2_3613:                             ;   in Loop: Header=BB2_3440 Depth=3
	v_cmp_ne_u16_e64 vcc_lo, 0, v148
	v_mov_b32_e32 v135, 0
	s_and_not1_b32 s3, s3, exec_lo
	s_delay_alu instid0(VALU_DEP_2) | instskip(NEXT) | instid1(SALU_CYCLE_1)
	s_and_b32 s13, vcc_lo, exec_lo
	s_or_b32 s3, s3, s13
	s_or_b32 exec_lo, exec_lo, s17
	s_and_saveexec_b32 s13, s3
	s_cbranch_execnz .LBB2_3527
	s_branch .LBB2_3528
.LBB2_3614:                             ;   in Loop: Header=BB2_3440 Depth=3
	s_mov_b32 s3, -1
	s_mov_b32 s24, exec_lo
                                        ; implicit-def: $sgpr13
	v_cmpx_eq_u16_e64 0x80, v146
; %bb.3615:                             ;   in Loop: Header=BB2_3440 Depth=3
	s_mov_b32 s13, 0x7f800001
	s_xor_b32 s3, exec_lo, -1
; %bb.3616:                             ;   in Loop: Header=BB2_3440 Depth=3
	s_or_b32 exec_lo, exec_lo, s24
	s_delay_alu instid0(SALU_CYCLE_1)
	s_and_b32 s3, s3, exec_lo
                                        ; implicit-def: $vgpr146
	s_or_saveexec_b32 s17, s17
	v_mov_b32_e32 v135, s13
	s_xor_b32 exec_lo, exec_lo, s17
	s_cbranch_execz .LBB2_3538
.LBB2_3617:                             ;   in Loop: Header=BB2_3440 Depth=3
	v_cmp_ne_u16_e64 vcc_lo, 0, v146
	v_mov_b32_e32 v135, 0
	s_and_not1_b32 s3, s3, exec_lo
	s_delay_alu instid0(VALU_DEP_2) | instskip(NEXT) | instid1(SALU_CYCLE_1)
	s_and_b32 s13, vcc_lo, exec_lo
	s_or_b32 s3, s3, s13
	s_or_b32 exec_lo, exec_lo, s17
	s_and_saveexec_b32 s13, s3
	s_cbranch_execnz .LBB2_3539
	s_branch .LBB2_3540
.LBB2_3618:                             ;   in Loop: Header=BB2_3440 Depth=3
	s_mov_b32 s3, -1
	s_mov_b32 s24, exec_lo
                                        ; implicit-def: $sgpr13
	v_cmpx_eq_u16_e64 0x80, v146
; %bb.3619:                             ;   in Loop: Header=BB2_3440 Depth=3
	s_mov_b32 s13, 0x7f800001
	s_xor_b32 s3, exec_lo, -1
; %bb.3620:                             ;   in Loop: Header=BB2_3440 Depth=3
	s_or_b32 exec_lo, exec_lo, s24
	s_delay_alu instid0(SALU_CYCLE_1)
	s_and_b32 s3, s3, exec_lo
                                        ; implicit-def: $vgpr146
	s_or_saveexec_b32 s17, s17
	v_mov_b32_e32 v70, s13
	s_xor_b32 exec_lo, exec_lo, s17
	s_cbranch_execz .LBB2_3542
.LBB2_3621:                             ;   in Loop: Header=BB2_3440 Depth=3
	v_cmp_ne_u16_e64 vcc_lo, 0, v146
	v_mov_b32_e32 v70, 0
	s_and_not1_b32 s3, s3, exec_lo
	s_delay_alu instid0(VALU_DEP_2) | instskip(NEXT) | instid1(SALU_CYCLE_1)
	s_and_b32 s13, vcc_lo, exec_lo
	s_or_b32 s3, s3, s13
	s_or_b32 exec_lo, exec_lo, s17
	s_and_saveexec_b32 s13, s3
	s_cbranch_execnz .LBB2_3543
	s_branch .LBB2_3544
.LBB2_3622:                             ;   in Loop: Header=BB2_3440 Depth=3
	s_mov_b32 s3, -1
	s_mov_b32 s24, exec_lo
                                        ; implicit-def: $sgpr13
	v_cmpx_eq_u16_e64 0x80, v135
; %bb.3623:                             ;   in Loop: Header=BB2_3440 Depth=3
	s_mov_b32 s13, 0x7f800001
	s_xor_b32 s3, exec_lo, -1
; %bb.3624:                             ;   in Loop: Header=BB2_3440 Depth=3
	s_or_b32 exec_lo, exec_lo, s24
	s_delay_alu instid0(SALU_CYCLE_1)
	s_and_b32 s3, s3, exec_lo
                                        ; implicit-def: $vgpr135
	s_or_saveexec_b32 s17, s17
	v_mov_b32_e32 v70, s13
	s_xor_b32 exec_lo, exec_lo, s17
	s_cbranch_execz .LBB2_3554
.LBB2_3625:                             ;   in Loop: Header=BB2_3440 Depth=3
	v_cmp_ne_u16_e64 vcc_lo, 0, v135
	v_mov_b32_e32 v70, 0
	s_and_not1_b32 s3, s3, exec_lo
	s_delay_alu instid0(VALU_DEP_2) | instskip(NEXT) | instid1(SALU_CYCLE_1)
	s_and_b32 s13, vcc_lo, exec_lo
	s_or_b32 s3, s3, s13
	s_or_b32 exec_lo, exec_lo, s17
	s_and_saveexec_b32 s13, s3
	s_cbranch_execnz .LBB2_3555
	s_branch .LBB2_3556
.LBB2_3626:                             ;   in Loop: Header=BB2_3440 Depth=3
	s_mov_b32 s3, -1
	s_mov_b32 s24, exec_lo
                                        ; implicit-def: $sgpr13
	v_cmpx_eq_u16_e64 0x80, v135
; %bb.3627:                             ;   in Loop: Header=BB2_3440 Depth=3
	s_mov_b32 s13, 0x7f800001
	s_xor_b32 s3, exec_lo, -1
; %bb.3628:                             ;   in Loop: Header=BB2_3440 Depth=3
	s_or_b32 exec_lo, exec_lo, s24
	s_delay_alu instid0(SALU_CYCLE_1)
	s_and_b32 s3, s3, exec_lo
                                        ; implicit-def: $vgpr135
	s_or_saveexec_b32 s17, s17
	v_mov_b32_e32 v67, s13
	s_xor_b32 exec_lo, exec_lo, s17
	s_cbranch_execz .LBB2_3558
.LBB2_3629:                             ;   in Loop: Header=BB2_3440 Depth=3
	v_cmp_ne_u16_e64 vcc_lo, 0, v135
	v_mov_b32_e32 v67, 0
	s_and_not1_b32 s3, s3, exec_lo
	s_delay_alu instid0(VALU_DEP_2) | instskip(NEXT) | instid1(SALU_CYCLE_1)
	s_and_b32 s13, vcc_lo, exec_lo
	s_or_b32 s3, s3, s13
	s_or_b32 exec_lo, exec_lo, s17
	s_and_saveexec_b32 s13, s3
	s_cbranch_execnz .LBB2_3559
	s_branch .LBB2_3560
.LBB2_3630:                             ;   in Loop: Header=BB2_1542 Depth=2
	s_or_b32 exec_lo, exec_lo, s16
.LBB2_3631:                             ;   in Loop: Header=BB2_1542 Depth=2
	s_delay_alu instid0(SALU_CYCLE_1) | instskip(SKIP_2) | instid1(VALU_DEP_1)
	s_or_b32 exec_lo, exec_lo, s15
	v_lshlrev_b32_e32 v8, 8, v65
	s_mov_b32 s3, exec_lo
	v_cmpx_ne_u32_e64 v15, v8
	s_cbranch_execz .LBB2_3660
; %bb.3632:                             ;   in Loop: Header=BB2_1542 Depth=2
	v_ashrrev_i32_e32 v9, 31, v64
	v_lshlrev_b32_e32 v2, 5, v2
	s_delay_alu instid0(VALU_DEP_2) | instskip(NEXT) | instid1(VALU_DEP_1)
	v_lshrrev_b32_e32 v9, 27, v9
	v_add_nc_u32_e32 v9, v64, v9
	s_delay_alu instid0(VALU_DEP_1) | instskip(NEXT) | instid1(VALU_DEP_1)
	v_and_b32_e32 v9, 0xffffffe0, v9
	v_sub_nc_u32_e32 v9, v64, v9
	s_delay_alu instid0(VALU_DEP_1) | instskip(NEXT) | instid1(VALU_DEP_1)
	v_sub_nc_u32_e32 v2, v9, v2
	v_add_nc_u32_e32 v8, v8, v2
	s_delay_alu instid0(VALU_DEP_1) | instskip(NEXT) | instid1(VALU_DEP_1)
	v_sub_nc_u32_e32 v2, v15, v8
	v_cmp_lt_i32_e32 vcc_lo, 0, v2
	s_and_b32 exec_lo, exec_lo, vcc_lo
	s_cbranch_execz .LBB2_3660
; %bb.3633:                             ;   in Loop: Header=BB2_1542 Depth=2
	s_cbranch_execnz .LBB2_4786
; %bb.3634:                             ;   in Loop: Header=BB2_1542 Depth=2
	ds_load_b128 v[9:12], v0
	ds_load_b64 v[64:65], v0
	v_add_nc_u32_e32 v13, v8, v14
	s_mov_b32 s15, 0
	s_delay_alu instid0(VALU_DEP_1) | instskip(SKIP_2) | instid1(VALU_DEP_2)
	v_ashrrev_i32_e32 v14, 31, v13
	s_waitcnt lgkmcnt(1)
	v_add_co_u32 v8, vcc_lo, v9, v13
	v_add_co_ci_u32_e32 v9, vcc_lo, v10, v14, vcc_lo
	v_add_co_u32 v10, vcc_lo, v11, v13
	v_add_co_ci_u32_e32 v11, vcc_lo, v12, v14, vcc_lo
	s_waitcnt lgkmcnt(0)
	v_add_co_u32 v12, vcc_lo, v64, v13
	v_add_co_ci_u32_e32 v13, vcc_lo, v65, v14, vcc_lo
	s_branch .LBB2_3638
.LBB2_3635:                             ;   in Loop: Header=BB2_3638 Depth=3
	s_or_b32 exec_lo, exec_lo, s13
	s_delay_alu instid0(VALU_DEP_1) | instskip(NEXT) | instid1(VALU_DEP_2)
	v_lshrrev_b32_e32 v64, 20, v64
	v_cmp_gt_i32_e32 vcc_lo, 16, v15
	v_min_i32_e32 v65, 15, v15
	v_lshrrev_b32_e32 v14, 24, v14
	s_delay_alu instid0(VALU_DEP_2) | instskip(NEXT) | instid1(VALU_DEP_2)
	v_dual_cndmask_b32 v64, 7, v64 :: v_dual_lshlrev_b32 v65, 3, v65
	v_and_b32_e32 v14, 0x80, v14
	s_delay_alu instid0(VALU_DEP_2) | instskip(NEXT) | instid1(VALU_DEP_1)
	v_or_b32_e32 v15, v15, v64
	v_cmp_ne_u32_e32 vcc_lo, 0, v15
	v_and_b32_e32 v66, 7, v64
	s_delay_alu instid0(VALU_DEP_1) | instskip(NEXT) | instid1(VALU_DEP_1)
	v_or3_b32 v14, v65, v14, v66
	v_cndmask_b32_e32 v15, 0, v14, vcc_lo
.LBB2_3636:                             ;   in Loop: Header=BB2_3638 Depth=3
	s_or_b32 exec_lo, exec_lo, s17
.LBB2_3637:                             ;   in Loop: Header=BB2_3638 Depth=3
	s_delay_alu instid0(SALU_CYCLE_1)
	s_or_b32 exec_lo, exec_lo, s16
	v_add_co_u32 v8, vcc_lo, v8, v114
	v_sub_nc_u32_e32 v2, v2, v99
	v_add_co_ci_u32_e32 v9, vcc_lo, v9, v115, vcc_lo
	v_add_co_u32 v10, vcc_lo, v10, v114
	v_add_co_ci_u32_e32 v11, vcc_lo, v11, v115, vcc_lo
	flat_store_b8 v[12:13], v15 glc slc dlc
	v_cmp_gt_i32_e32 vcc_lo, 1, v2
	v_add_co_u32 v12, s13, v12, v114
	s_delay_alu instid0(VALU_DEP_1) | instskip(SKIP_1) | instid1(SALU_CYCLE_1)
	v_add_co_ci_u32_e64 v13, s13, v13, v115, s13
	s_or_b32 s15, vcc_lo, s15
	s_and_not1_b32 exec_lo, exec_lo, s15
	s_cbranch_execz .LBB2_3660
.LBB2_3638:                             ;   Parent Loop BB2_51 Depth=1
                                        ;     Parent Loop BB2_1542 Depth=2
                                        ; =>    This Inner Loop Header: Depth=3
	flat_load_u8 v64, v[8:9] slc dlc
	flat_load_u8 v14, v[10:11] slc dlc
	s_mov_b32 s13, 0
	s_mov_b32 s17, exec_lo
                                        ; implicit-def: $sgpr16
	s_waitcnt vmcnt(1) lgkmcnt(1)
	v_cmpx_lt_i16_e32 0x7f, v64
	s_xor_b32 s17, exec_lo, s17
	s_cbranch_execnz .LBB2_3652
; %bb.3639:                             ;   in Loop: Header=BB2_3638 Depth=3
	s_or_saveexec_b32 s17, s17
	v_mov_b32_e32 v15, s16
	s_xor_b32 exec_lo, exec_lo, s17
	s_cbranch_execnz .LBB2_3655
.LBB2_3640:                             ;   in Loop: Header=BB2_3638 Depth=3
	s_or_b32 exec_lo, exec_lo, s17
	s_and_saveexec_b32 s16, s13
	s_cbranch_execz .LBB2_3642
.LBB2_3641:                             ;   in Loop: Header=BB2_3638 Depth=3
	v_and_b32_e32 v15, 0xffff, v64
	s_delay_alu instid0(VALU_DEP_1) | instskip(NEXT) | instid1(VALU_DEP_1)
	v_and_b32_e32 v65, 7, v15
	v_clz_i32_u32_e32 v66, v65
	s_delay_alu instid0(VALU_DEP_1) | instskip(NEXT) | instid1(VALU_DEP_1)
	v_min_u32_e32 v66, 32, v66
	v_subrev_nc_u32_e32 v67, 28, v66
	v_sub_nc_u32_e32 v66, 29, v66
	s_delay_alu instid0(VALU_DEP_2) | instskip(SKIP_1) | instid1(VALU_DEP_2)
	v_lshlrev_b32_e32 v67, v67, v15
	v_bfe_u32 v15, v15, 3, 4
	v_and_b32_e32 v67, 7, v67
	s_delay_alu instid0(VALU_DEP_2) | instskip(SKIP_1) | instid1(VALU_DEP_1)
	v_cmp_eq_u32_e32 vcc_lo, 0, v15
	v_dual_cndmask_b32 v15, v15, v66 :: v_dual_lshlrev_b32 v64, 24, v64
	v_dual_cndmask_b32 v65, v65, v67 :: v_dual_and_b32 v64, 0x80000000, v64
	s_delay_alu instid0(VALU_DEP_2) | instskip(NEXT) | instid1(VALU_DEP_2)
	v_lshl_add_u32 v15, v15, 23, 0x3b800000
	v_lshlrev_b32_e32 v65, 20, v65
	s_delay_alu instid0(VALU_DEP_1)
	v_or3_b32 v15, v64, v15, v65
.LBB2_3642:                             ;   in Loop: Header=BB2_3638 Depth=3
	s_or_b32 exec_lo, exec_lo, s16
	s_waitcnt vmcnt(0) lgkmcnt(0)
	v_and_b32_e32 v65, 0xff, v14
	s_mov_b32 s13, 0
	s_mov_b32 s17, exec_lo
                                        ; implicit-def: $sgpr16
	s_delay_alu instid0(VALU_DEP_1)
	v_cmpx_lt_i16_e32 0x7f, v65
	s_xor_b32 s17, exec_lo, s17
	s_cbranch_execnz .LBB2_3656
; %bb.3643:                             ;   in Loop: Header=BB2_3638 Depth=3
	s_or_saveexec_b32 s17, s17
	v_mov_b32_e32 v64, s16
	s_xor_b32 exec_lo, exec_lo, s17
	s_cbranch_execnz .LBB2_3659
.LBB2_3644:                             ;   in Loop: Header=BB2_3638 Depth=3
	s_or_b32 exec_lo, exec_lo, s17
	s_and_saveexec_b32 s16, s13
	s_cbranch_execz .LBB2_3646
.LBB2_3645:                             ;   in Loop: Header=BB2_3638 Depth=3
	v_lshrrev_b16 v67, 3, v14
	s_delay_alu instid0(VALU_DEP_1) | instskip(NEXT) | instid1(VALU_DEP_1)
	v_and_b32_e32 v67, 15, v67
	v_cmp_eq_u32_e32 vcc_lo, 0, v67
	v_and_b32_e32 v64, 7, v14
	s_delay_alu instid0(VALU_DEP_1) | instskip(NEXT) | instid1(VALU_DEP_1)
	v_clz_i32_u32_e32 v65, v64
	v_min_u32_e32 v65, 32, v65
	s_delay_alu instid0(VALU_DEP_1) | instskip(SKIP_1) | instid1(VALU_DEP_1)
	v_subrev_nc_u32_e32 v66, 28, v65
	v_sub_nc_u32_e32 v65, 29, v65
	v_dual_cndmask_b32 v65, v67, v65 :: v_dual_lshlrev_b32 v66, v66, v14
	v_lshlrev_b32_e32 v14, 24, v14
	s_delay_alu instid0(VALU_DEP_2) | instskip(NEXT) | instid1(VALU_DEP_3)
	v_and_b32_e32 v66, 7, v66
	v_lshl_add_u32 v65, v65, 23, 0x3b800000
	s_delay_alu instid0(VALU_DEP_3) | instskip(NEXT) | instid1(VALU_DEP_3)
	v_and_b32_e32 v14, 0x80000000, v14
	v_cndmask_b32_e32 v64, v64, v66, vcc_lo
	s_delay_alu instid0(VALU_DEP_1) | instskip(NEXT) | instid1(VALU_DEP_1)
	v_lshlrev_b32_e32 v64, 20, v64
	v_or3_b32 v64, v14, v65, v64
.LBB2_3646:                             ;   in Loop: Header=BB2_3638 Depth=3
	s_or_b32 exec_lo, exec_lo, s16
	s_delay_alu instid0(VALU_DEP_1) | instskip(NEXT) | instid1(VALU_DEP_1)
	v_add_f32_e32 v14, v15, v64
	v_and_b32_e32 v15, 0x7f800000, v14
	s_delay_alu instid0(VALU_DEP_1)
	v_cmp_ne_u32_e32 vcc_lo, 0x7f800000, v15
	v_mov_b32_e32 v15, 0x80
	s_and_saveexec_b32 s16, vcc_lo
	s_cbranch_execz .LBB2_3637
; %bb.3647:                             ;   in Loop: Header=BB2_3638 Depth=3
	v_mov_b32_e32 v15, 0
	s_mov_b32 s17, exec_lo
	v_cmpx_ne_u32_e32 0, v14
	s_cbranch_execz .LBB2_3636
; %bb.3648:                             ;   in Loop: Header=BB2_3638 Depth=3
	v_bfe_u32 v15, v14, 23, 8
	s_delay_alu instid0(VALU_DEP_1) | instskip(SKIP_1) | instid1(VALU_DEP_2)
	v_sub_nc_u32_e32 v65, 0x78, v15
	v_cmp_gt_u32_e32 vcc_lo, 0x79, v15
	v_dual_cndmask_b32 v65, 0, v65 :: v_dual_and_b32 v64, 0x7fffff, v14
	s_delay_alu instid0(VALU_DEP_1) | instskip(SKIP_2) | instid1(VALU_DEP_4)
	v_or_b32_e32 v66, 0x800000, v64
	v_cmp_eq_u32_e32 vcc_lo, 0, v15
	v_add_nc_u32_e32 v15, 0xffffff89, v15
	v_cndmask_b32_e64 v65, v65, 0x77, vcc_lo
	s_delay_alu instid0(VALU_DEP_4) | instskip(NEXT) | instid1(VALU_DEP_3)
	v_cndmask_b32_e32 v64, v66, v64, vcc_lo
	v_cndmask_b32_e64 v15, v15, 0xffffff8a, vcc_lo
	s_delay_alu instid0(VALU_DEP_3) | instskip(NEXT) | instid1(VALU_DEP_3)
	v_lshl_add_u32 v66, 0x100000, v65, -1
	v_lshrrev_b32_e32 v67, v65, v64
	v_lshlrev_b32_e64 v69, v65, 0x80000
	s_delay_alu instid0(VALU_DEP_4) | instskip(NEXT) | instid1(VALU_DEP_4)
	v_add_nc_u32_e32 v65, v65, v15
	v_and_b32_e32 v64, v66, v64
	s_delay_alu instid0(VALU_DEP_4) | instskip(NEXT) | instid1(VALU_DEP_2)
	v_bfe_u32 v68, v67, 20, 1
	v_cmp_eq_u32_e64 s13, v64, v69
	s_delay_alu instid0(VALU_DEP_2) | instskip(NEXT) | instid1(VALU_DEP_1)
	v_add_nc_u32_e32 v66, -1, v68
	v_cndmask_b32_e64 v64, 0, v66, s13
	v_lshrrev_b32_e32 v66, 23, v67
	s_mov_b32 s13, exec_lo
	s_delay_alu instid0(VALU_DEP_2) | instskip(NEXT) | instid1(VALU_DEP_2)
	v_add_nc_u32_e32 v64, v64, v67
	v_xor_b32_e32 v66, 1, v66
	s_delay_alu instid0(VALU_DEP_2) | instskip(NEXT) | instid1(VALU_DEP_1)
	v_and_b32_e32 v15, 0xfffff, v64
	v_add_nc_u32_e32 v64, v15, v67
                                        ; implicit-def: $vgpr15
	s_delay_alu instid0(VALU_DEP_3)
	v_cmpx_ne_u32_e64 v65, v66
	s_xor_b32 s13, exec_lo, s13
; %bb.3649:                             ;   in Loop: Header=BB2_3638 Depth=3
	s_delay_alu instid0(VALU_DEP_2) | instskip(SKIP_2) | instid1(VALU_DEP_2)
	v_cmp_lt_u32_e32 vcc_lo, 0xffffff, v64
	v_sub_nc_u32_e32 v15, v65, v66
	v_cndmask_b32_e64 v65, 0, 1, vcc_lo
	v_add_co_ci_u32_e32 v15, vcc_lo, 0, v15, vcc_lo
	s_delay_alu instid0(VALU_DEP_2)
	v_lshrrev_b32_e32 v64, v65, v64
; %bb.3650:                             ;   in Loop: Header=BB2_3638 Depth=3
	s_and_not1_saveexec_b32 s13, s13
	s_cbranch_execz .LBB2_3635
; %bb.3651:                             ;   in Loop: Header=BB2_3638 Depth=3
	s_delay_alu instid0(VALU_DEP_1)
	v_bfe_u32 v15, v64, 23, 1
	s_branch .LBB2_3635
.LBB2_3652:                             ;   in Loop: Header=BB2_3638 Depth=3
	s_mov_b32 s13, -1
	s_mov_b32 s24, exec_lo
                                        ; implicit-def: $sgpr16
	v_cmpx_eq_u16_e32 0x80, v64
; %bb.3653:                             ;   in Loop: Header=BB2_3638 Depth=3
	s_mov_b32 s16, 0x7f800001
	s_xor_b32 s13, exec_lo, -1
; %bb.3654:                             ;   in Loop: Header=BB2_3638 Depth=3
	s_or_b32 exec_lo, exec_lo, s24
	s_delay_alu instid0(SALU_CYCLE_1)
	s_and_b32 s13, s13, exec_lo
	s_or_saveexec_b32 s17, s17
	v_mov_b32_e32 v15, s16
	s_xor_b32 exec_lo, exec_lo, s17
	s_cbranch_execz .LBB2_3640
.LBB2_3655:                             ;   in Loop: Header=BB2_3638 Depth=3
	v_cmp_ne_u16_e32 vcc_lo, 0, v64
	v_mov_b32_e32 v15, 0
	s_and_not1_b32 s13, s13, exec_lo
	s_and_b32 s16, vcc_lo, exec_lo
	s_delay_alu instid0(SALU_CYCLE_1)
	s_or_b32 s13, s13, s16
	s_or_b32 exec_lo, exec_lo, s17
	s_and_saveexec_b32 s16, s13
	s_cbranch_execnz .LBB2_3641
	s_branch .LBB2_3642
.LBB2_3656:                             ;   in Loop: Header=BB2_3638 Depth=3
	s_mov_b32 s13, -1
	s_mov_b32 s24, exec_lo
                                        ; implicit-def: $sgpr16
	v_cmpx_eq_u16_e32 0x80, v65
; %bb.3657:                             ;   in Loop: Header=BB2_3638 Depth=3
	s_mov_b32 s16, 0x7f800001
	s_xor_b32 s13, exec_lo, -1
; %bb.3658:                             ;   in Loop: Header=BB2_3638 Depth=3
	s_or_b32 exec_lo, exec_lo, s24
	s_delay_alu instid0(SALU_CYCLE_1)
	s_and_b32 s13, s13, exec_lo
                                        ; implicit-def: $vgpr65
	s_or_saveexec_b32 s17, s17
	v_mov_b32_e32 v64, s16
	s_xor_b32 exec_lo, exec_lo, s17
	s_cbranch_execz .LBB2_3644
.LBB2_3659:                             ;   in Loop: Header=BB2_3638 Depth=3
	v_cmp_ne_u16_e32 vcc_lo, 0, v65
	v_mov_b32_e32 v64, 0
	s_and_not1_b32 s13, s13, exec_lo
	s_and_b32 s16, vcc_lo, exec_lo
	s_delay_alu instid0(SALU_CYCLE_1)
	s_or_b32 s13, s13, s16
	s_or_b32 exec_lo, exec_lo, s17
	s_and_saveexec_b32 s16, s13
	s_cbranch_execnz .LBB2_3645
	s_branch .LBB2_3646
.LBB2_3660:                             ;   in Loop: Header=BB2_1542 Depth=2
	s_or_b32 exec_lo, exec_lo, s3
.LBB2_3661:                             ;   in Loop: Header=BB2_1542 Depth=2
	s_delay_alu instid0(SALU_CYCLE_1)
	s_or_b32 exec_lo, exec_lo, s14
.LBB2_3662:                             ;   in Loop: Header=BB2_1542 Depth=2
	s_and_saveexec_b32 s3, s37
	s_cbranch_execz .LBB2_3684
; %bb.3663:                             ;   in Loop: Header=BB2_1542 Depth=2
	s_and_saveexec_b32 s13, s4
	s_delay_alu instid0(SALU_CYCLE_1)
	s_xor_b32 s13, exec_lo, s13
	s_cbranch_execz .LBB2_3681
; %bb.3664:                             ;   in Loop: Header=BB2_1542 Depth=2
	s_and_saveexec_b32 s14, s1
	s_cbranch_execz .LBB2_3680
; %bb.3665:                             ;   in Loop: Header=BB2_1542 Depth=2
	s_mov_b32 s16, exec_lo
	s_mov_b32 s15, exec_lo
	v_mbcnt_lo_u32_b32 v2, s16, 0
	s_waitcnt lgkmcnt(0)
	s_waitcnt_vscnt null, 0x0
	buffer_gl1_inv
	buffer_gl0_inv
	v_cmpx_eq_u32_e32 0, v2
	s_cbranch_execz .LBB2_3667
; %bb.3666:                             ;   in Loop: Header=BB2_1542 Depth=2
	s_bcnt1_i32_b32 s16, s16
	s_delay_alu instid0(SALU_CYCLE_1)
	v_mov_b32_e32 v2, s16
	ds_add_u64 v0, v[2:3]
	s_cbranch_execnz .LBB2_4690
.LBB2_3667:                             ;   in Loop: Header=BB2_1542 Depth=2
	s_or_b32 exec_lo, exec_lo, s15
	s_cbranch_execnz .LBB2_4662
; %bb.3668:                             ;   in Loop: Header=BB2_1542 Depth=2
	ds_load_b64 v[8:9], v0
	v_add_co_u32 v32, vcc_lo, v32, v83
	v_add_co_ci_u32_e32 v33, vcc_lo, 0, v33, vcc_lo
	s_mov_b32 s15, exec_lo
	s_waitcnt lgkmcnt(0)
	s_delay_alu instid0(VALU_DEP_1)
	v_cmpx_lt_u64_e64 v[8:9], v[32:33]
	s_cbranch_execz .LBB2_3679
; %bb.3669:                             ;   in Loop: Header=BB2_1542 Depth=2
	s_mov_b32 s16, 0
	s_mov_b32 s30, 0
                                        ; implicit-def: $sgpr17
                                        ; implicit-def: $sgpr24
	s_branch .LBB2_3671
.LBB2_3670:                             ;   in Loop: Header=BB2_3671 Depth=3
	s_or_b32 exec_lo, exec_lo, s34
	s_delay_alu instid0(SALU_CYCLE_1) | instskip(NEXT) | instid1(SALU_CYCLE_1)
	s_and_b32 vcc_lo, exec_lo, vcc_lo
	s_or_b32 s16, vcc_lo, s16
	s_and_not1_b32 s17, s17, exec_lo
	s_and_b32 vcc_lo, s24, exec_lo
	s_delay_alu instid0(SALU_CYCLE_1)
	s_or_b32 s17, s17, vcc_lo
	s_and_not1_b32 exec_lo, exec_lo, s16
	s_cbranch_execz .LBB2_3677
.LBB2_3671:                             ;   Parent Loop BB2_51 Depth=1
                                        ;     Parent Loop BB2_1542 Depth=2
                                        ; =>    This Inner Loop Header: Depth=3
	s_add_i32 s30, s30, 1
                                        ; implicit-def: $sgpr34
	s_delay_alu instid0(SALU_CYCLE_1) | instskip(SKIP_1) | instid1(SALU_CYCLE_1)
	s_cmpk_lg_i32 s30, 0x2710
	s_cselect_b32 s31, -1, 0
	s_and_b32 vcc_lo, exec_lo, s31
	s_cbranch_vccz .LBB2_3675
.LBB2_3672:                             ;   in Loop: Header=BB2_3671 Depth=3
	s_and_not1_b32 s24, s24, exec_lo
	s_and_b32 s34, s34, exec_lo
	s_mov_b32 vcc_lo, -1
	s_or_b32 s24, s24, s34
	s_and_saveexec_b32 s34, s31
	s_cbranch_execz .LBB2_3670
; %bb.3673:                             ;   in Loop: Header=BB2_3671 Depth=3
	s_sleep 1
	s_cbranch_execnz .LBB2_4742
; %bb.3674:                             ;   in Loop: Header=BB2_3671 Depth=3
	ds_load_b64 v[8:9], v0
	s_and_not1_b32 s24, s24, exec_lo
	s_waitcnt lgkmcnt(0)
	v_cmp_ge_u64_e32 vcc_lo, v[8:9], v[32:33]
	s_or_not1_b32 vcc_lo, vcc_lo, exec_lo
	s_branch .LBB2_3670
.LBB2_3675:                             ;   in Loop: Header=BB2_3671 Depth=3
	s_cbranch_execnz .LBB2_4760
; %bb.3676:                             ;   in Loop: Header=BB2_3671 Depth=3
	ds_load_b64 v[8:9], v0
	s_and_not1_b32 s31, s31, exec_lo
	s_mov_b32 s30, 0
	s_mov_b32 s34, -1
	s_waitcnt lgkmcnt(0)
	flat_load_b32 v2, v[8:9] glc
	s_waitcnt vmcnt(0) lgkmcnt(0)
	buffer_gl1_inv
	buffer_gl0_inv
	v_cmp_eq_u32_e32 vcc_lo, 0, v2
	s_and_b32 vcc_lo, vcc_lo, exec_lo
	s_delay_alu instid0(SALU_CYCLE_1)
	s_or_b32 s31, s31, vcc_lo
	s_branch .LBB2_3672
.LBB2_3677:                             ;   in Loop: Header=BB2_1542 Depth=2
	s_or_b32 exec_lo, exec_lo, s16
	s_and_saveexec_b32 s16, s17
	s_delay_alu instid0(SALU_CYCLE_1)
	s_xor_b32 s16, exec_lo, s16
	s_cbranch_execz .LBB2_3679
; %bb.3678:                             ;   in Loop: Header=BB2_1542 Depth=2
	ds_store_b32 v0, v119
	s_cbranch_execnz .LBB2_4866
.LBB2_3679:                             ;   in Loop: Header=BB2_1542 Depth=2
	s_or_b32 exec_lo, exec_lo, s15
	;;#ASMSTART
	s_wakeup
	;;#ASMEND
.LBB2_3680:                             ;   in Loop: Header=BB2_1542 Depth=2
	s_or_b32 exec_lo, exec_lo, s14
.LBB2_3681:                             ;   in Loop: Header=BB2_1542 Depth=2
	s_and_not1_saveexec_b32 s13, s13
	s_cbranch_execz .LBB2_3683
; %bb.3682:                             ;   in Loop: Header=BB2_1542 Depth=2
	s_waitcnt lgkmcnt(0)
	s_waitcnt_vscnt null, 0x0
	buffer_gl1_inv
	buffer_gl0_inv
	s_barrier
.LBB2_3683:                             ;   in Loop: Header=BB2_1542 Depth=2
	s_or_b32 exec_lo, exec_lo, s13
.LBB2_3684:                             ;   in Loop: Header=BB2_1542 Depth=2
	s_delay_alu instid0(SALU_CYCLE_1) | instskip(SKIP_1) | instid1(SALU_CYCLE_1)
	s_or_b32 exec_lo, exec_lo, s3
                                        ; implicit-def: $vgpr2
	s_and_saveexec_b32 s3, s7
	s_xor_b32 s3, exec_lo, s3
	s_cbranch_execz .LBB2_3688
; %bb.3685:                             ;   in Loop: Header=BB2_1542 Depth=2
	v_and_b32_e32 v2, 16, v30
	v_cmp_lt_i32_e32 vcc_lo, 0, v55
	s_delay_alu instid0(VALU_DEP_2) | instskip(SKIP_1) | instid1(VALU_DEP_2)
	v_cmp_ne_u32_e64 s13, 0, v2
	v_and_b32_e32 v2, 16, v30
	s_and_b32 s14, s13, vcc_lo
	s_delay_alu instid0(SALU_CYCLE_1)
	s_and_saveexec_b32 s13, s14
	s_cbranch_execz .LBB2_3687
; %bb.3686:                             ;   in Loop: Header=BB2_1542 Depth=2
	v_mov_b32_e32 v2, 1
	s_waitcnt lgkmcnt(0)
	s_waitcnt_vscnt null, 0x0
	buffer_gl1_inv
	buffer_gl0_inv
.LBB2_3687:                             ;   in Loop: Header=BB2_1542 Depth=2
	s_or_b32 exec_lo, exec_lo, s13
.LBB2_3688:                             ;   in Loop: Header=BB2_1542 Depth=2
	s_and_not1_saveexec_b32 s3, s3
	s_cbranch_execz .LBB2_3710
; %bb.3689:                             ;   in Loop: Header=BB2_1542 Depth=2
	s_and_saveexec_b32 s13, s4
	s_delay_alu instid0(SALU_CYCLE_1)
	s_xor_b32 s13, exec_lo, s13
	s_cbranch_execz .LBB2_3707
; %bb.3690:                             ;   in Loop: Header=BB2_1542 Depth=2
	s_and_saveexec_b32 s14, s1
	s_cbranch_execz .LBB2_3706
; %bb.3691:                             ;   in Loop: Header=BB2_1542 Depth=2
	s_mov_b32 s16, exec_lo
	s_mov_b32 s15, exec_lo
	v_mbcnt_lo_u32_b32 v2, s16, 0
	;;#ASMSTART
	s_waitcnt lgkmcnt(0) vmcnt(0)
	;;#ASMEND
	s_delay_alu instid0(VALU_DEP_1)
	v_cmpx_eq_u32_e32 0, v2
	s_cbranch_execz .LBB2_3693
; %bb.3692:                             ;   in Loop: Header=BB2_1542 Depth=2
	s_bcnt1_i32_b32 s16, s16
	s_delay_alu instid0(SALU_CYCLE_1)
	v_mov_b32_e32 v2, s16
	ds_add_u64 v0, v[2:3]
	s_cbranch_execnz .LBB2_4694
.LBB2_3693:                             ;   in Loop: Header=BB2_1542 Depth=2
	s_or_b32 exec_lo, exec_lo, s15
	s_cbranch_execnz .LBB2_4670
; %bb.3694:                             ;   in Loop: Header=BB2_1542 Depth=2
	ds_load_b64 v[8:9], v0
	v_add_co_u32 v32, vcc_lo, v32, v83
	v_add_co_ci_u32_e32 v33, vcc_lo, 0, v33, vcc_lo
	s_mov_b32 s15, exec_lo
	s_waitcnt lgkmcnt(0)
	s_delay_alu instid0(VALU_DEP_1)
	v_cmpx_lt_u64_e64 v[8:9], v[32:33]
	s_cbranch_execz .LBB2_3705
; %bb.3695:                             ;   in Loop: Header=BB2_1542 Depth=2
	s_mov_b32 s16, 0
	s_mov_b32 s30, 0
                                        ; implicit-def: $sgpr17
                                        ; implicit-def: $sgpr24
	s_branch .LBB2_3697
.LBB2_3696:                             ;   in Loop: Header=BB2_3697 Depth=3
	s_or_b32 exec_lo, exec_lo, s34
	s_delay_alu instid0(SALU_CYCLE_1) | instskip(NEXT) | instid1(SALU_CYCLE_1)
	s_and_b32 vcc_lo, exec_lo, vcc_lo
	s_or_b32 s16, vcc_lo, s16
	s_and_not1_b32 s17, s17, exec_lo
	s_and_b32 vcc_lo, s24, exec_lo
	s_delay_alu instid0(SALU_CYCLE_1)
	s_or_b32 s17, s17, vcc_lo
	s_and_not1_b32 exec_lo, exec_lo, s16
	s_cbranch_execz .LBB2_3703
.LBB2_3697:                             ;   Parent Loop BB2_51 Depth=1
                                        ;     Parent Loop BB2_1542 Depth=2
                                        ; =>    This Inner Loop Header: Depth=3
	s_add_i32 s30, s30, 1
                                        ; implicit-def: $sgpr34
	s_delay_alu instid0(SALU_CYCLE_1) | instskip(SKIP_1) | instid1(SALU_CYCLE_1)
	s_cmpk_lg_i32 s30, 0x2710
	s_cselect_b32 s31, -1, 0
	s_and_b32 vcc_lo, exec_lo, s31
	s_cbranch_vccz .LBB2_3701
.LBB2_3698:                             ;   in Loop: Header=BB2_3697 Depth=3
	s_and_not1_b32 s24, s24, exec_lo
	s_and_b32 s34, s34, exec_lo
	s_mov_b32 vcc_lo, -1
	s_or_b32 s24, s24, s34
	s_and_saveexec_b32 s34, s31
	s_cbranch_execz .LBB2_3696
; %bb.3699:                             ;   in Loop: Header=BB2_3697 Depth=3
	s_sleep 1
	s_cbranch_execnz .LBB2_4752
; %bb.3700:                             ;   in Loop: Header=BB2_3697 Depth=3
	ds_load_b64 v[8:9], v0
	s_and_not1_b32 s24, s24, exec_lo
	s_waitcnt lgkmcnt(0)
	v_cmp_ge_u64_e32 vcc_lo, v[8:9], v[32:33]
	s_or_not1_b32 vcc_lo, vcc_lo, exec_lo
	s_branch .LBB2_3696
.LBB2_3701:                             ;   in Loop: Header=BB2_3697 Depth=3
	s_cbranch_execnz .LBB2_4768
; %bb.3702:                             ;   in Loop: Header=BB2_3697 Depth=3
	ds_load_b64 v[8:9], v0
	s_and_not1_b32 s31, s31, exec_lo
	s_mov_b32 s30, 0
	s_mov_b32 s34, -1
	s_waitcnt lgkmcnt(0)
	s_waitcnt_vscnt null, 0x0
	flat_load_b32 v2, v[8:9] glc
	s_waitcnt vmcnt(0) lgkmcnt(0)
	buffer_gl1_inv
	buffer_gl0_inv
	v_cmp_eq_u32_e32 vcc_lo, 0, v2
	s_and_b32 vcc_lo, vcc_lo, exec_lo
	s_delay_alu instid0(SALU_CYCLE_1)
	s_or_b32 s31, s31, vcc_lo
	s_branch .LBB2_3698
.LBB2_3703:                             ;   in Loop: Header=BB2_1542 Depth=2
	s_or_b32 exec_lo, exec_lo, s16
	s_and_saveexec_b32 s16, s17
	s_delay_alu instid0(SALU_CYCLE_1)
	s_xor_b32 s16, exec_lo, s16
	s_cbranch_execz .LBB2_3705
; %bb.3704:                             ;   in Loop: Header=BB2_1542 Depth=2
	ds_store_b32 v0, v119
	s_cbranch_execnz .LBB2_4870
.LBB2_3705:                             ;   in Loop: Header=BB2_1542 Depth=2
	s_or_b32 exec_lo, exec_lo, s15
	;;#ASMSTART
	s_wakeup
	;;#ASMEND
.LBB2_3706:                             ;   in Loop: Header=BB2_1542 Depth=2
	s_or_b32 exec_lo, exec_lo, s14
.LBB2_3707:                             ;   in Loop: Header=BB2_1542 Depth=2
	s_and_not1_saveexec_b32 s13, s13
	s_cbranch_execz .LBB2_3709
; %bb.3708:                             ;   in Loop: Header=BB2_1542 Depth=2
	;;#ASMSTART
	s_waitcnt lgkmcnt(0) vmcnt(0)
	;;#ASMEND
	s_waitcnt lgkmcnt(0)
	s_waitcnt_vscnt null, 0x0
	s_barrier
.LBB2_3709:                             ;   in Loop: Header=BB2_1542 Depth=2
	s_or_b32 exec_lo, exec_lo, s13
	v_and_b32_e32 v2, 16, v30
.LBB2_3710:                             ;   in Loop: Header=BB2_1542 Depth=2
	s_or_b32 exec_lo, exec_lo, s3
	s_delay_alu instid0(VALU_DEP_1) | instskip(SKIP_1) | instid1(SALU_CYCLE_1)
	v_cmp_ne_u32_e32 vcc_lo, 0, v2
	s_xor_b32 s3, s10, -1
	s_and_b32 s13, vcc_lo, s3
	s_delay_alu instid0(SALU_CYCLE_1)
	s_and_saveexec_b32 s3, s13
	s_cbranch_execz .LBB2_3712
; %bb.3711:                             ;   in Loop: Header=BB2_1542 Depth=2
	s_waitcnt lgkmcnt(0)
	s_waitcnt_vscnt null, 0x0
	flat_store_b32 v[28:29], v119
.LBB2_3712:                             ;   in Loop: Header=BB2_1542 Depth=2
	s_or_b32 exec_lo, exec_lo, s3
	v_and_b32_e32 v2, 48, v30
	s_mov_b32 s3, exec_lo
	s_delay_alu instid0(VALU_DEP_1)
	v_cmpx_ne_u32_e32 0, v2
	s_cbranch_execz .LBB2_3714
; %bb.3713:                             ;   in Loop: Header=BB2_1542 Depth=2
	v_add_co_u32 v24, vcc_lo, v24, 2
	v_add_co_ci_u32_e32 v25, vcc_lo, 0, v25, vcc_lo
	s_waitcnt lgkmcnt(0)
	s_waitcnt_vscnt null, 0x0
	flat_store_b64 v[22:23], v[24:25]
.LBB2_3714:                             ;   in Loop: Header=BB2_1542 Depth=2
	s_or_b32 exec_lo, exec_lo, s3
	v_add_nc_u32_e32 v131, v54, v131
	v_readlane_b32 s3, v42, 2
	v_readlane_b32 s17, v42, 4
	;; [unrolled: 1-line block ×4, first 2 shown]
	v_cmp_ge_i32_e32 vcc_lo, v131, v130
	s_xor_b32 s3, s3, -1
	v_readlane_b32 s31, v42, 7
	v_readlane_b32 s34, v42, 9
	;; [unrolled: 1-line block ×3, first 2 shown]
	s_or_b32 s3, s3, vcc_lo
	s_mov_b32 s16, 0
	s_and_b32 s13, exec_lo, s3
	v_readlane_b32 s3, v42, 3
	s_or_b32 s17, s13, s17
	s_mov_b32 s38, 2
	s_mov_b32 s36, s2
	s_delay_alu instid0(VALU_DEP_1)
	v_mov_b32_e32 v2, s3
	s_mov_b32 s3, s4
	s_and_not1_b32 exec_lo, exec_lo, s17
	s_cbranch_execnz .LBB2_1542
; %bb.3715:                             ;   in Loop: Header=BB2_51 Depth=1
	s_or_b32 exec_lo, exec_lo, s17
	v_readlane_b32 s2, v42, 1
.LBB2_3716:                             ;   in Loop: Header=BB2_51 Depth=1
	s_delay_alu instid0(VALU_DEP_1) | instskip(NEXT) | instid1(SALU_CYCLE_1)
	s_or_b32 exec_lo, exec_lo, s2
	s_mov_b32 s15, exec_lo
	v_cmpx_gt_i32_e32 2, v2
	s_cbranch_execz .LBB2_3802
; %bb.3717:                             ;   in Loop: Header=BB2_51 Depth=1
	v_cmp_eq_u32_e64 s4, 0, v2
	s_mov_b32 s17, s37
	s_mov_b32 s2, s29
	;; [unrolled: 1-line block ×3, first 2 shown]
.LBB2_3718:                             ;   Parent Loop BB2_51 Depth=1
                                        ; =>  This Loop Header: Depth=2
                                        ;       Child Loop BB2_3724 Depth 3
                                        ;       Child Loop BB2_3756 Depth 3
	;; [unrolled: 1-line block ×3, first 2 shown]
	v_and_b32_e32 v2, 12, v30
	s_mov_b32 s24, -1
	s_mov_b32 s13, exec_lo
	s_delay_alu instid0(VALU_DEP_1)
	v_cmpx_ne_u32_e32 0, v2
	s_cbranch_execz .LBB2_3732
; %bb.3719:                             ;   in Loop: Header=BB2_3718 Depth=2
	v_and_b32_e32 v2, 8, v30
	s_delay_alu instid0(VALU_DEP_1) | instskip(SKIP_3) | instid1(VALU_DEP_1)
	v_add_co_u32 v10, vcc_lo, v34, v2
	v_add_co_ci_u32_e32 v11, vcc_lo, 0, v35, vcc_lo
	v_add_co_u32 v8, vcc_lo, v24, 2
	v_add_co_ci_u32_e32 v9, vcc_lo, 0, v25, vcc_lo
	v_cmp_lt_u64_e32 vcc_lo, v[10:11], v[8:9]
	v_mov_b32_e32 v10, 1
	s_and_saveexec_b32 s24, vcc_lo
	s_cbranch_execz .LBB2_3731
; %bb.3720:                             ;   in Loop: Header=BB2_3718 Depth=2
	v_mov_b32_e32 v10, 0
	s_mov_b32 s29, 0
                                        ; implicit-def: $sgpr37
	s_branch .LBB2_3724
.LBB2_3721:                             ;   in Loop: Header=BB2_3724 Depth=3
	s_or_b32 exec_lo, exec_lo, s41
	v_mov_b32_e32 v11, 0
	s_or_not1_b32 s40, s40, exec_lo
.LBB2_3722:                             ;   in Loop: Header=BB2_3724 Depth=3
	s_or_b32 exec_lo, exec_lo, s39
	s_delay_alu instid0(VALU_DEP_1) | instskip(SKIP_2) | instid1(SALU_CYCLE_1)
	v_mov_b32_e32 v10, v11
	s_and_not1_b32 vcc_lo, s37, exec_lo
	s_and_b32 s37, s40, exec_lo
	s_or_b32 s37, vcc_lo, s37
.LBB2_3723:                             ;   in Loop: Header=BB2_3724 Depth=3
	s_or_b32 exec_lo, exec_lo, s38
	s_waitcnt vmcnt(0) lgkmcnt(0)
	v_add_co_u32 v11, vcc_lo, v34, v2
	v_add_co_ci_u32_e32 v12, vcc_lo, 0, v35, vcc_lo
	s_xor_b32 s38, s37, -1
	s_delay_alu instid0(VALU_DEP_1) | instskip(SKIP_1) | instid1(SALU_CYCLE_1)
	v_cmp_ge_u64_e32 vcc_lo, v[11:12], v[8:9]
	s_or_b32 vcc_lo, s38, vcc_lo
	s_and_b32 vcc_lo, exec_lo, vcc_lo
	s_delay_alu instid0(SALU_CYCLE_1) | instskip(NEXT) | instid1(SALU_CYCLE_1)
	s_or_b32 s29, vcc_lo, s29
	s_and_not1_b32 exec_lo, exec_lo, s29
	s_cbranch_execz .LBB2_3730
.LBB2_3724:                             ;   Parent Loop BB2_51 Depth=1
                                        ;     Parent Loop BB2_3718 Depth=2
                                        ; =>    This Inner Loop Header: Depth=3
	s_sleep 1
	flat_load_b64 v[34:35], v[22:23] glc
	v_and_b32_e32 v11, 64, v30
	s_and_not1_b32 s37, s37, exec_lo
	s_mov_b32 s38, exec_lo
	s_delay_alu instid0(VALU_DEP_1)
	v_cmpx_eq_u32_e32 0, v11
	s_cbranch_execz .LBB2_3723
; %bb.3725:                             ;   in Loop: Header=BB2_3724 Depth=3
	v_add_nc_u32_e32 v11, 1, v10
	s_mov_b32 s40, -1
	s_mov_b32 s39, exec_lo
	v_cmpx_lt_i32_e32 0x270e, v10
	s_cbranch_execz .LBB2_3722
; %bb.3726:                             ;   in Loop: Header=BB2_3724 Depth=3
	s_cbranch_execnz .LBB2_4466
; %bb.3727:                             ;   in Loop: Header=BB2_3724 Depth=3
	ds_load_b64 v[10:11], v0
	s_mov_b32 s41, exec_lo
	s_waitcnt vmcnt(0) lgkmcnt(0)
	s_waitcnt_vscnt null, 0x0
	flat_load_b32 v10, v[10:11] glc
	s_waitcnt vmcnt(0) lgkmcnt(0)
	buffer_gl1_inv
	buffer_gl0_inv
	v_cmpx_ne_u32_e32 0, v10
	s_cbranch_execz .LBB2_3721
; %bb.3728:                             ;   in Loop: Header=BB2_3724 Depth=3
	ds_store_b32 v0, v10
	s_cbranch_execnz .LBB2_4520
; %bb.3729:                             ;   in Loop: Header=BB2_3724 Depth=3
	v_or_b32_e32 v30, 64, v30
	s_xor_b32 s40, exec_lo, -1
	s_branch .LBB2_3721
.LBB2_3730:                             ;   in Loop: Header=BB2_3718 Depth=2
	s_or_b32 exec_lo, exec_lo, s29
	v_and_b32_e32 v10, 12, v30
.LBB2_3731:                             ;   in Loop: Header=BB2_3718 Depth=2
	s_or_b32 exec_lo, exec_lo, s24
	s_delay_alu instid0(VALU_DEP_1)
	v_cmp_eq_u32_e32 vcc_lo, 0, v10
	;;#ASMSTART
	s_wakeup
	;;#ASMEND
	s_or_not1_b32 s24, vcc_lo, exec_lo
.LBB2_3732:                             ;   in Loop: Header=BB2_3718 Depth=2
	s_or_b32 exec_lo, exec_lo, s13
	v_sub_nc_u32_e32 v2, v130, v131
	s_xor_b32 s4, s4, -1
	s_delay_alu instid0(SALU_CYCLE_1) | instskip(NEXT) | instid1(SALU_CYCLE_1)
	s_and_b32 s4, exec_lo, s4
	s_or_b32 s16, s4, s16
	s_delay_alu instid0(VALU_DEP_1) | instskip(SKIP_1) | instid1(SALU_CYCLE_1)
	v_min_i32_e32 v54, v54, v2
	s_xor_b32 s13, s24, -1
	s_and_saveexec_b32 s4, s13
	s_cbranch_execz .LBB2_3747
; %bb.3733:                             ;   in Loop: Header=BB2_3718 Depth=2
	v_and_b32_e32 v2, 0x108, v30
	s_mov_b32 s13, exec_lo
	s_delay_alu instid0(VALU_DEP_1)
	v_cmpx_ne_u32_e32 0x108, v2
	s_xor_b32 s13, exec_lo, s13
                                        ; implicit-def: $vgpr8_vgpr9
; %bb.3734:                             ;   in Loop: Header=BB2_3718 Depth=2
	v_and_b32_e32 v8, 7, v24
; %bb.3735:                             ;   in Loop: Header=BB2_3718 Depth=2
	s_and_not1_saveexec_b32 s13, s13
	s_cbranch_execz .LBB2_3737
; %bb.3736:                             ;   in Loop: Header=BB2_3718 Depth=2
	v_and_b32_e32 v8, 7, v24
	v_ashrrev_i32_e32 v55, 31, v54
	s_delay_alu instid0(VALU_DEP_2)
	v_mad_u64_u32 v[9:10], null, v8, 24, v[6:7]
	flat_store_b64 v[9:10], v[54:55] offset:8
.LBB2_3737:                             ;   in Loop: Header=BB2_3718 Depth=2
	s_or_b32 exec_lo, exec_lo, s13
	v_and_b32_e32 v2, 0x100, v30
	s_mov_b32 s13, -1
	s_mov_b32 s24, exec_lo
                                        ; implicit-def: $vgpr9_vgpr10
	s_delay_alu instid0(VALU_DEP_1)
	v_cmpx_ne_u32_e32 0, v2
	s_cbranch_execnz .LBB2_3740
; %bb.3738:                             ;   in Loop: Header=BB2_3718 Depth=2
	s_or_b32 exec_lo, exec_lo, s24
	s_and_saveexec_b32 s24, s13
	s_cbranch_execnz .LBB2_3743
.LBB2_3739:                             ;   in Loop: Header=BB2_3718 Depth=2
	s_or_b32 exec_lo, exec_lo, s24
	s_cbranch_execnz .LBB2_4462
	s_branch .LBB2_3744
.LBB2_3740:                             ;   in Loop: Header=BB2_3718 Depth=2
	v_mad_u64_u32 v[11:12], null, v8, 24, v[6:7]
	s_mov_b32 s29, exec_lo
	s_delay_alu instid0(VALU_DEP_1) | instskip(NEXT) | instid1(VALU_DEP_1)
	v_mov_b32_e32 v2, v12
	v_mad_u64_u32 v[9:10], null, v3, 24, v[2:3]
	s_delay_alu instid0(VALU_DEP_1)
	v_mov_b32_e32 v12, v9
                                        ; implicit-def: $vgpr9_vgpr10
	flat_load_b32 v2, v[11:12]
	s_waitcnt vmcnt(0) lgkmcnt(0)
	v_cmp_ne_u32_e32 vcc_lo, 1, v2
	v_cmpx_eq_u32_e32 1, v2
	s_cbranch_execz .LBB2_3742
; %bb.3741:                             ;   in Loop: Header=BB2_3718 Depth=2
	flat_load_b32 v9, v[11:12] offset:4 glc
	s_waitcnt vmcnt(0) lgkmcnt(0)
	v_ashrrev_i32_e32 v10, 31, v9
.LBB2_3742:                             ;   in Loop: Header=BB2_3718 Depth=2
	s_or_b32 exec_lo, exec_lo, s29
	s_delay_alu instid0(SALU_CYCLE_1)
	s_or_not1_b32 s13, vcc_lo, exec_lo
	s_or_b32 exec_lo, exec_lo, s24
	s_and_saveexec_b32 s24, s13
	s_cbranch_execz .LBB2_3739
.LBB2_3743:                             ;   in Loop: Header=BB2_3718 Depth=2
	v_mul_lo_u32 v2, v3, v80
	v_mul_lo_u32 v11, v8, v82
	v_mad_u64_u32 v[9:10], null, v8, v80, 0
	s_delay_alu instid0(VALU_DEP_1)
	v_add3_u32 v10, v10, v11, v2
	s_or_b32 exec_lo, exec_lo, s24
	s_cbranch_execnz .LBB2_4462
.LBB2_3744:                             ;   in Loop: Header=BB2_3718 Depth=2
	s_delay_alu instid0(VALU_DEP_2)
	v_add_co_u32 v8, vcc_lo, v26, v9
	v_and_b32_e32 v2, 0x2000, v30
	v_add_co_ci_u32_e32 v9, vcc_lo, v27, v10, vcc_lo
	s_mov_b32 s13, exec_lo
	ds_store_b64 v0, v[8:9]
	v_cmpx_ne_u32_e32 0, v2
	s_cbranch_execz .LBB2_3746
; %bb.3745:                             ;   in Loop: Header=BB2_3718 Depth=2
	ds_load_b64 v[8:9], v0 offset:584
	s_waitcnt lgkmcnt(0)
	v_add_co_u32 v8, vcc_lo, v8, 1
	v_add_co_ci_u32_e32 v9, vcc_lo, 0, v9, vcc_lo
	ds_store_b64 v0, v[8:9] offset:584
.LBB2_3746:                             ;   in Loop: Header=BB2_3718 Depth=2
	s_or_b32 exec_lo, exec_lo, s13
	v_add_co_u32 v24, vcc_lo, v24, 2
	v_add_co_ci_u32_e32 v25, vcc_lo, 0, v25, vcc_lo
.LBB2_3747:                             ;   in Loop: Header=BB2_3718 Depth=2
	s_or_b32 exec_lo, exec_lo, s4
	s_and_saveexec_b32 s4, s17
	s_cbranch_execz .LBB2_3769
; %bb.3748:                             ;   in Loop: Header=BB2_3718 Depth=2
	s_and_saveexec_b32 s13, s3
	s_delay_alu instid0(SALU_CYCLE_1)
	s_xor_b32 s13, exec_lo, s13
	s_cbranch_execz .LBB2_3766
; %bb.3749:                             ;   in Loop: Header=BB2_3718 Depth=2
	s_and_saveexec_b32 s24, s1
	s_cbranch_execz .LBB2_3765
; %bb.3750:                             ;   in Loop: Header=BB2_3718 Depth=2
	s_mov_b32 s37, exec_lo
	s_mov_b32 s29, exec_lo
	v_mbcnt_lo_u32_b32 v2, s37, 0
	s_waitcnt lgkmcnt(0)
	s_waitcnt_vscnt null, 0x0
	buffer_gl1_inv
	buffer_gl0_inv
	v_cmpx_eq_u32_e32 0, v2
	s_cbranch_execz .LBB2_3752
; %bb.3751:                             ;   in Loop: Header=BB2_3718 Depth=2
	s_bcnt1_i32_b32 vcc_lo, s37
	s_delay_alu instid0(SALU_CYCLE_1)
	v_mov_b32_e32 v2, vcc_lo
	ds_add_u64 v0, v[2:3]
	s_cbranch_execnz .LBB2_4576
.LBB2_3752:                             ;   in Loop: Header=BB2_3718 Depth=2
	s_or_b32 exec_lo, exec_lo, s29
	s_cbranch_execnz .LBB2_4550
; %bb.3753:                             ;   in Loop: Header=BB2_3718 Depth=2
	ds_load_b64 v[8:9], v0
	v_add_co_u32 v32, vcc_lo, v32, v83
	v_add_co_ci_u32_e32 v33, vcc_lo, 0, v33, vcc_lo
	s_mov_b32 s29, exec_lo
	s_waitcnt lgkmcnt(0)
	s_delay_alu instid0(VALU_DEP_1)
	v_cmpx_lt_u64_e64 v[8:9], v[32:33]
	s_cbranch_execz .LBB2_3764
; %bb.3754:                             ;   in Loop: Header=BB2_3718 Depth=2
	s_mov_b32 s37, 0
	s_mov_b32 s40, 0
                                        ; implicit-def: $sgpr38
                                        ; implicit-def: $sgpr39
	s_branch .LBB2_3756
.LBB2_3755:                             ;   in Loop: Header=BB2_3756 Depth=3
	s_or_b32 exec_lo, exec_lo, s42
	s_delay_alu instid0(SALU_CYCLE_1) | instskip(NEXT) | instid1(SALU_CYCLE_1)
	s_and_b32 vcc_lo, exec_lo, vcc_lo
	s_or_b32 s37, vcc_lo, s37
	s_and_not1_b32 vcc_lo, s38, exec_lo
	s_and_b32 s38, s39, exec_lo
	s_delay_alu instid0(SALU_CYCLE_1)
	s_or_b32 s38, vcc_lo, s38
	s_and_not1_b32 exec_lo, exec_lo, s37
	s_cbranch_execz .LBB2_3762
.LBB2_3756:                             ;   Parent Loop BB2_51 Depth=1
                                        ;     Parent Loop BB2_3718 Depth=2
                                        ; =>    This Inner Loop Header: Depth=3
	s_add_i32 s40, s40, 1
                                        ; implicit-def: $sgpr42
	s_delay_alu instid0(SALU_CYCLE_1) | instskip(SKIP_1) | instid1(SALU_CYCLE_1)
	s_cmpk_lg_i32 s40, 0x2710
	s_cselect_b32 s41, -1, 0
	s_and_b32 vcc_lo, exec_lo, s41
	s_cbranch_vccz .LBB2_3760
.LBB2_3757:                             ;   in Loop: Header=BB2_3756 Depth=3
	s_and_not1_b32 s39, s39, exec_lo
	s_and_b32 s42, s42, exec_lo
	s_mov_b32 vcc_lo, -1
	s_or_b32 s39, s39, s42
	s_and_saveexec_b32 s42, s41
	s_cbranch_execz .LBB2_3755
; %bb.3758:                             ;   in Loop: Header=BB2_3756 Depth=3
	s_sleep 1
	s_cbranch_execnz .LBB2_4624
; %bb.3759:                             ;   in Loop: Header=BB2_3756 Depth=3
	ds_load_b64 v[8:9], v0
	s_and_not1_b32 s39, s39, exec_lo
	s_waitcnt lgkmcnt(0)
	v_cmp_ge_u64_e32 vcc_lo, v[8:9], v[32:33]
	s_or_not1_b32 vcc_lo, vcc_lo, exec_lo
	s_branch .LBB2_3755
.LBB2_3760:                             ;   in Loop: Header=BB2_3756 Depth=3
	s_cbranch_execnz .LBB2_4640
; %bb.3761:                             ;   in Loop: Header=BB2_3756 Depth=3
	ds_load_b64 v[8:9], v0
	s_and_not1_b32 s41, s41, exec_lo
	s_mov_b32 s40, 0
	s_mov_b32 s42, -1
	s_waitcnt lgkmcnt(0)
	flat_load_b32 v2, v[8:9] glc
	s_waitcnt vmcnt(0) lgkmcnt(0)
	buffer_gl1_inv
	buffer_gl0_inv
	v_cmp_eq_u32_e32 vcc_lo, 0, v2
	s_and_b32 vcc_lo, vcc_lo, exec_lo
	s_delay_alu instid0(SALU_CYCLE_1)
	s_or_b32 s41, s41, vcc_lo
	s_branch .LBB2_3757
.LBB2_3762:                             ;   in Loop: Header=BB2_3718 Depth=2
	s_or_b32 exec_lo, exec_lo, s37
	s_and_saveexec_b32 vcc_lo, s38
	s_delay_alu instid0(SALU_CYCLE_1)
	s_xor_b32 vcc_lo, exec_lo, vcc_lo
	s_cbranch_execz .LBB2_3764
; %bb.3763:                             ;   in Loop: Header=BB2_3718 Depth=2
	ds_store_b32 v0, v119
	s_cbranch_execnz .LBB2_4830
.LBB2_3764:                             ;   in Loop: Header=BB2_3718 Depth=2
	s_or_b32 exec_lo, exec_lo, s29
	;;#ASMSTART
	s_wakeup
	;;#ASMEND
.LBB2_3765:                             ;   in Loop: Header=BB2_3718 Depth=2
	s_or_b32 exec_lo, exec_lo, s24
.LBB2_3766:                             ;   in Loop: Header=BB2_3718 Depth=2
	s_and_not1_saveexec_b32 s13, s13
	s_cbranch_execz .LBB2_3768
; %bb.3767:                             ;   in Loop: Header=BB2_3718 Depth=2
	s_waitcnt lgkmcnt(0)
	s_waitcnt_vscnt null, 0x0
	buffer_gl1_inv
	buffer_gl0_inv
	s_barrier
.LBB2_3768:                             ;   in Loop: Header=BB2_3718 Depth=2
	s_or_b32 exec_lo, exec_lo, s13
.LBB2_3769:                             ;   in Loop: Header=BB2_3718 Depth=2
	s_delay_alu instid0(SALU_CYCLE_1) | instskip(SKIP_1) | instid1(SALU_CYCLE_1)
	s_or_b32 exec_lo, exec_lo, s4
                                        ; implicit-def: $vgpr2
	s_and_saveexec_b32 s4, s7
	s_xor_b32 s4, exec_lo, s4
	s_cbranch_execz .LBB2_3774
; %bb.3770:                             ;   in Loop: Header=BB2_3718 Depth=2
	s_cbranch_execnz .LBB2_4476
; %bb.3771:                             ;   in Loop: Header=BB2_3718 Depth=2
	ds_load_b32 v2, v0
	v_cmp_lt_i32_e32 vcc_lo, 0, v54
	s_waitcnt lgkmcnt(0)
	v_readfirstlane_b32 s13, v2
	v_and_b32_e32 v2, 16, v30
	s_delay_alu instid0(VALU_DEP_2) | instskip(NEXT) | instid1(VALU_DEP_1)
	s_cmp_eq_u32 s13, 0
	v_cmp_ne_u32_e64 s13, 0, v2
	s_cselect_b32 s24, -1, 0
	v_and_b32_e32 v2, 16, v30
	s_and_b32 s24, vcc_lo, s24
	s_delay_alu instid0(VALU_DEP_2) | instid1(SALU_CYCLE_1)
	s_and_b32 s24, s13, s24
	s_delay_alu instid0(SALU_CYCLE_1)
	s_and_saveexec_b32 s13, s24
	s_cbranch_execz .LBB2_3773
; %bb.3772:                             ;   in Loop: Header=BB2_3718 Depth=2
	v_mov_b32_e32 v2, 1
	s_waitcnt_vscnt null, 0x0
	buffer_gl1_inv
	buffer_gl0_inv
.LBB2_3773:                             ;   in Loop: Header=BB2_3718 Depth=2
	s_or_b32 exec_lo, exec_lo, s13
.LBB2_3774:                             ;   in Loop: Header=BB2_3718 Depth=2
	s_and_not1_saveexec_b32 s4, s4
	s_cbranch_execz .LBB2_3796
; %bb.3775:                             ;   in Loop: Header=BB2_3718 Depth=2
	s_and_saveexec_b32 s13, s3
	s_delay_alu instid0(SALU_CYCLE_1)
	s_xor_b32 s13, exec_lo, s13
	s_cbranch_execz .LBB2_3793
; %bb.3776:                             ;   in Loop: Header=BB2_3718 Depth=2
	s_and_saveexec_b32 s24, s1
	s_cbranch_execz .LBB2_3792
; %bb.3777:                             ;   in Loop: Header=BB2_3718 Depth=2
	s_mov_b32 s37, exec_lo
	s_mov_b32 s29, exec_lo
	v_mbcnt_lo_u32_b32 v2, s37, 0
	;;#ASMSTART
	s_waitcnt lgkmcnt(0) vmcnt(0)
	;;#ASMEND
	s_delay_alu instid0(VALU_DEP_1)
	v_cmpx_eq_u32_e32 0, v2
	s_cbranch_execz .LBB2_3779
; %bb.3778:                             ;   in Loop: Header=BB2_3718 Depth=2
	s_bcnt1_i32_b32 vcc_lo, s37
	s_delay_alu instid0(SALU_CYCLE_1)
	v_mov_b32_e32 v2, vcc_lo
	ds_add_u64 v0, v[2:3]
	s_cbranch_execnz .LBB2_4586
.LBB2_3779:                             ;   in Loop: Header=BB2_3718 Depth=2
	s_or_b32 exec_lo, exec_lo, s29
	s_cbranch_execnz .LBB2_4574
; %bb.3780:                             ;   in Loop: Header=BB2_3718 Depth=2
	ds_load_b64 v[8:9], v0
	v_add_co_u32 v32, vcc_lo, v32, v83
	v_add_co_ci_u32_e32 v33, vcc_lo, 0, v33, vcc_lo
	s_mov_b32 s29, exec_lo
	s_waitcnt lgkmcnt(0)
	s_delay_alu instid0(VALU_DEP_1)
	v_cmpx_lt_u64_e64 v[8:9], v[32:33]
	s_cbranch_execz .LBB2_3791
; %bb.3781:                             ;   in Loop: Header=BB2_3718 Depth=2
	s_mov_b32 s37, 0
	s_mov_b32 s40, 0
                                        ; implicit-def: $sgpr38
                                        ; implicit-def: $sgpr39
	s_branch .LBB2_3783
.LBB2_3782:                             ;   in Loop: Header=BB2_3783 Depth=3
	s_or_b32 exec_lo, exec_lo, s42
	s_delay_alu instid0(SALU_CYCLE_1) | instskip(NEXT) | instid1(SALU_CYCLE_1)
	s_and_b32 vcc_lo, exec_lo, vcc_lo
	s_or_b32 s37, vcc_lo, s37
	s_and_not1_b32 vcc_lo, s38, exec_lo
	s_and_b32 s38, s39, exec_lo
	s_delay_alu instid0(SALU_CYCLE_1)
	s_or_b32 s38, vcc_lo, s38
	s_and_not1_b32 exec_lo, exec_lo, s37
	s_cbranch_execz .LBB2_3789
.LBB2_3783:                             ;   Parent Loop BB2_51 Depth=1
                                        ;     Parent Loop BB2_3718 Depth=2
                                        ; =>    This Inner Loop Header: Depth=3
	s_add_i32 s40, s40, 1
                                        ; implicit-def: $sgpr42
	s_delay_alu instid0(SALU_CYCLE_1) | instskip(SKIP_1) | instid1(SALU_CYCLE_1)
	s_cmpk_lg_i32 s40, 0x2710
	s_cselect_b32 s41, -1, 0
	s_and_b32 vcc_lo, exec_lo, s41
	s_cbranch_vccz .LBB2_3787
.LBB2_3784:                             ;   in Loop: Header=BB2_3783 Depth=3
	s_and_not1_b32 s39, s39, exec_lo
	s_and_b32 s42, s42, exec_lo
	s_mov_b32 vcc_lo, -1
	s_or_b32 s39, s39, s42
	s_and_saveexec_b32 s42, s41
	s_cbranch_execz .LBB2_3782
; %bb.3785:                             ;   in Loop: Header=BB2_3783 Depth=3
	s_sleep 1
	s_cbranch_execnz .LBB2_4648
; %bb.3786:                             ;   in Loop: Header=BB2_3783 Depth=3
	ds_load_b64 v[8:9], v0
	s_and_not1_b32 s39, s39, exec_lo
	s_waitcnt lgkmcnt(0)
	v_cmp_ge_u64_e32 vcc_lo, v[8:9], v[32:33]
	s_or_not1_b32 vcc_lo, vcc_lo, exec_lo
	s_branch .LBB2_3782
.LBB2_3787:                             ;   in Loop: Header=BB2_3783 Depth=3
	s_cbranch_execnz .LBB2_4660
; %bb.3788:                             ;   in Loop: Header=BB2_3783 Depth=3
	ds_load_b64 v[8:9], v0
	s_and_not1_b32 s41, s41, exec_lo
	s_mov_b32 s40, 0
	s_mov_b32 s42, -1
	s_waitcnt lgkmcnt(0)
	s_waitcnt_vscnt null, 0x0
	flat_load_b32 v2, v[8:9] glc
	s_waitcnt vmcnt(0) lgkmcnt(0)
	buffer_gl1_inv
	buffer_gl0_inv
	v_cmp_eq_u32_e32 vcc_lo, 0, v2
	s_and_b32 vcc_lo, vcc_lo, exec_lo
	s_delay_alu instid0(SALU_CYCLE_1)
	s_or_b32 s41, s41, vcc_lo
	s_branch .LBB2_3784
.LBB2_3789:                             ;   in Loop: Header=BB2_3718 Depth=2
	s_or_b32 exec_lo, exec_lo, s37
	s_and_saveexec_b32 vcc_lo, s38
	s_delay_alu instid0(SALU_CYCLE_1)
	s_xor_b32 vcc_lo, exec_lo, vcc_lo
	s_cbranch_execz .LBB2_3791
; %bb.3790:                             ;   in Loop: Header=BB2_3718 Depth=2
	ds_store_b32 v0, v119
	s_cbranch_execnz .LBB2_4842
.LBB2_3791:                             ;   in Loop: Header=BB2_3718 Depth=2
	s_or_b32 exec_lo, exec_lo, s29
	;;#ASMSTART
	s_wakeup
	;;#ASMEND
.LBB2_3792:                             ;   in Loop: Header=BB2_3718 Depth=2
	s_or_b32 exec_lo, exec_lo, s24
.LBB2_3793:                             ;   in Loop: Header=BB2_3718 Depth=2
	s_and_not1_saveexec_b32 s13, s13
	s_cbranch_execz .LBB2_3795
; %bb.3794:                             ;   in Loop: Header=BB2_3718 Depth=2
	;;#ASMSTART
	s_waitcnt lgkmcnt(0) vmcnt(0)
	;;#ASMEND
	s_waitcnt lgkmcnt(0)
	s_waitcnt_vscnt null, 0x0
	s_barrier
.LBB2_3795:                             ;   in Loop: Header=BB2_3718 Depth=2
	s_or_b32 exec_lo, exec_lo, s13
	v_and_b32_e32 v2, 16, v30
.LBB2_3796:                             ;   in Loop: Header=BB2_3718 Depth=2
	s_or_b32 exec_lo, exec_lo, s4
	s_delay_alu instid0(VALU_DEP_1) | instskip(SKIP_1) | instid1(SALU_CYCLE_1)
	v_cmp_ne_u32_e32 vcc_lo, 0, v2
	s_xor_b32 s4, s10, -1
	s_and_b32 s13, vcc_lo, s4
	s_delay_alu instid0(SALU_CYCLE_1)
	s_and_saveexec_b32 s4, s13
	s_cbranch_execz .LBB2_3798
; %bb.3797:                             ;   in Loop: Header=BB2_3718 Depth=2
	s_waitcnt lgkmcnt(0)
	s_waitcnt_vscnt null, 0x0
	flat_store_b32 v[28:29], v119
.LBB2_3798:                             ;   in Loop: Header=BB2_3718 Depth=2
	s_or_b32 exec_lo, exec_lo, s4
	v_and_b32_e32 v2, 48, v30
	s_mov_b32 s4, exec_lo
	s_delay_alu instid0(VALU_DEP_1)
	v_cmpx_ne_u32_e32 0, v2
	s_cbranch_execz .LBB2_3800
; %bb.3799:                             ;   in Loop: Header=BB2_3718 Depth=2
	v_add_co_u32 v24, vcc_lo, v24, 2
	v_add_co_ci_u32_e32 v25, vcc_lo, 0, v25, vcc_lo
	s_waitcnt lgkmcnt(0)
	s_waitcnt_vscnt null, 0x0
	flat_store_b64 v[22:23], v[24:25]
.LBB2_3800:                             ;   in Loop: Header=BB2_3718 Depth=2
	s_or_b32 exec_lo, exec_lo, s4
	v_add_nc_u32_e32 v131, v54, v131
	s_mov_b32 s4, 0
	s_and_not1_b32 exec_lo, exec_lo, s16
	s_cbranch_execnz .LBB2_3718
; %bb.3801:                             ;   in Loop: Header=BB2_51 Depth=1
	s_or_b32 exec_lo, exec_lo, s16
	s_mov_b32 s29, s2
	s_mov_b32 s37, s17
.LBB2_3802:                             ;   in Loop: Header=BB2_51 Depth=1
	v_writelane_b32 v42, s14, 5
	v_writelane_b32 v42, s35, 8
	;; [unrolled: 1-line block ×5, first 2 shown]
	s_or_b32 exec_lo, exec_lo, s15
	s_mov_b32 s4, s3
	s_mov_b32 s2, s36
	s_and_not1_b32 vcc_lo, exec_lo, s29
	s_cbranch_vccnz .LBB2_4100
; %bb.3803:                             ;   in Loop: Header=BB2_51 Depth=1
	s_mov_b32 s30, 1
.LBB2_3804:                             ;   Parent Loop BB2_51 Depth=1
                                        ; =>  This Loop Header: Depth=2
                                        ;       Child Loop BB2_3806 Depth 3
                                        ;         Child Loop BB2_3815 Depth 4
                                        ;         Child Loop BB2_3845 Depth 4
	;; [unrolled: 1-line block ×4, first 2 shown]
                                        ;           Child Loop BB2_3894 Depth 5
                                        ;         Child Loop BB2_3901 Depth 4
                                        ;           Child Loop BB2_3902 Depth 5
                                        ;         Child Loop BB2_3913 Depth 4
                                        ;         Child Loop BB2_3919 Depth 4
                                        ;           Child Loop BB2_3920 Depth 5
                                        ;         Child Loop BB2_3933 Depth 4
                                        ;         Child Loop BB2_3939 Depth 4
                                        ;         Child Loop BB2_3949 Depth 4
                                        ;         Child Loop BB2_3955 Depth 4
                                        ;         Child Loop BB2_3967 Depth 4
                                        ;         Child Loop BB2_3993 Depth 4
                                        ;       Child Loop BB2_4014 Depth 3
                                        ;         Child Loop BB2_4020 Depth 4
                                        ;         Child Loop BB2_4052 Depth 4
	;; [unrolled: 1-line block ×3, first 2 shown]
	s_delay_alu instid0(SALU_CYCLE_1) | instskip(SKIP_4) | instid1(SALU_CYCLE_1)
	s_sub_i32 s3, s25, s30
	v_mov_b32_e32 v54, 0
	s_cmp_le_i32 s19, s3
	s_mov_b32 s34, 0
	s_cselect_b32 s13, s19, 0
	s_sub_i32 s3, s3, s13
	s_delay_alu instid0(SALU_CYCLE_1) | instskip(SKIP_4) | instid1(VALU_DEP_2)
	s_ashr_i32 s13, s3, 31
	v_mul_lo_u32 v2, v51, s3
	v_mad_u64_u32 v[8:9], null, v50, s3, 0
	v_mul_lo_u32 v10, v50, s13
	v_readlane_b32 s3, v42, 9
	v_add3_u32 v9, v9, v10, v2
	s_delay_alu instid0(VALU_DEP_4) | instskip(NEXT) | instid1(VALU_DEP_2)
	v_sub_co_u32 v10, vcc_lo, v52, v8
	v_sub_co_ci_u32_e32 v11, vcc_lo, v53, v9, vcc_lo
	s_delay_alu instid0(VALU_DEP_1) | instskip(SKIP_1) | instid1(VALU_DEP_1)
	v_cmp_lt_i64_e32 vcc_lo, v[50:51], v[10:11]
	v_cndmask_b32_e32 v10, v10, v50, vcc_lo
	v_max_i32_e32 v15, 0, v10
	v_cmp_lt_i32_e32 vcc_lo, 0, v10
	s_delay_alu instid0(VALU_DEP_2) | instskip(SKIP_1) | instid1(VALU_DEP_1)
	v_add_nc_u32_e32 v2, 31, v15
	s_and_b32 s3, s3, vcc_lo
	v_lshrrev_b32_e32 v2, 1, v2
	s_delay_alu instid0(VALU_DEP_1) | instskip(NEXT) | instid1(VALU_DEP_1)
	v_dual_mov_b32 v2, 0 :: v_dual_and_b32 v11, 0x3ffffff0, v2
	v_max_i32_e32 v12, s28, v11
	s_and_saveexec_b32 s31, s3
	s_cbranch_execz .LBB2_4012
; %bb.3805:                             ;   in Loop: Header=BB2_3804 Depth=2
	v_add_co_u32 v55, vcc_lo, v8, v128
	v_add_co_ci_u32_e32 v64, vcc_lo, v9, v129, vcc_lo
	v_mov_b32_e32 v54, 0
	s_mov_b32 s36, 1
	s_mov_b32 s35, -1
.LBB2_3806:                             ;   Parent Loop BB2_51 Depth=1
                                        ;     Parent Loop BB2_3804 Depth=2
                                        ; =>    This Loop Header: Depth=3
                                        ;         Child Loop BB2_3815 Depth 4
                                        ;         Child Loop BB2_3845 Depth 4
	;; [unrolled: 1-line block ×4, first 2 shown]
                                        ;           Child Loop BB2_3894 Depth 5
                                        ;         Child Loop BB2_3901 Depth 4
                                        ;           Child Loop BB2_3902 Depth 5
                                        ;         Child Loop BB2_3913 Depth 4
                                        ;         Child Loop BB2_3919 Depth 4
                                        ;           Child Loop BB2_3920 Depth 5
                                        ;         Child Loop BB2_3933 Depth 4
                                        ;         Child Loop BB2_3939 Depth 4
	;; [unrolled: 1-line block ×6, first 2 shown]
	s_and_saveexec_b32 s3, s0
	s_cbranch_execz .LBB2_3809
; %bb.3807:                             ;   in Loop: Header=BB2_3806 Depth=3
	s_cbranch_execnz .LBB2_4502
; %bb.3808:                             ;   in Loop: Header=BB2_3806 Depth=3
	ds_load_b128 v[8:11], v0
	v_ashrrev_i32_e32 v2, 31, v54
	s_waitcnt lgkmcnt(0)
	v_add_co_u32 v13, vcc_lo, v10, v55
	v_add_co_ci_u32_e32 v14, vcc_lo, v11, v64, vcc_lo
	v_add_co_u32 v8, vcc_lo, v8, v55
	v_add_co_ci_u32_e32 v9, vcc_lo, v9, v64, vcc_lo
	s_delay_alu instid0(VALU_DEP_4) | instskip(NEXT) | instid1(VALU_DEP_4)
	v_add_co_u32 v13, vcc_lo, v13, v54
	v_add_co_ci_u32_e32 v14, vcc_lo, v14, v2, vcc_lo
	v_cmp_ne_u64_e32 vcc_lo, 0, v[10:11]
	v_add_co_u32 v8, s13, v8, v54
	s_delay_alu instid0(VALU_DEP_1) | instskip(NEXT) | instid1(VALU_DEP_4)
	v_add_co_ci_u32_e64 v9, s13, v9, v2, s13
	v_dual_cndmask_b32 v11, 0, v14 :: v_dual_cndmask_b32 v10, 0, v13
	ds_store_b64 v0, v[8:9]
	ds_store_b64 v0, v[10:11]
.LBB2_3809:                             ;   in Loop: Header=BB2_3806 Depth=3
	s_or_b32 exec_lo, exec_lo, s3
	v_and_b32_e32 v2, 12, v30
	s_mov_b32 s13, -1
	s_mov_b32 s3, exec_lo
	s_delay_alu instid0(VALU_DEP_1)
	v_cmpx_ne_u32_e32 0, v2
	s_cbranch_execz .LBB2_3823
; %bb.3810:                             ;   in Loop: Header=BB2_3806 Depth=3
	v_and_b32_e32 v2, 8, v30
	s_delay_alu instid0(VALU_DEP_1) | instskip(SKIP_3) | instid1(VALU_DEP_1)
	v_add_co_u32 v10, vcc_lo, v34, v2
	v_add_co_ci_u32_e32 v11, vcc_lo, 0, v35, vcc_lo
	v_add_co_u32 v8, vcc_lo, v24, 2
	v_add_co_ci_u32_e32 v9, vcc_lo, 0, v25, vcc_lo
	v_cmp_lt_u64_e32 vcc_lo, v[10:11], v[8:9]
	v_mov_b32_e32 v10, 1
	s_and_saveexec_b32 s13, vcc_lo
	s_cbranch_execz .LBB2_3822
; %bb.3811:                             ;   in Loop: Header=BB2_3806 Depth=3
	v_mov_b32_e32 v10, 0
	s_mov_b32 s14, 0
                                        ; implicit-def: $sgpr15
	s_branch .LBB2_3815
.LBB2_3812:                             ;   in Loop: Header=BB2_3815 Depth=4
	s_or_b32 exec_lo, exec_lo, s38
	v_mov_b32_e32 v11, 0
	s_or_not1_b32 s24, s24, exec_lo
.LBB2_3813:                             ;   in Loop: Header=BB2_3815 Depth=4
	s_or_b32 exec_lo, exec_lo, s17
	s_delay_alu instid0(VALU_DEP_1) | instskip(SKIP_2) | instid1(SALU_CYCLE_1)
	v_mov_b32_e32 v10, v11
	s_and_not1_b32 s15, s15, exec_lo
	s_and_b32 s17, s24, exec_lo
	s_or_b32 s15, s15, s17
.LBB2_3814:                             ;   in Loop: Header=BB2_3815 Depth=4
	s_or_b32 exec_lo, exec_lo, s16
	s_waitcnt vmcnt(0) lgkmcnt(0)
	v_add_co_u32 v13, vcc_lo, v34, v2
	v_add_co_ci_u32_e32 v14, vcc_lo, 0, v35, vcc_lo
	s_xor_b32 s16, s15, -1
	s_delay_alu instid0(VALU_DEP_1) | instskip(SKIP_1) | instid1(SALU_CYCLE_1)
	v_cmp_ge_u64_e32 vcc_lo, v[13:14], v[8:9]
	s_or_b32 s16, s16, vcc_lo
	s_and_b32 s16, exec_lo, s16
	s_delay_alu instid0(SALU_CYCLE_1) | instskip(NEXT) | instid1(SALU_CYCLE_1)
	s_or_b32 s14, s16, s14
	s_and_not1_b32 exec_lo, exec_lo, s14
	s_cbranch_execz .LBB2_3821
.LBB2_3815:                             ;   Parent Loop BB2_51 Depth=1
                                        ;     Parent Loop BB2_3804 Depth=2
                                        ;       Parent Loop BB2_3806 Depth=3
                                        ; =>      This Inner Loop Header: Depth=4
	s_sleep 1
	flat_load_b64 v[34:35], v[22:23] glc
	v_and_b32_e32 v11, 64, v30
	s_and_not1_b32 s15, s15, exec_lo
	s_mov_b32 s16, exec_lo
	s_delay_alu instid0(VALU_DEP_1)
	v_cmpx_eq_u32_e32 0, v11
	s_cbranch_execz .LBB2_3814
; %bb.3816:                             ;   in Loop: Header=BB2_3815 Depth=4
	v_add_nc_u32_e32 v11, 1, v10
	s_mov_b32 s24, -1
	s_mov_b32 s17, exec_lo
	v_cmpx_lt_i32_e32 0x270e, v10
	s_cbranch_execz .LBB2_3813
; %bb.3817:                             ;   in Loop: Header=BB2_3815 Depth=4
	s_cbranch_execnz .LBB2_4540
; %bb.3818:                             ;   in Loop: Header=BB2_3815 Depth=4
	ds_load_b64 v[10:11], v0
	s_mov_b32 s38, exec_lo
	s_waitcnt vmcnt(0) lgkmcnt(0)
	s_waitcnt_vscnt null, 0x0
	flat_load_b32 v10, v[10:11] glc
	s_waitcnt vmcnt(0) lgkmcnt(0)
	buffer_gl1_inv
	buffer_gl0_inv
	v_cmpx_ne_u32_e32 0, v10
	s_cbranch_execz .LBB2_3812
; %bb.3819:                             ;   in Loop: Header=BB2_3815 Depth=4
	ds_store_b32 v0, v10
	s_cbranch_execnz .LBB2_4622
; %bb.3820:                             ;   in Loop: Header=BB2_3815 Depth=4
	v_or_b32_e32 v30, 64, v30
	s_xor_b32 s24, exec_lo, -1
	s_branch .LBB2_3812
.LBB2_3821:                             ;   in Loop: Header=BB2_3806 Depth=3
	s_or_b32 exec_lo, exec_lo, s14
	v_and_b32_e32 v10, 12, v30
.LBB2_3822:                             ;   in Loop: Header=BB2_3806 Depth=3
	s_or_b32 exec_lo, exec_lo, s13
	s_delay_alu instid0(VALU_DEP_1)
	v_cmp_eq_u32_e32 vcc_lo, 0, v10
	;;#ASMSTART
	s_wakeup
	;;#ASMEND
	s_or_not1_b32 s13, vcc_lo, exec_lo
.LBB2_3823:                             ;   in Loop: Header=BB2_3806 Depth=3
	s_or_b32 exec_lo, exec_lo, s3
	v_sub_nc_u32_e32 v2, v15, v54
	s_xor_b32 s13, s13, -1
	s_delay_alu instid0(VALU_DEP_1)
	v_min_i32_e32 v12, v12, v2
	s_and_saveexec_b32 s3, s13
	s_cbranch_execz .LBB2_3836
; %bb.3824:                             ;   in Loop: Header=BB2_3806 Depth=3
	v_and_b32_e32 v2, 0x108, v30
	s_delay_alu instid0(VALU_DEP_1) | instskip(SKIP_2) | instid1(SALU_CYCLE_1)
	v_cmp_ne_u32_e32 vcc_lo, 0x108, v2
	v_and_b32_e32 v2, 7, v24
	s_and_saveexec_b32 s13, vcc_lo
	s_xor_b32 s13, exec_lo, s13
	s_delay_alu instid0(SALU_CYCLE_1)
	s_and_not1_saveexec_b32 s13, s13
	s_cbranch_execz .LBB2_3826
; %bb.3825:                             ;   in Loop: Header=BB2_3806 Depth=3
	v_mad_u64_u32 v[8:9], null, v2, 24, v[6:7]
	v_ashrrev_i32_e32 v13, 31, v12
	flat_store_b64 v[8:9], v[12:13] offset:8
.LBB2_3826:                             ;   in Loop: Header=BB2_3806 Depth=3
	s_or_b32 exec_lo, exec_lo, s13
	v_and_b32_e32 v8, 0x100, v30
	s_mov_b32 s13, -1
	s_delay_alu instid0(VALU_DEP_1)
	v_cmp_ne_u32_e32 vcc_lo, 0, v8
                                        ; implicit-def: $vgpr8_vgpr9
	s_and_saveexec_b32 s14, vcc_lo
	s_cbranch_execnz .LBB2_3829
; %bb.3827:                             ;   in Loop: Header=BB2_3806 Depth=3
	s_or_b32 exec_lo, exec_lo, s14
	s_and_saveexec_b32 s14, s13
	s_cbranch_execnz .LBB2_3832
.LBB2_3828:                             ;   in Loop: Header=BB2_3806 Depth=3
	s_or_b32 exec_lo, exec_lo, s14
	s_cbranch_execnz .LBB2_4530
	s_branch .LBB2_3833
.LBB2_3829:                             ;   in Loop: Header=BB2_3806 Depth=3
	v_mad_u64_u32 v[10:11], null, v2, 24, v[6:7]
	s_delay_alu instid0(VALU_DEP_1) | instskip(NEXT) | instid1(VALU_DEP_1)
	v_mov_b32_e32 v8, v11
	v_mad_u64_u32 v[13:14], null, v3, 24, v[8:9]
	s_delay_alu instid0(VALU_DEP_1) | instskip(SKIP_4) | instid1(VALU_DEP_1)
	v_mov_b32_e32 v11, v13
	flat_load_b32 v8, v[10:11]
	s_waitcnt vmcnt(0) lgkmcnt(0)
	v_cmp_ne_u32_e32 vcc_lo, 1, v8
	v_cmp_eq_u32_e64 s13, 1, v8
                                        ; implicit-def: $vgpr8_vgpr9
	s_and_saveexec_b32 s15, s13
	s_cbranch_execz .LBB2_3831
; %bb.3830:                             ;   in Loop: Header=BB2_3806 Depth=3
	flat_load_b32 v8, v[10:11] offset:4 glc
	s_waitcnt vmcnt(0) lgkmcnt(0)
	v_ashrrev_i32_e32 v9, 31, v8
.LBB2_3831:                             ;   in Loop: Header=BB2_3806 Depth=3
	s_or_b32 exec_lo, exec_lo, s15
	s_delay_alu instid0(SALU_CYCLE_1)
	s_or_not1_b32 s13, vcc_lo, exec_lo
	s_or_b32 exec_lo, exec_lo, s14
	s_and_saveexec_b32 s14, s13
	s_cbranch_execz .LBB2_3828
.LBB2_3832:                             ;   in Loop: Header=BB2_3806 Depth=3
	v_mul_lo_u32 v10, v3, v80
	v_mul_lo_u32 v11, v2, v82
	v_mad_u64_u32 v[8:9], null, v2, v80, 0
	s_delay_alu instid0(VALU_DEP_1)
	v_add3_u32 v9, v9, v11, v10
	s_or_b32 exec_lo, exec_lo, s14
	s_cbranch_execnz .LBB2_4530
.LBB2_3833:                             ;   in Loop: Header=BB2_3806 Depth=3
	s_delay_alu instid0(VALU_DEP_2)
	v_add_co_u32 v8, vcc_lo, v26, v8
	v_and_b32_e32 v2, 0x2000, v30
	v_add_co_ci_u32_e32 v9, vcc_lo, v27, v9, vcc_lo
	s_mov_b32 s13, exec_lo
	ds_store_b64 v0, v[8:9]
	v_cmpx_ne_u32_e32 0, v2
	s_cbranch_execz .LBB2_3835
; %bb.3834:                             ;   in Loop: Header=BB2_3806 Depth=3
	ds_load_b64 v[8:9], v0 offset:584
	s_waitcnt lgkmcnt(0)
	v_add_co_u32 v8, vcc_lo, v8, 1
	v_add_co_ci_u32_e32 v9, vcc_lo, 0, v9, vcc_lo
	ds_store_b64 v0, v[8:9] offset:584
.LBB2_3835:                             ;   in Loop: Header=BB2_3806 Depth=3
	s_or_b32 exec_lo, exec_lo, s13
	v_add_co_u32 v24, vcc_lo, v24, 2
	v_add_co_ci_u32_e32 v25, vcc_lo, 0, v25, vcc_lo
.LBB2_3836:                             ;   in Loop: Header=BB2_3806 Depth=3
	s_or_b32 exec_lo, exec_lo, s3
	s_and_saveexec_b32 s3, s37
	s_cbranch_execz .LBB2_3858
; %bb.3837:                             ;   in Loop: Header=BB2_3806 Depth=3
	s_and_saveexec_b32 s13, s4
	s_delay_alu instid0(SALU_CYCLE_1)
	s_xor_b32 s13, exec_lo, s13
	s_cbranch_execz .LBB2_3855
; %bb.3838:                             ;   in Loop: Header=BB2_3806 Depth=3
	s_and_saveexec_b32 s14, s1
	s_cbranch_execz .LBB2_3854
; %bb.3839:                             ;   in Loop: Header=BB2_3806 Depth=3
	s_mov_b32 s16, exec_lo
	s_mov_b32 s15, exec_lo
	v_mbcnt_lo_u32_b32 v2, s16, 0
	s_waitcnt lgkmcnt(0)
	s_waitcnt_vscnt null, 0x0
	buffer_gl1_inv
	buffer_gl0_inv
	v_cmpx_eq_u32_e32 0, v2
	s_cbranch_execz .LBB2_3841
; %bb.3840:                             ;   in Loop: Header=BB2_3806 Depth=3
	s_bcnt1_i32_b32 s16, s16
	s_delay_alu instid0(SALU_CYCLE_1)
	v_mov_b32_e32 v2, s16
	ds_add_u64 v0, v[2:3]
	s_cbranch_execnz .LBB2_4678
.LBB2_3841:                             ;   in Loop: Header=BB2_3806 Depth=3
	s_or_b32 exec_lo, exec_lo, s15
	s_cbranch_execnz .LBB2_4650
; %bb.3842:                             ;   in Loop: Header=BB2_3806 Depth=3
	ds_load_b64 v[8:9], v0
	v_add_co_u32 v32, vcc_lo, v32, v83
	v_add_co_ci_u32_e32 v33, vcc_lo, 0, v33, vcc_lo
	s_mov_b32 s15, exec_lo
	s_waitcnt lgkmcnt(0)
	s_delay_alu instid0(VALU_DEP_1)
	v_cmpx_lt_u64_e64 v[8:9], v[32:33]
	s_cbranch_execz .LBB2_3853
; %bb.3843:                             ;   in Loop: Header=BB2_3806 Depth=3
	s_mov_b32 s16, 0
	s_mov_b32 s38, 0
                                        ; implicit-def: $sgpr17
                                        ; implicit-def: $sgpr24
	s_branch .LBB2_3845
.LBB2_3844:                             ;   in Loop: Header=BB2_3845 Depth=4
	s_or_b32 exec_lo, exec_lo, s40
	s_delay_alu instid0(SALU_CYCLE_1) | instskip(NEXT) | instid1(SALU_CYCLE_1)
	s_and_b32 vcc_lo, exec_lo, vcc_lo
	s_or_b32 s16, vcc_lo, s16
	s_and_not1_b32 s17, s17, exec_lo
	s_and_b32 vcc_lo, s24, exec_lo
	s_delay_alu instid0(SALU_CYCLE_1)
	s_or_b32 s17, s17, vcc_lo
	s_and_not1_b32 exec_lo, exec_lo, s16
	s_cbranch_execz .LBB2_3851
.LBB2_3845:                             ;   Parent Loop BB2_51 Depth=1
                                        ;     Parent Loop BB2_3804 Depth=2
                                        ;       Parent Loop BB2_3806 Depth=3
                                        ; =>      This Inner Loop Header: Depth=4
	s_add_i32 s38, s38, 1
                                        ; implicit-def: $sgpr40
	s_delay_alu instid0(SALU_CYCLE_1) | instskip(SKIP_1) | instid1(SALU_CYCLE_1)
	s_cmpk_lg_i32 s38, 0x2710
	s_cselect_b32 s39, -1, 0
	s_and_b32 vcc_lo, exec_lo, s39
	s_cbranch_vccz .LBB2_3849
.LBB2_3846:                             ;   in Loop: Header=BB2_3845 Depth=4
	s_and_not1_b32 s24, s24, exec_lo
	s_and_b32 s40, s40, exec_lo
	s_mov_b32 vcc_lo, -1
	s_or_b32 s24, s24, s40
	s_and_saveexec_b32 s40, s39
	s_cbranch_execz .LBB2_3844
; %bb.3847:                             ;   in Loop: Header=BB2_3845 Depth=4
	s_sleep 1
	s_cbranch_execnz .LBB2_4728
; %bb.3848:                             ;   in Loop: Header=BB2_3845 Depth=4
	ds_load_b64 v[8:9], v0
	s_and_not1_b32 s24, s24, exec_lo
	s_waitcnt lgkmcnt(0)
	v_cmp_ge_u64_e32 vcc_lo, v[8:9], v[32:33]
	s_or_not1_b32 vcc_lo, vcc_lo, exec_lo
	s_branch .LBB2_3844
.LBB2_3849:                             ;   in Loop: Header=BB2_3845 Depth=4
	s_cbranch_execnz .LBB2_4748
; %bb.3850:                             ;   in Loop: Header=BB2_3845 Depth=4
	ds_load_b64 v[8:9], v0
	s_and_not1_b32 s39, s39, exec_lo
	s_mov_b32 s38, 0
	s_mov_b32 s40, -1
	s_waitcnt lgkmcnt(0)
	flat_load_b32 v2, v[8:9] glc
	s_waitcnt vmcnt(0) lgkmcnt(0)
	buffer_gl1_inv
	buffer_gl0_inv
	v_cmp_eq_u32_e32 vcc_lo, 0, v2
	s_and_b32 vcc_lo, vcc_lo, exec_lo
	s_delay_alu instid0(SALU_CYCLE_1)
	s_or_b32 s39, s39, vcc_lo
	s_branch .LBB2_3846
.LBB2_3851:                             ;   in Loop: Header=BB2_3806 Depth=3
	s_or_b32 exec_lo, exec_lo, s16
	s_and_saveexec_b32 s16, s17
	s_delay_alu instid0(SALU_CYCLE_1)
	s_xor_b32 s16, exec_lo, s16
	s_cbranch_execz .LBB2_3853
; %bb.3852:                             ;   in Loop: Header=BB2_3806 Depth=3
	ds_store_b32 v0, v119
	s_cbranch_execnz .LBB2_4862
.LBB2_3853:                             ;   in Loop: Header=BB2_3806 Depth=3
	s_or_b32 exec_lo, exec_lo, s15
	;;#ASMSTART
	s_wakeup
	;;#ASMEND
.LBB2_3854:                             ;   in Loop: Header=BB2_3806 Depth=3
	s_or_b32 exec_lo, exec_lo, s14
.LBB2_3855:                             ;   in Loop: Header=BB2_3806 Depth=3
	s_and_not1_saveexec_b32 s13, s13
	s_cbranch_execz .LBB2_3857
; %bb.3856:                             ;   in Loop: Header=BB2_3806 Depth=3
	s_waitcnt lgkmcnt(0)
	s_waitcnt_vscnt null, 0x0
	buffer_gl1_inv
	buffer_gl0_inv
	s_barrier
.LBB2_3857:                             ;   in Loop: Header=BB2_3806 Depth=3
	s_or_b32 exec_lo, exec_lo, s13
.LBB2_3858:                             ;   in Loop: Header=BB2_3806 Depth=3
	s_delay_alu instid0(SALU_CYCLE_1)
	s_or_b32 exec_lo, exec_lo, s3
	s_cbranch_execnz .LBB2_4514
; %bb.3859:                             ;   in Loop: Header=BB2_3806 Depth=3
	ds_load_b32 v8, v0
	v_and_b32_e32 v2, 0x4000, v30
	s_xor_b32 s3, s2, -1
	s_delay_alu instid0(VALU_DEP_1) | instskip(SKIP_1) | instid1(SALU_CYCLE_1)
	v_cmp_ne_u32_e32 vcc_lo, 0, v2
	s_and_b32 s13, s3, vcc_lo
	s_and_saveexec_b32 s3, s13
	s_cbranch_execz .LBB2_3881
; %bb.3860:                             ;   in Loop: Header=BB2_3806 Depth=3
	s_and_saveexec_b32 s13, s4
	s_delay_alu instid0(SALU_CYCLE_1)
	s_xor_b32 s13, exec_lo, s13
	s_cbranch_execz .LBB2_3878
; %bb.3861:                             ;   in Loop: Header=BB2_3806 Depth=3
	s_and_saveexec_b32 s14, s1
	s_cbranch_execz .LBB2_3877
; %bb.3862:                             ;   in Loop: Header=BB2_3806 Depth=3
	s_mov_b32 s16, exec_lo
	s_mov_b32 s15, exec_lo
	v_mbcnt_lo_u32_b32 v2, s16, 0
	s_waitcnt lgkmcnt(0)
	s_waitcnt_vscnt null, 0x0
	buffer_gl1_inv
	buffer_gl0_inv
	v_cmpx_eq_u32_e32 0, v2
	s_cbranch_execz .LBB2_3864
; %bb.3863:                             ;   in Loop: Header=BB2_3806 Depth=3
	s_bcnt1_i32_b32 s16, s16
	s_delay_alu instid0(SALU_CYCLE_1)
	v_mov_b32_e32 v2, s16
	ds_add_u64 v0, v[2:3]
	s_cbranch_execnz .LBB2_4718
.LBB2_3864:                             ;   in Loop: Header=BB2_3806 Depth=3
	s_or_b32 exec_lo, exec_lo, s15
	s_cbranch_execnz .LBB2_4698
; %bb.3865:                             ;   in Loop: Header=BB2_3806 Depth=3
	ds_load_b64 v[9:10], v0
	v_add_co_u32 v32, vcc_lo, v32, v83
	v_add_co_ci_u32_e32 v33, vcc_lo, 0, v33, vcc_lo
	s_mov_b32 s15, exec_lo
	s_waitcnt lgkmcnt(0)
	s_delay_alu instid0(VALU_DEP_1)
	v_cmpx_lt_u64_e64 v[9:10], v[32:33]
	s_cbranch_execz .LBB2_3876
; %bb.3866:                             ;   in Loop: Header=BB2_3806 Depth=3
	s_mov_b32 s16, 0
	s_mov_b32 s38, 0
                                        ; implicit-def: $sgpr17
                                        ; implicit-def: $sgpr24
	s_branch .LBB2_3868
.LBB2_3867:                             ;   in Loop: Header=BB2_3868 Depth=4
	s_or_b32 exec_lo, exec_lo, s40
	s_delay_alu instid0(SALU_CYCLE_1) | instskip(NEXT) | instid1(SALU_CYCLE_1)
	s_and_b32 vcc_lo, exec_lo, vcc_lo
	s_or_b32 s16, vcc_lo, s16
	s_and_not1_b32 s17, s17, exec_lo
	s_and_b32 vcc_lo, s24, exec_lo
	s_delay_alu instid0(SALU_CYCLE_1)
	s_or_b32 s17, s17, vcc_lo
	s_and_not1_b32 exec_lo, exec_lo, s16
	s_cbranch_execz .LBB2_3874
.LBB2_3868:                             ;   Parent Loop BB2_51 Depth=1
                                        ;     Parent Loop BB2_3804 Depth=2
                                        ;       Parent Loop BB2_3806 Depth=3
                                        ; =>      This Inner Loop Header: Depth=4
	s_add_i32 s38, s38, 1
                                        ; implicit-def: $sgpr40
	s_delay_alu instid0(SALU_CYCLE_1) | instskip(SKIP_1) | instid1(SALU_CYCLE_1)
	s_cmpk_lg_i32 s38, 0x2710
	s_cselect_b32 s39, -1, 0
	s_and_b32 vcc_lo, exec_lo, s39
	s_cbranch_vccz .LBB2_3872
.LBB2_3869:                             ;   in Loop: Header=BB2_3868 Depth=4
	s_and_not1_b32 s24, s24, exec_lo
	s_and_b32 s40, s40, exec_lo
	s_mov_b32 vcc_lo, -1
	s_or_b32 s24, s24, s40
	s_and_saveexec_b32 s40, s39
	s_cbranch_execz .LBB2_3867
; %bb.3870:                             ;   in Loop: Header=BB2_3868 Depth=4
	s_sleep 1
	s_cbranch_execnz .LBB2_4782
; %bb.3871:                             ;   in Loop: Header=BB2_3868 Depth=4
	ds_load_b64 v[9:10], v0
	s_and_not1_b32 s24, s24, exec_lo
	s_waitcnt lgkmcnt(0)
	v_cmp_ge_u64_e32 vcc_lo, v[9:10], v[32:33]
	s_or_not1_b32 vcc_lo, vcc_lo, exec_lo
	s_branch .LBB2_3867
.LBB2_3872:                             ;   in Loop: Header=BB2_3868 Depth=4
	s_cbranch_execnz .LBB2_4790
; %bb.3873:                             ;   in Loop: Header=BB2_3868 Depth=4
	ds_load_b64 v[9:10], v0
	s_and_not1_b32 s39, s39, exec_lo
	s_mov_b32 s38, 0
	s_mov_b32 s40, -1
	s_waitcnt lgkmcnt(0)
	flat_load_b32 v2, v[9:10] glc
	s_waitcnt vmcnt(0) lgkmcnt(0)
	buffer_gl1_inv
	buffer_gl0_inv
	v_cmp_eq_u32_e32 vcc_lo, 0, v2
	s_and_b32 vcc_lo, vcc_lo, exec_lo
	s_delay_alu instid0(SALU_CYCLE_1)
	s_or_b32 s39, s39, vcc_lo
	s_branch .LBB2_3869
.LBB2_3874:                             ;   in Loop: Header=BB2_3806 Depth=3
	s_or_b32 exec_lo, exec_lo, s16
	s_and_saveexec_b32 s16, s17
	s_delay_alu instid0(SALU_CYCLE_1)
	s_xor_b32 s16, exec_lo, s16
	s_cbranch_execz .LBB2_3876
; %bb.3875:                             ;   in Loop: Header=BB2_3806 Depth=3
	ds_store_b32 v0, v119
	s_cbranch_execnz .LBB2_4876
.LBB2_3876:                             ;   in Loop: Header=BB2_3806 Depth=3
	s_or_b32 exec_lo, exec_lo, s15
	;;#ASMSTART
	s_wakeup
	;;#ASMEND
.LBB2_3877:                             ;   in Loop: Header=BB2_3806 Depth=3
	s_or_b32 exec_lo, exec_lo, s14
.LBB2_3878:                             ;   in Loop: Header=BB2_3806 Depth=3
	s_and_not1_saveexec_b32 s13, s13
	s_cbranch_execz .LBB2_3880
; %bb.3879:                             ;   in Loop: Header=BB2_3806 Depth=3
	s_waitcnt lgkmcnt(0)
	s_waitcnt_vscnt null, 0x0
	buffer_gl1_inv
	buffer_gl0_inv
	s_barrier
.LBB2_3880:                             ;   in Loop: Header=BB2_3806 Depth=3
	s_or_b32 exec_lo, exec_lo, s13
.LBB2_3881:                             ;   in Loop: Header=BB2_3806 Depth=3
	s_delay_alu instid0(SALU_CYCLE_1)
	s_or_b32 exec_lo, exec_lo, s3
	s_cbranch_execnz .LBB2_4570
; %bb.3882:                             ;   in Loop: Header=BB2_3806 Depth=3
	ds_load_b64 v[9:10], v0
	v_mov_b32_e32 v65, 0
	s_waitcnt lgkmcnt(0)
	v_cmp_eq_u64_e32 vcc_lo, 0, v[9:10]
	s_or_b32 s3, vcc_lo, vcc_lo
	s_delay_alu instid0(SALU_CYCLE_1)
	s_and_b32 vcc_lo, exec_lo, s3
	s_cbranch_vccnz .LBB2_3958
; %bb.3883:                             ;   in Loop: Header=BB2_3806 Depth=3
	v_cmp_eq_u32_e32 vcc_lo, 0, v8
	s_cbranch_execnz .LBB2_4644
; %bb.3884:                             ;   in Loop: Header=BB2_3806 Depth=3
	ds_load_b64 v[8:9], v0
	v_cndmask_b32_e32 v65, 0, v12, vcc_lo
	s_mov_b32 s3, -1
	s_waitcnt lgkmcnt(0)
	v_cmp_ne_u64_e64 s13, 0, v[8:9]
	s_delay_alu instid0(VALU_DEP_1)
	s_and_b32 vcc_lo, exec_lo, s13
	s_cbranch_vccz .LBB2_3924
; %bb.3885:                             ;   in Loop: Header=BB2_3806 Depth=3
	s_and_saveexec_b32 s13, s6
	s_cbranch_execz .LBB2_3887
; %bb.3886:                             ;   in Loop: Header=BB2_3806 Depth=3
	ds_load_b32 v2, v0 offset:720
	s_waitcnt lgkmcnt(0)
	v_and_b32_e32 v2, 15, v2
	s_delay_alu instid0(VALU_DEP_1)
	v_cmp_eq_u32_e32 vcc_lo, 0, v2
	s_or_not1_b32 s3, vcc_lo, exec_lo
.LBB2_3887:                             ;   in Loop: Header=BB2_3806 Depth=3
	s_or_b32 exec_lo, exec_lo, s13
	s_and_saveexec_b32 s13, s12
	s_cbranch_execz .LBB2_3889
; %bb.3888:                             ;   in Loop: Header=BB2_3806 Depth=3
	ds_load_b32 v2, v0 offset:784
	s_waitcnt lgkmcnt(0)
	v_and_b32_e32 v2, 15, v2
	s_delay_alu instid0(VALU_DEP_1) | instskip(SKIP_3) | instid1(SALU_CYCLE_1)
	v_cmp_eq_u32_e32 vcc_lo, 0, v2
	s_and_b32 s14, s3, vcc_lo
	s_and_not1_b32 s3, s3, exec_lo
	s_and_b32 s14, s14, exec_lo
	s_or_b32 s3, s3, s14
.LBB2_3889:                             ;   in Loop: Header=BB2_3806 Depth=3
	s_or_b32 exec_lo, exec_lo, s13
	s_xor_b32 s3, s3, -1
	v_mov_b32_e32 v66, v65
	v_cndmask_b32_e64 v2, 0, 1, s3
	;;#ASMSTART
	;;#ASMEND
	s_delay_alu instid0(VALU_DEP_1)
	v_cmp_ne_u32_e32 vcc_lo, 0, v2
	v_dual_mov_b32 v2, 0 :: v_dual_mov_b32 v67, v0
	v_mov_b32_e32 v8, v84
	s_mov_b32 s14, -1
	s_cbranch_vccnz .LBB2_3909
; %bb.3890:                             ;   in Loop: Header=BB2_3806 Depth=3
	v_ashrrev_i32_e32 v2, 31, v65
	s_mov_b32 s3, exec_lo
	s_delay_alu instid0(VALU_DEP_1) | instskip(NEXT) | instid1(VALU_DEP_1)
	v_lshrrev_b32_e32 v2, 23, v2
	v_add_nc_u32_e32 v2, v65, v2
	s_delay_alu instid0(VALU_DEP_1) | instskip(SKIP_2) | instid1(VALU_DEP_3)
	v_and_b32_e32 v68, 0xfffffe00, v2
	v_ashrrev_i32_e32 v8, 9, v2
	v_sub_nc_u32_e32 v2, v65, v116
	v_sub_nc_u32_e32 v70, v65, v68
	s_delay_alu instid0(VALU_DEP_1) | instskip(NEXT) | instid1(VALU_DEP_1)
	v_cmp_lt_i32_e64 s13, 15, v70
	v_add_co_ci_u32_e64 v71, vcc_lo, v8, v117, s13
	s_delay_alu instid0(VALU_DEP_4)
	v_cmpx_lt_i32_e32 15, v2
	s_cbranch_execz .LBB2_3897
; %bb.3891:                             ;   in Loop: Header=BB2_3806 Depth=3
	s_cbranch_execnz .LBB2_4806
; %bb.3892:                             ;   in Loop: Header=BB2_3806 Depth=3
	ds_load_b64 v[13:14], v0
	ds_load_b128 v[8:11], v0
	s_mov_b32 s16, 0
	s_waitcnt lgkmcnt(1)
	v_add_co_u32 v13, vcc_lo, v13, v116
	v_add_co_ci_u32_e32 v14, vcc_lo, v14, v118, vcc_lo
	s_waitcnt lgkmcnt(0)
	v_add_co_u32 v66, vcc_lo, v8, v116
	v_add_co_ci_u32_e32 v67, vcc_lo, v9, v118, vcc_lo
	v_add_co_u32 v69, vcc_lo, v10, v116
	v_add_co_ci_u32_e32 v130, vcc_lo, v11, v118, vcc_lo
.LBB2_3893:                             ;   Parent Loop BB2_51 Depth=1
                                        ;     Parent Loop BB2_3804 Depth=2
                                        ;       Parent Loop BB2_3806 Depth=3
                                        ; =>      This Loop Header: Depth=4
                                        ;           Child Loop BB2_3894 Depth 5
	global_load_b128 v[8:11], v[13:14], off slc dlc
	s_mov_b64 s[14:15], 0
	s_mov_b32 s17, -1
.LBB2_3894:                             ;   Parent Loop BB2_51 Depth=1
                                        ;     Parent Loop BB2_3804 Depth=2
                                        ;       Parent Loop BB2_3806 Depth=3
                                        ;         Parent Loop BB2_3893 Depth=4
                                        ; =>        This Inner Loop Header: Depth=5
	s_cmp_eq_u32 s14, 0
	v_cndmask_b32_e64 v133, 0, 1, s17
	s_cselect_b32 vcc_lo, -1, 0
	s_cmp_eq_u32 s14, 1
	s_mov_b32 s17, 0
	s_cselect_b32 s14, -1, 0
	s_delay_alu instid0(SALU_CYCLE_1) | instskip(SKIP_1) | instid1(VALU_DEP_2)
	v_cndmask_b32_e64 v131, v66, v69, s14
	v_cndmask_b32_e64 v132, v67, v130, s14
	v_add_co_u32 v134, s15, 0x200, v131
	s_delay_alu instid0(VALU_DEP_1) | instskip(SKIP_1) | instid1(VALU_DEP_3)
	v_add_co_ci_u32_e64 v135, s15, 0, v132, s15
	v_cmp_ne_u32_e64 s15, 1, v133
	v_cndmask_b32_e64 v69, v69, v134, s14
	v_cndmask_b32_e32 v66, v66, v134, vcc_lo
	s_delay_alu instid0(VALU_DEP_4)
	v_cndmask_b32_e64 v130, v130, v135, s14
	v_cndmask_b32_e32 v67, v67, v135, vcc_lo
	s_and_b32 vcc_lo, exec_lo, s15
	s_mov_b64 s[14:15], 1
	s_waitcnt vmcnt(0)
	global_store_b128 v[131:132], v[8:11], off glc slc dlc
	s_cbranch_vccz .LBB2_3894
; %bb.3895:                             ;   in Loop: Header=BB2_3893 Depth=4
	v_add_co_u32 v66, vcc_lo, v66, v87
	v_sub_nc_u32_e32 v2, v2, v86
	v_add_co_ci_u32_e32 v67, vcc_lo, v67, v98, vcc_lo
	v_add_co_u32 v69, vcc_lo, v69, v87
	v_add_co_ci_u32_e32 v130, vcc_lo, v130, v98, vcc_lo
	s_delay_alu instid0(VALU_DEP_4) | instskip(SKIP_1) | instid1(VALU_DEP_1)
	v_cmp_gt_i32_e32 vcc_lo, 16, v2
	v_add_co_u32 v13, s14, v100, v13
	v_add_co_ci_u32_e64 v14, s14, v101, v14, s14
	v_sub_nc_u32_e32 v71, v71, v83
	s_or_b32 s16, vcc_lo, s16
	s_delay_alu instid0(SALU_CYCLE_1)
	s_and_not1_b32 exec_lo, exec_lo, s16
	s_cbranch_execnz .LBB2_3893
; %bb.3896:                             ;   in Loop: Header=BB2_3806 Depth=3
	s_or_b32 exec_lo, exec_lo, s16
.LBB2_3897:                             ;   in Loop: Header=BB2_3806 Depth=3
	s_delay_alu instid0(SALU_CYCLE_1) | instskip(SKIP_3) | instid1(VALU_DEP_1)
	s_or_b32 exec_lo, exec_lo, s3
	v_dual_mov_b32 v2, 0 :: v_dual_and_b32 v9, 15, v65
	s_mov_b32 s14, 0
	s_mov_b32 s3, exec_lo
                                        ; implicit-def: $vgpr66
                                        ; implicit-def: $vgpr67
                                        ; implicit-def: $vgpr8
	v_cndmask_b32_e64 v69, v70, v9, s13
	s_delay_alu instid0(VALU_DEP_1)
	v_cmpx_ne_u32_e32 0, v69
	s_cbranch_execz .LBB2_3908
; %bb.3898:                             ;   in Loop: Header=BB2_3806 Depth=3
	v_cmp_lt_i32_e32 vcc_lo, 0, v71
	v_ashrrev_i32_e32 v10, 31, v69
	v_sub_nc_u32_e32 v9, v70, v9
	s_mov_b32 s16, exec_lo
	v_cndmask_b32_e32 v2, 0, v83, vcc_lo
	s_delay_alu instid0(VALU_DEP_3) | instskip(NEXT) | instid1(VALU_DEP_3)
	v_lshrrev_b32_e32 v10, 23, v10
	v_cndmask_b32_e64 v9, 0, v9, s13
	s_delay_alu instid0(VALU_DEP_3) | instskip(NEXT) | instid1(VALU_DEP_3)
	v_sub_nc_u32_e32 v2, v2, v71
	v_add_nc_u32_e32 v10, v69, v10
	s_delay_alu instid0(VALU_DEP_3) | instskip(NEXT) | instid1(VALU_DEP_3)
	v_add_nc_u32_e32 v68, v9, v68
	v_lshl_add_u32 v2, v2, 5, v85
	s_delay_alu instid0(VALU_DEP_3) | instskip(SKIP_1) | instid1(VALU_DEP_3)
	v_and_b32_e32 v71, 0xfffffe00, v10
	v_ashrrev_i32_e32 v10, 9, v10
	v_ashrrev_i32_e32 v8, 31, v2
	s_delay_alu instid0(VALU_DEP_3) | instskip(NEXT) | instid1(VALU_DEP_2)
	v_sub_nc_u32_e32 v70, v69, v71
	v_lshrrev_b32_e32 v8, 27, v8
	s_delay_alu instid0(VALU_DEP_2) | instskip(NEXT) | instid1(VALU_DEP_2)
	v_cmp_lt_i32_e64 s13, 15, v70
	v_add_nc_u32_e32 v8, v2, v8
	s_delay_alu instid0(VALU_DEP_2) | instskip(NEXT) | instid1(VALU_DEP_2)
	v_add_co_ci_u32_e64 v10, vcc_lo, 0, v10, s13
	v_and_b32_e32 v11, 0xffffffe0, v8
	s_delay_alu instid0(VALU_DEP_1) | instskip(SKIP_1) | instid1(VALU_DEP_2)
	v_sub_nc_u32_e32 v130, v2, v11
	v_ashrrev_i32_e32 v11, 5, v8
	v_lshlrev_b32_e32 v2, 4, v130
	s_delay_alu instid0(VALU_DEP_2) | instskip(NEXT) | instid1(VALU_DEP_2)
	v_sub_nc_u32_e32 v131, v10, v11
	v_lshl_add_u32 v8, v11, 9, v2
	s_delay_alu instid0(VALU_DEP_1) | instskip(NEXT) | instid1(VALU_DEP_1)
	v_sub_nc_u32_e32 v2, v69, v8
	v_cmpx_lt_i32_e32 15, v2
	s_cbranch_execz .LBB2_3905
; %bb.3899:                             ;   in Loop: Header=BB2_3806 Depth=3
	s_cbranch_execnz .LBB2_4844
; %bb.3900:                             ;   in Loop: Header=BB2_3806 Depth=3
	ds_load_b64 v[9:10], v0
	ds_load_b128 v[132:135], v0
	v_add_nc_u32_e32 v8, v8, v68
	s_mov_b32 s17, 0
	s_delay_alu instid0(VALU_DEP_1) | instskip(SKIP_2) | instid1(VALU_DEP_2)
	v_ashrrev_i32_e32 v11, 31, v8
	s_waitcnt lgkmcnt(1)
	v_add_co_u32 v13, vcc_lo, v9, v8
	v_add_co_ci_u32_e32 v14, vcc_lo, v10, v11, vcc_lo
	s_waitcnt lgkmcnt(0)
	v_add_co_u32 v66, vcc_lo, v132, v8
	v_add_co_ci_u32_e32 v67, vcc_lo, v133, v11, vcc_lo
	v_add_co_u32 v132, vcc_lo, v134, v8
	v_add_co_ci_u32_e32 v133, vcc_lo, v135, v11, vcc_lo
.LBB2_3901:                             ;   Parent Loop BB2_51 Depth=1
                                        ;     Parent Loop BB2_3804 Depth=2
                                        ;       Parent Loop BB2_3806 Depth=3
                                        ; =>      This Loop Header: Depth=4
                                        ;           Child Loop BB2_3902 Depth 5
	global_load_b128 v[8:11], v[13:14], off slc dlc
	s_mov_b64 s[14:15], 0
	s_mov_b32 s24, -1
.LBB2_3902:                             ;   Parent Loop BB2_51 Depth=1
                                        ;     Parent Loop BB2_3804 Depth=2
                                        ;       Parent Loop BB2_3806 Depth=3
                                        ;         Parent Loop BB2_3901 Depth=4
                                        ; =>        This Inner Loop Header: Depth=5
	s_cmp_eq_u32 s14, 0
	v_cndmask_b32_e64 v144, 0, 1, s24
	s_cselect_b32 vcc_lo, -1, 0
	s_cmp_eq_u32 s14, 1
	s_mov_b32 s24, 0
	s_cselect_b32 s14, -1, 0
	s_delay_alu instid0(SALU_CYCLE_1) | instskip(SKIP_1) | instid1(VALU_DEP_2)
	v_cndmask_b32_e64 v134, v66, v132, s14
	v_cndmask_b32_e64 v135, v67, v133, s14
	v_add_co_u32 v145, s15, 0x200, v134
	s_delay_alu instid0(VALU_DEP_1) | instskip(SKIP_1) | instid1(VALU_DEP_3)
	v_add_co_ci_u32_e64 v146, s15, 0, v135, s15
	v_cmp_ne_u32_e64 s15, 1, v144
	v_cndmask_b32_e64 v132, v132, v145, s14
	v_cndmask_b32_e32 v66, v66, v145, vcc_lo
	s_delay_alu instid0(VALU_DEP_4)
	v_cndmask_b32_e64 v133, v133, v146, s14
	v_cndmask_b32_e32 v67, v67, v146, vcc_lo
	s_and_b32 vcc_lo, exec_lo, s15
	s_mov_b64 s[14:15], 1
	s_waitcnt vmcnt(0)
	global_store_b128 v[134:135], v[8:11], off glc slc dlc
	s_cbranch_vccz .LBB2_3902
; %bb.3903:                             ;   in Loop: Header=BB2_3901 Depth=4
	v_add_co_u32 v66, vcc_lo, v66, v87
	v_sub_nc_u32_e32 v2, v2, v86
	v_add_co_ci_u32_e32 v67, vcc_lo, v67, v98, vcc_lo
	v_add_co_u32 v132, vcc_lo, v132, v87
	v_add_co_ci_u32_e32 v133, vcc_lo, v133, v98, vcc_lo
	s_delay_alu instid0(VALU_DEP_4) | instskip(SKIP_1) | instid1(VALU_DEP_1)
	v_cmp_gt_i32_e32 vcc_lo, 16, v2
	v_add_co_u32 v13, s14, v100, v13
	v_add_co_ci_u32_e64 v14, s14, v101, v14, s14
	v_sub_nc_u32_e32 v131, v131, v83
	s_or_b32 s17, vcc_lo, s17
	s_delay_alu instid0(SALU_CYCLE_1)
	s_and_not1_b32 exec_lo, exec_lo, s17
	s_cbranch_execnz .LBB2_3901
; %bb.3904:                             ;   in Loop: Header=BB2_3806 Depth=3
	s_or_b32 exec_lo, exec_lo, s17
.LBB2_3905:                             ;   in Loop: Header=BB2_3806 Depth=3
	s_delay_alu instid0(SALU_CYCLE_1) | instskip(SKIP_3) | instid1(VALU_DEP_1)
	s_or_b32 exec_lo, exec_lo, s16
	v_dual_mov_b32 v2, 0 :: v_dual_and_b32 v9, 15, v69
	s_mov_b32 s14, 0
	s_mov_b32 s15, exec_lo
                                        ; implicit-def: $vgpr67
                                        ; implicit-def: $vgpr8
	v_cndmask_b32_e64 v66, v70, v9, s13
	s_delay_alu instid0(VALU_DEP_1)
	v_cmpx_ne_u32_e32 0, v66
	s_cbranch_execz .LBB2_3907
; %bb.3906:                             ;   in Loop: Header=BB2_3806 Depth=3
	v_cmp_lt_i32_e32 vcc_lo, 0, v131
	v_sub_nc_u32_e32 v8, v70, v9
	s_mov_b32 s14, exec_lo
	v_cndmask_b32_e32 v2, 0, v83, vcc_lo
	s_delay_alu instid0(VALU_DEP_2) | instskip(NEXT) | instid1(VALU_DEP_2)
	v_cndmask_b32_e64 v8, 0, v8, s13
	v_sub_nc_u32_e32 v2, v2, v131
	s_delay_alu instid0(VALU_DEP_1) | instskip(NEXT) | instid1(VALU_DEP_1)
	v_lshl_add_u32 v67, v2, 5, v130
	v_ashrrev_i32_e32 v2, 31, v67
	s_delay_alu instid0(VALU_DEP_1) | instskip(NEXT) | instid1(VALU_DEP_1)
	v_lshrrev_b32_e32 v2, 27, v2
	v_add_nc_u32_e32 v9, v67, v2
	v_add3_u32 v2, v71, v68, v8
	s_delay_alu instid0(VALU_DEP_2)
	v_ashrrev_i32_e32 v8, 5, v9
.LBB2_3907:                             ;   in Loop: Header=BB2_3806 Depth=3
	s_or_b32 exec_lo, exec_lo, s15
	s_delay_alu instid0(SALU_CYCLE_1)
	s_and_b32 s14, s14, exec_lo
.LBB2_3908:                             ;   in Loop: Header=BB2_3806 Depth=3
	s_or_b32 exec_lo, exec_lo, s3
.LBB2_3909:                             ;   in Loop: Header=BB2_3806 Depth=3
	s_and_saveexec_b32 s3, s14
	s_cbranch_execz .LBB2_3923
; %bb.3910:                             ;   in Loop: Header=BB2_3806 Depth=3
	v_ashrrev_i32_e32 v9, 31, v66
	s_mov_b32 s14, exec_lo
	s_delay_alu instid0(VALU_DEP_1) | instskip(NEXT) | instid1(VALU_DEP_1)
	v_lshrrev_b32_e32 v9, 24, v9
	v_add_nc_u32_e32 v9, v66, v9
	s_delay_alu instid0(VALU_DEP_1) | instskip(NEXT) | instid1(VALU_DEP_1)
	v_ashrrev_i32_e32 v69, 8, v9
	v_sub_nc_u32_e32 v68, v69, v8
	s_delay_alu instid0(VALU_DEP_1)
	v_cmpx_lt_i32_e32 0, v68
	s_cbranch_execz .LBB2_3915
; %bb.3911:                             ;   in Loop: Header=BB2_3806 Depth=3
	s_cbranch_execnz .LBB2_4802
; %bb.3912:                             ;   in Loop: Header=BB2_3806 Depth=3
	v_ashrrev_i32_e32 v9, 31, v67
	v_lshlrev_b32_e32 v8, 8, v8
	s_mov_b32 s15, 0
	ds_load_b128 v[130:133], v0
	v_lshrrev_b32_e32 v9, 27, v9
	s_delay_alu instid0(VALU_DEP_1) | instskip(SKIP_2) | instid1(VALU_DEP_1)
	v_add_nc_u32_e32 v11, v67, v9
	ds_load_b64 v[9:10], v0
	v_and_b32_e32 v11, 0xffffffe0, v11
	v_sub_nc_u32_e32 v11, v67, v11
	s_delay_alu instid0(VALU_DEP_1) | instskip(NEXT) | instid1(VALU_DEP_1)
	v_add3_u32 v13, v2, v11, v8
	v_ashrrev_i32_e32 v14, 31, v13
	s_waitcnt lgkmcnt(0)
	v_add_co_u32 v70, vcc_lo, 0xe0, v9
	v_add_co_ci_u32_e32 v71, vcc_lo, 0, v10, vcc_lo
	v_add_co_u32 v8, vcc_lo, v130, v13
	v_add_co_ci_u32_e32 v9, vcc_lo, v131, v14, vcc_lo
	;; [unrolled: 2-line block ×4, first 2 shown]
.LBB2_3913:                             ;   Parent Loop BB2_51 Depth=1
                                        ;     Parent Loop BB2_3804 Depth=2
                                        ;       Parent Loop BB2_3806 Depth=3
                                        ; =>      This Inner Loop Header: Depth=4
	s_delay_alu instid0(VALU_DEP_2) | instskip(NEXT) | instid1(VALU_DEP_2)
	v_add_co_u32 v70, vcc_lo, 0xffffff20, v13
	v_add_co_ci_u32_e32 v71, vcc_lo, -1, v14, vcc_lo
	v_add_co_u32 v130, vcc_lo, 0xffffff40, v13
	v_add_co_ci_u32_e32 v131, vcc_lo, -1, v14, vcc_lo
	;; [unrolled: 2-line block ×7, first 2 shown]
	flat_load_u8 v150, v[13:14] slc dlc
	flat_load_u8 v70, v[70:71] slc dlc
	;; [unrolled: 1-line block ×8, first 2 shown]
	v_sub_nc_u32_e32 v68, v68, v83
	v_add_co_u32 v13, vcc_lo, v13, v103
	v_add_co_ci_u32_e32 v14, vcc_lo, v14, v112, vcc_lo
	s_delay_alu instid0(VALU_DEP_3)
	v_cmp_gt_i32_e32 vcc_lo, 1, v68
	s_waitcnt vmcnt(6) lgkmcnt(6)
	flat_store_b8 v[8:9], v70 glc slc dlc
	s_waitcnt vmcnt(5) lgkmcnt(6)
	flat_store_b8 v[8:9], v71 offset:32 glc slc dlc
	s_waitcnt vmcnt(4) lgkmcnt(6)
	flat_store_b8 v[8:9], v130 offset:64 glc slc dlc
	;; [unrolled: 2-line block ×5, first 2 shown]
	s_waitcnt vmcnt(0) lgkmcnt(6)
	s_clause 0x1
	flat_store_b8 v[8:9], v134 offset:192 glc slc dlc
	flat_store_b8 v[8:9], v150 offset:224 glc slc dlc
	s_clause 0x7
	flat_store_b8 v[10:11], v70 glc slc dlc
	flat_store_b8 v[10:11], v71 offset:32 glc slc dlc
	flat_store_b8 v[10:11], v130 offset:64 glc slc dlc
	;; [unrolled: 1-line block ×7, first 2 shown]
	v_add_co_u32 v8, s13, v8, v103
	s_delay_alu instid0(VALU_DEP_1) | instskip(SKIP_1) | instid1(VALU_DEP_1)
	v_add_co_ci_u32_e64 v9, s13, v9, v112, s13
	v_add_co_u32 v10, s13, v10, v103
	v_add_co_ci_u32_e64 v11, s13, v11, v112, s13
	s_or_b32 s15, vcc_lo, s15
	s_delay_alu instid0(SALU_CYCLE_1)
	s_and_not1_b32 exec_lo, exec_lo, s15
	s_cbranch_execnz .LBB2_3913
; %bb.3914:                             ;   in Loop: Header=BB2_3806 Depth=3
	s_or_b32 exec_lo, exec_lo, s15
.LBB2_3915:                             ;   in Loop: Header=BB2_3806 Depth=3
	s_delay_alu instid0(SALU_CYCLE_1) | instskip(SKIP_2) | instid1(VALU_DEP_1)
	s_or_b32 exec_lo, exec_lo, s14
	v_lshlrev_b32_e32 v8, 8, v69
	s_mov_b32 s15, exec_lo
	v_cmpx_ne_u32_e64 v66, v8
	s_cbranch_execz .LBB2_3922
; %bb.3916:                             ;   in Loop: Header=BB2_3806 Depth=3
	v_ashrrev_i32_e32 v9, 31, v67
	v_lshlrev_b32_e32 v10, 5, v68
	s_delay_alu instid0(VALU_DEP_2) | instskip(NEXT) | instid1(VALU_DEP_1)
	v_lshrrev_b32_e32 v9, 27, v9
	v_add_nc_u32_e32 v9, v67, v9
	s_delay_alu instid0(VALU_DEP_1) | instskip(NEXT) | instid1(VALU_DEP_1)
	v_and_b32_e32 v9, 0xffffffe0, v9
	v_sub_nc_u32_e32 v9, v67, v9
	s_delay_alu instid0(VALU_DEP_1) | instskip(NEXT) | instid1(VALU_DEP_1)
	v_sub_nc_u32_e32 v9, v9, v10
	v_add_nc_u32_e32 v8, v8, v9
	s_delay_alu instid0(VALU_DEP_1) | instskip(NEXT) | instid1(VALU_DEP_1)
	v_sub_nc_u32_e32 v10, v66, v8
	v_cmp_lt_i32_e32 vcc_lo, 0, v10
	s_and_b32 exec_lo, exec_lo, vcc_lo
	s_cbranch_execz .LBB2_3922
; %bb.3917:                             ;   in Loop: Header=BB2_3806 Depth=3
	s_cbranch_execnz .LBB2_4838
; %bb.3918:                             ;   in Loop: Header=BB2_3806 Depth=3
	ds_load_b64 v[13:14], v0
	ds_load_b128 v[66:69], v0
	v_add_nc_u32_e32 v70, v8, v2
	s_mov_b32 s24, 0
	s_delay_alu instid0(VALU_DEP_1) | instskip(SKIP_2) | instid1(VALU_DEP_2)
	v_ashrrev_i32_e32 v71, 31, v70
	s_waitcnt lgkmcnt(1)
	v_add_co_u32 v8, vcc_lo, v13, v70
	v_add_co_ci_u32_e32 v9, vcc_lo, v14, v71, vcc_lo
	s_waitcnt lgkmcnt(0)
	v_add_co_u32 v2, vcc_lo, v66, v70
	v_add_co_ci_u32_e32 v11, vcc_lo, v67, v71, vcc_lo
	v_add_co_u32 v13, vcc_lo, v68, v70
	v_add_co_ci_u32_e32 v14, vcc_lo, v69, v71, vcc_lo
	s_set_inst_prefetch_distance 0x1
.LBB2_3919:                             ;   Parent Loop BB2_51 Depth=1
                                        ;     Parent Loop BB2_3804 Depth=2
                                        ;       Parent Loop BB2_3806 Depth=3
                                        ; =>      This Loop Header: Depth=4
                                        ;           Child Loop BB2_3920 Depth 5
	flat_load_u8 v66, v[8:9] slc dlc
	s_mov_b64 s[16:17], 0
	s_mov_b32 s38, -1
.LBB2_3920:                             ;   Parent Loop BB2_51 Depth=1
                                        ;     Parent Loop BB2_3804 Depth=2
                                        ;       Parent Loop BB2_3806 Depth=3
                                        ;         Parent Loop BB2_3919 Depth=4
                                        ; =>        This Inner Loop Header: Depth=5
	s_cmp_eq_u32 s16, 1
	s_cselect_b32 vcc_lo, -1, 0
	s_cmp_eq_u32 s16, 0
	v_dual_cndmask_b32 v68, v11, v14 :: v_dual_cndmask_b32 v67, v2, v13
	s_mov_b64 s[16:17], 1
	s_delay_alu instid0(VALU_DEP_1) | instskip(NEXT) | instid1(VALU_DEP_1)
	v_add_co_u32 v69, s13, v67, 32
	v_add_co_ci_u32_e64 v70, s13, 0, v68, s13
	s_cselect_b32 s13, -1, 0
	s_and_b32 s14, exec_lo, s38
	s_delay_alu instid0(VALU_DEP_1)
	v_dual_cndmask_b32 v13, v13, v69 :: v_dual_cndmask_b32 v14, v14, v70
	v_cndmask_b32_e64 v11, v11, v70, s13
	v_cndmask_b32_e64 v2, v2, v69, s13
	s_mov_b32 s38, 0
	s_mov_b32 vcc_lo, s14
	s_waitcnt vmcnt(0) lgkmcnt(0)
	flat_store_b8 v[67:68], v66 glc slc dlc
	s_cbranch_vccnz .LBB2_3920
; %bb.3921:                             ;   in Loop: Header=BB2_3919 Depth=4
	v_add_co_u32 v2, vcc_lo, v2, v102
	v_sub_nc_u32_e32 v10, v10, v99
	v_add_co_ci_u32_e32 v11, vcc_lo, v11, v113, vcc_lo
	v_add_co_u32 v13, vcc_lo, v13, v102
	v_add_co_ci_u32_e32 v14, vcc_lo, v14, v113, vcc_lo
	s_delay_alu instid0(VALU_DEP_4) | instskip(SKIP_1) | instid1(VALU_DEP_1)
	v_cmp_gt_i32_e32 vcc_lo, 1, v10
	v_add_co_u32 v8, s13, v114, v8
	v_add_co_ci_u32_e64 v9, s13, v115, v9, s13
	s_or_b32 s24, vcc_lo, s24
	s_delay_alu instid0(SALU_CYCLE_1)
	s_and_not1_b32 exec_lo, exec_lo, s24
	s_cbranch_execnz .LBB2_3919
.LBB2_3922:                             ;   in Loop: Header=BB2_3806 Depth=3
	s_set_inst_prefetch_distance 0x2
	s_or_b32 exec_lo, exec_lo, s15
.LBB2_3923:                             ;   in Loop: Header=BB2_3806 Depth=3
	s_delay_alu instid0(SALU_CYCLE_1)
	s_or_b32 exec_lo, exec_lo, s3
	s_mov_b32 s3, 0
.LBB2_3924:                             ;   in Loop: Header=BB2_3806 Depth=3
	s_delay_alu instid0(SALU_CYCLE_1)
	s_and_b32 vcc_lo, exec_lo, s3
	s_cbranch_vccz .LBB2_3958
; %bb.3925:                             ;   in Loop: Header=BB2_3806 Depth=3
	s_mov_b32 s3, -1
	s_and_saveexec_b32 s13, s6
	s_cbranch_execz .LBB2_3927
; %bb.3926:                             ;   in Loop: Header=BB2_3806 Depth=3
	ds_load_b32 v2, v0 offset:720
	s_waitcnt lgkmcnt(0)
	v_and_b32_e32 v2, 15, v2
	s_delay_alu instid0(VALU_DEP_1)
	v_cmp_eq_u32_e32 vcc_lo, 0, v2
	s_or_not1_b32 s3, vcc_lo, exec_lo
.LBB2_3927:                             ;   in Loop: Header=BB2_3806 Depth=3
	s_or_b32 exec_lo, exec_lo, s13
	s_and_saveexec_b32 s13, s5
	s_cbranch_execz .LBB2_3929
; %bb.3928:                             ;   in Loop: Header=BB2_3806 Depth=3
	ds_load_b32 v2, v0 offset:784
	s_waitcnt lgkmcnt(0)
	v_and_b32_e32 v2, 15, v2
	s_delay_alu instid0(VALU_DEP_1) | instskip(SKIP_3) | instid1(SALU_CYCLE_1)
	v_cmp_eq_u32_e32 vcc_lo, 0, v2
	s_and_b32 s14, s3, vcc_lo
	s_and_not1_b32 s3, s3, exec_lo
	s_and_b32 s14, s14, exec_lo
	s_or_b32 s3, s3, s14
.LBB2_3929:                             ;   in Loop: Header=BB2_3806 Depth=3
	s_or_b32 exec_lo, exec_lo, s13
	s_xor_b32 s3, s3, -1
	v_mov_b32_e32 v14, v0
	v_cndmask_b32_e64 v2, 0, 1, s3
	;;#ASMSTART
	;;#ASMEND
	s_delay_alu instid0(VALU_DEP_1)
	v_cmp_ne_u32_e32 vcc_lo, 0, v2
	v_dual_mov_b32 v2, 0 :: v_dual_mov_b32 v13, v65
	v_mov_b32_e32 v68, v84
	s_mov_b32 s13, -1
	s_cbranch_vccnz .LBB2_3945
; %bb.3930:                             ;   in Loop: Header=BB2_3806 Depth=3
	v_ashrrev_i32_e32 v2, 31, v65
	s_mov_b32 s3, exec_lo
	s_delay_alu instid0(VALU_DEP_1) | instskip(NEXT) | instid1(VALU_DEP_1)
	v_lshrrev_b32_e32 v2, 22, v2
	v_add_nc_u32_e32 v2, v65, v2
	s_delay_alu instid0(VALU_DEP_1) | instskip(NEXT) | instid1(VALU_DEP_1)
	v_ashrrev_i32_e32 v2, 10, v2
	v_sub_nc_u32_e32 v66, v2, v84
	s_delay_alu instid0(VALU_DEP_1)
	v_cmpx_lt_i32_e32 0, v66
	s_cbranch_execz .LBB2_3935
; %bb.3931:                             ;   in Loop: Header=BB2_3806 Depth=3
	s_cbranch_execnz .LBB2_4822
; %bb.3932:                             ;   in Loop: Header=BB2_3806 Depth=3
	ds_load_b64 v[8:9], v0
	v_dual_mov_b32 v10, v38 :: v_dual_mov_b32 v11, v39
	s_mov_b32 s14, 0
.LBB2_3933:                             ;   Parent Loop BB2_51 Depth=1
                                        ;     Parent Loop BB2_3804 Depth=2
                                        ;       Parent Loop BB2_3806 Depth=3
                                        ; =>      This Inner Loop Header: Depth=4
	s_waitcnt lgkmcnt(0)
	s_delay_alu instid0(VALU_DEP_1) | instskip(NEXT) | instid1(VALU_DEP_2)
	v_add_co_u32 v13, vcc_lo, v8, v10
	v_add_co_ci_u32_e32 v14, vcc_lo, v9, v11, vcc_lo
	v_sub_nc_u32_e32 v66, v66, v83
	v_add_co_u32 v10, s13, v10, v96
	s_clause 0x1
	global_load_b128 v[67:70], v[13:14], off slc dlc
	global_load_b128 v[130:133], v[13:14], off offset:512 slc dlc
	v_add_co_ci_u32_e64 v11, s13, v11, v97, s13
	v_cmp_gt_i32_e32 vcc_lo, 1, v66
	s_waitcnt vmcnt(1)
	global_store_b128 v[13:14], v[67:70], off glc slc dlc
	s_waitcnt vmcnt(0)
	global_store_b128 v[13:14], v[130:133], off offset:512 glc slc dlc
	s_or_b32 s14, vcc_lo, s14
	s_delay_alu instid0(SALU_CYCLE_1)
	s_and_not1_b32 exec_lo, exec_lo, s14
	s_cbranch_execnz .LBB2_3933
; %bb.3934:                             ;   in Loop: Header=BB2_3806 Depth=3
	s_or_b32 exec_lo, exec_lo, s14
.LBB2_3935:                             ;   in Loop: Header=BB2_3806 Depth=3
	s_delay_alu instid0(SALU_CYCLE_1) | instskip(SKIP_4) | instid1(VALU_DEP_2)
	s_or_b32 exec_lo, exec_lo, s3
	v_lshlrev_b32_e32 v10, 10, v2
	v_mov_b32_e32 v2, 0
	s_mov_b32 s13, 0
	s_mov_b32 s3, exec_lo
                                        ; implicit-def: $vgpr13
                                        ; implicit-def: $vgpr14
                                        ; implicit-def: $vgpr68
	v_cmpx_ne_u32_e64 v65, v10
	s_cbranch_execz .LBB2_3944
; %bb.3936:                             ;   in Loop: Header=BB2_3806 Depth=3
	v_lshlrev_b32_e32 v2, 5, v66
	v_sub_nc_u32_e32 v9, v65, v10
	s_mov_b32 s15, exec_lo
	s_delay_alu instid0(VALU_DEP_2) | instskip(NEXT) | instid1(VALU_DEP_2)
	v_sub_nc_u32_e32 v2, v85, v2
	v_ashrrev_i32_e32 v11, 31, v9
	s_delay_alu instid0(VALU_DEP_2) | instskip(NEXT) | instid1(VALU_DEP_2)
	v_ashrrev_i32_e32 v8, 31, v2
	v_lshrrev_b32_e32 v11, 23, v11
	s_delay_alu instid0(VALU_DEP_2) | instskip(NEXT) | instid1(VALU_DEP_2)
	v_lshrrev_b32_e32 v8, 27, v8
	v_add_nc_u32_e32 v14, v9, v11
	s_delay_alu instid0(VALU_DEP_2) | instskip(NEXT) | instid1(VALU_DEP_2)
	v_add_nc_u32_e32 v8, v2, v8
	v_and_b32_e32 v11, 0xfffffe00, v14
	v_ashrrev_i32_e32 v14, 9, v14
	s_delay_alu instid0(VALU_DEP_3) | instskip(NEXT) | instid1(VALU_DEP_3)
	v_and_b32_e32 v13, 0xffffffe0, v8
	v_sub_nc_u32_e32 v67, v9, v11
	v_ashrrev_i32_e32 v8, 5, v8
	s_delay_alu instid0(VALU_DEP_3) | instskip(NEXT) | instid1(VALU_DEP_3)
	v_sub_nc_u32_e32 v66, v2, v13
	v_cmp_lt_i32_e32 vcc_lo, 15, v67
	s_delay_alu instid0(VALU_DEP_2) | instskip(SKIP_1) | instid1(VALU_DEP_2)
	v_lshlrev_b32_e32 v2, 4, v66
	v_add_co_ci_u32_e64 v14, s13, 0, v14, vcc_lo
	v_lshl_add_u32 v13, v8, 9, v2
	s_delay_alu instid0(VALU_DEP_2) | instskip(NEXT) | instid1(VALU_DEP_2)
	v_sub_nc_u32_e32 v69, v14, v8
	v_sub_nc_u32_e32 v2, v9, v13
	s_delay_alu instid0(VALU_DEP_1)
	v_cmpx_lt_i32_e32 15, v2
	s_cbranch_execz .LBB2_3941
; %bb.3937:                             ;   in Loop: Header=BB2_3806 Depth=3
	s_cbranch_execnz .LBB2_4852
; %bb.3938:                             ;   in Loop: Header=BB2_3806 Depth=3
	ds_load_b64 v[8:9], v0
	v_add_nc_u32_e32 v13, v13, v10
	s_mov_b32 s16, 0
	s_delay_alu instid0(VALU_DEP_1)
	v_ashrrev_i32_e32 v14, 31, v13
.LBB2_3939:                             ;   Parent Loop BB2_51 Depth=1
                                        ;     Parent Loop BB2_3804 Depth=2
                                        ;       Parent Loop BB2_3806 Depth=3
                                        ; =>      This Inner Loop Header: Depth=4
	s_waitcnt lgkmcnt(0)
	v_add_co_u32 v70, s13, v8, v13
	s_delay_alu instid0(VALU_DEP_1)
	v_add_co_ci_u32_e64 v71, s13, v9, v14, s13
	v_sub_nc_u32_e32 v2, v2, v86
	v_add_co_u32 v13, s14, v13, v100
	global_load_b128 v[130:133], v[70:71], off slc dlc
	v_sub_nc_u32_e32 v69, v69, v83
	v_cmp_gt_i32_e64 s13, 16, v2
	v_add_co_ci_u32_e64 v14, s14, v14, v101, s14
	s_delay_alu instid0(VALU_DEP_2)
	s_or_b32 s16, s13, s16
	s_waitcnt vmcnt(0)
	global_store_b128 v[70:71], v[130:133], off glc slc dlc
	s_and_not1_b32 exec_lo, exec_lo, s16
	s_cbranch_execnz .LBB2_3939
; %bb.3940:                             ;   in Loop: Header=BB2_3806 Depth=3
	s_or_b32 exec_lo, exec_lo, s16
.LBB2_3941:                             ;   in Loop: Header=BB2_3806 Depth=3
	s_delay_alu instid0(SALU_CYCLE_1) | instskip(SKIP_3) | instid1(VALU_DEP_1)
	s_or_b32 exec_lo, exec_lo, s15
	v_and_b32_e32 v8, 15, v65
	s_mov_b32 s14, 0
	s_mov_b32 s15, exec_lo
                                        ; implicit-def: $vgpr14
                                        ; implicit-def: $vgpr68
	v_dual_mov_b32 v2, 0 :: v_dual_cndmask_b32 v13, v67, v8
	s_delay_alu instid0(VALU_DEP_1)
	v_cmpx_ne_u32_e32 0, v13
; %bb.3942:                             ;   in Loop: Header=BB2_3806 Depth=3
	v_cmp_lt_i32_e64 s13, 0, v69
	v_sub_nc_u32_e32 v8, v67, v8
	s_mov_b32 s14, exec_lo
	s_delay_alu instid0(VALU_DEP_2) | instskip(NEXT) | instid1(VALU_DEP_1)
	v_cndmask_b32_e64 v2, 0, v83, s13
	v_sub_nc_u32_e32 v2, v2, v69
	s_delay_alu instid0(VALU_DEP_1) | instskip(NEXT) | instid1(VALU_DEP_1)
	v_lshl_add_u32 v14, v2, 5, v66
	v_ashrrev_i32_e32 v2, 31, v14
	s_delay_alu instid0(VALU_DEP_1) | instskip(NEXT) | instid1(VALU_DEP_1)
	v_lshrrev_b32_e32 v2, 27, v2
	v_dual_cndmask_b32 v8, 0, v8 :: v_dual_add_nc_u32 v9, v14, v2
	s_delay_alu instid0(VALU_DEP_1) | instskip(NEXT) | instid1(VALU_DEP_2)
	v_add3_u32 v2, v11, v10, v8
	v_ashrrev_i32_e32 v68, 5, v9
; %bb.3943:                             ;   in Loop: Header=BB2_3806 Depth=3
	s_or_b32 exec_lo, exec_lo, s15
	s_delay_alu instid0(SALU_CYCLE_1)
	s_and_b32 s13, s14, exec_lo
.LBB2_3944:                             ;   in Loop: Header=BB2_3806 Depth=3
	s_or_b32 exec_lo, exec_lo, s3
.LBB2_3945:                             ;   in Loop: Header=BB2_3806 Depth=3
	s_and_saveexec_b32 s3, s13
	s_cbranch_execz .LBB2_3957
; %bb.3946:                             ;   in Loop: Header=BB2_3806 Depth=3
	v_ashrrev_i32_e32 v8, 31, v13
	s_mov_b32 s13, exec_lo
	s_delay_alu instid0(VALU_DEP_1) | instskip(NEXT) | instid1(VALU_DEP_1)
	v_lshrrev_b32_e32 v8, 24, v8
	v_add_nc_u32_e32 v8, v13, v8
	s_delay_alu instid0(VALU_DEP_1) | instskip(NEXT) | instid1(VALU_DEP_1)
	v_ashrrev_i32_e32 v67, 8, v8
	v_sub_nc_u32_e32 v66, v67, v68
	s_delay_alu instid0(VALU_DEP_1)
	v_cmpx_lt_i32_e32 0, v66
	s_cbranch_execz .LBB2_3951
; %bb.3947:                             ;   in Loop: Header=BB2_3806 Depth=3
	s_cbranch_execnz .LBB2_4812
; %bb.3948:                             ;   in Loop: Header=BB2_3806 Depth=3
	v_ashrrev_i32_e32 v8, 31, v14
	s_mov_b32 s14, 0
	s_delay_alu instid0(VALU_DEP_1) | instskip(NEXT) | instid1(VALU_DEP_1)
	v_lshrrev_b32_e32 v8, 27, v8
	v_add_nc_u32_e32 v10, v14, v8
	ds_load_b64 v[8:9], v0
	v_lshlrev_b32_e32 v11, 8, v68
	v_and_b32_e32 v10, 0xffffffe0, v10
	s_delay_alu instid0(VALU_DEP_1) | instskip(NEXT) | instid1(VALU_DEP_1)
	v_sub_nc_u32_e32 v10, v14, v10
	v_add3_u32 v68, v2, v10, v11
	s_delay_alu instid0(VALU_DEP_1)
	v_ashrrev_i32_e32 v69, 31, v68
	s_waitcnt lgkmcnt(0)
	v_dual_mov_b32 v11, v9 :: v_dual_mov_b32 v10, v8
.LBB2_3949:                             ;   Parent Loop BB2_51 Depth=1
                                        ;     Parent Loop BB2_3804 Depth=2
                                        ;       Parent Loop BB2_3806 Depth=3
                                        ; =>      This Inner Loop Header: Depth=4
	s_delay_alu instid0(VALU_DEP_1) | instskip(NEXT) | instid1(VALU_DEP_2)
	v_add_co_u32 v70, vcc_lo, v68, v10
	v_add_co_ci_u32_e32 v71, vcc_lo, v69, v11, vcc_lo
	v_sub_nc_u32_e32 v66, v66, v83
	s_clause 0x7
	flat_load_u8 v130, v[70:71] slc dlc
	flat_load_u8 v131, v[70:71] offset:32 slc dlc
	flat_load_u8 v132, v[70:71] offset:64 slc dlc
	;; [unrolled: 1-line block ×7, first 2 shown]
	v_add_co_u32 v70, vcc_lo, v68, v8
	v_add_co_ci_u32_e32 v71, vcc_lo, v69, v9, vcc_lo
	v_add_co_u32 v10, vcc_lo, v10, v103
	v_add_co_ci_u32_e32 v11, vcc_lo, v11, v112, vcc_lo
	;; [unrolled: 2-line block ×3, first 2 shown]
	v_cmp_gt_i32_e32 vcc_lo, 1, v66
	s_waitcnt vmcnt(7) lgkmcnt(7)
	flat_store_b8 v[70:71], v130 glc slc dlc
	s_waitcnt vmcnt(6) lgkmcnt(7)
	flat_store_b8 v[70:71], v131 offset:32 glc slc dlc
	s_waitcnt vmcnt(5) lgkmcnt(7)
	flat_store_b8 v[70:71], v132 offset:64 glc slc dlc
	;; [unrolled: 2-line block ×7, first 2 shown]
	s_or_b32 s14, vcc_lo, s14
	s_delay_alu instid0(SALU_CYCLE_1)
	s_and_not1_b32 exec_lo, exec_lo, s14
	s_cbranch_execnz .LBB2_3949
; %bb.3950:                             ;   in Loop: Header=BB2_3806 Depth=3
	s_or_b32 exec_lo, exec_lo, s14
.LBB2_3951:                             ;   in Loop: Header=BB2_3806 Depth=3
	s_delay_alu instid0(SALU_CYCLE_1) | instskip(SKIP_2) | instid1(VALU_DEP_1)
	s_or_b32 exec_lo, exec_lo, s13
	v_lshlrev_b32_e32 v8, 8, v67
	s_mov_b32 s14, exec_lo
	v_cmpx_ne_u32_e64 v13, v8
	s_cbranch_execz .LBB2_3956
; %bb.3952:                             ;   in Loop: Header=BB2_3806 Depth=3
	v_ashrrev_i32_e32 v9, 31, v14
	v_lshlrev_b32_e32 v10, 5, v66
	s_delay_alu instid0(VALU_DEP_2) | instskip(NEXT) | instid1(VALU_DEP_1)
	v_lshrrev_b32_e32 v9, 27, v9
	v_add_nc_u32_e32 v9, v14, v9
	s_delay_alu instid0(VALU_DEP_1) | instskip(NEXT) | instid1(VALU_DEP_1)
	v_and_b32_e32 v9, 0xffffffe0, v9
	v_sub_nc_u32_e32 v9, v14, v9
	s_delay_alu instid0(VALU_DEP_1) | instskip(NEXT) | instid1(VALU_DEP_1)
	v_sub_nc_u32_e32 v9, v9, v10
	v_add_nc_u32_e32 v11, v8, v9
	s_delay_alu instid0(VALU_DEP_1) | instskip(NEXT) | instid1(VALU_DEP_1)
	v_sub_nc_u32_e32 v10, v13, v11
	v_cmp_lt_i32_e32 vcc_lo, 0, v10
	s_and_b32 exec_lo, exec_lo, vcc_lo
	s_cbranch_execz .LBB2_3956
; %bb.3953:                             ;   in Loop: Header=BB2_3806 Depth=3
	s_cbranch_execnz .LBB2_4848
; %bb.3954:                             ;   in Loop: Header=BB2_3806 Depth=3
	ds_load_b64 v[8:9], v0
	v_add_nc_u32_e32 v2, v11, v2
	s_mov_b32 s15, 0
	s_delay_alu instid0(VALU_DEP_1)
	v_ashrrev_i32_e32 v11, 31, v2
.LBB2_3955:                             ;   Parent Loop BB2_51 Depth=1
                                        ;     Parent Loop BB2_3804 Depth=2
                                        ;       Parent Loop BB2_3806 Depth=3
                                        ; =>      This Inner Loop Header: Depth=4
	s_waitcnt lgkmcnt(0)
	v_add_co_u32 v13, vcc_lo, v8, v2
	s_delay_alu instid0(VALU_DEP_2)
	v_add_co_ci_u32_e32 v14, vcc_lo, v9, v11, vcc_lo
	v_sub_nc_u32_e32 v10, v10, v99
	v_add_co_u32 v2, s13, v2, v114
	flat_load_u8 v66, v[13:14] slc dlc
	v_add_co_ci_u32_e64 v11, s13, v11, v115, s13
	v_cmp_gt_i32_e32 vcc_lo, 1, v10
	s_or_b32 s15, vcc_lo, s15
	s_waitcnt vmcnt(0) lgkmcnt(0)
	flat_store_b8 v[13:14], v66 glc slc dlc
	s_and_not1_b32 exec_lo, exec_lo, s15
	s_cbranch_execnz .LBB2_3955
.LBB2_3956:                             ;   in Loop: Header=BB2_3806 Depth=3
	s_or_b32 exec_lo, exec_lo, s14
.LBB2_3957:                             ;   in Loop: Header=BB2_3806 Depth=3
	s_delay_alu instid0(SALU_CYCLE_1)
	s_or_b32 exec_lo, exec_lo, s3
.LBB2_3958:                             ;   in Loop: Header=BB2_3806 Depth=3
	s_and_saveexec_b32 s3, s37
	s_cbranch_execz .LBB2_3980
; %bb.3959:                             ;   in Loop: Header=BB2_3806 Depth=3
	s_and_saveexec_b32 s13, s4
	s_delay_alu instid0(SALU_CYCLE_1)
	s_xor_b32 s13, exec_lo, s13
	s_cbranch_execz .LBB2_3977
; %bb.3960:                             ;   in Loop: Header=BB2_3806 Depth=3
	s_and_saveexec_b32 s14, s1
	s_cbranch_execz .LBB2_3976
; %bb.3961:                             ;   in Loop: Header=BB2_3806 Depth=3
	s_mov_b32 s16, exec_lo
	s_mov_b32 s15, exec_lo
	v_mbcnt_lo_u32_b32 v2, s16, 0
	s_waitcnt lgkmcnt(0)
	s_waitcnt_vscnt null, 0x0
	buffer_gl1_inv
	buffer_gl0_inv
	v_cmpx_eq_u32_e32 0, v2
	s_cbranch_execz .LBB2_3963
; %bb.3962:                             ;   in Loop: Header=BB2_3806 Depth=3
	s_bcnt1_i32_b32 s16, s16
	s_delay_alu instid0(SALU_CYCLE_1)
	v_mov_b32_e32 v2, s16
	ds_add_u64 v0, v[2:3]
	s_cbranch_execnz .LBB2_4796
.LBB2_3963:                             ;   in Loop: Header=BB2_3806 Depth=3
	s_or_b32 exec_lo, exec_lo, s15
	s_cbranch_execnz .LBB2_4774
; %bb.3964:                             ;   in Loop: Header=BB2_3806 Depth=3
	ds_load_b64 v[8:9], v0
	v_add_co_u32 v32, vcc_lo, v32, v83
	v_add_co_ci_u32_e32 v33, vcc_lo, 0, v33, vcc_lo
	s_mov_b32 s15, exec_lo
	s_waitcnt lgkmcnt(0)
	s_delay_alu instid0(VALU_DEP_1)
	v_cmpx_lt_u64_e64 v[8:9], v[32:33]
	s_cbranch_execz .LBB2_3975
; %bb.3965:                             ;   in Loop: Header=BB2_3806 Depth=3
	s_mov_b32 s16, 0
	s_mov_b32 s38, 0
                                        ; implicit-def: $sgpr17
                                        ; implicit-def: $sgpr24
	s_branch .LBB2_3967
.LBB2_3966:                             ;   in Loop: Header=BB2_3967 Depth=4
	s_or_b32 exec_lo, exec_lo, s40
	s_delay_alu instid0(SALU_CYCLE_1) | instskip(NEXT) | instid1(SALU_CYCLE_1)
	s_and_b32 vcc_lo, exec_lo, vcc_lo
	s_or_b32 s16, vcc_lo, s16
	s_and_not1_b32 s17, s17, exec_lo
	s_and_b32 vcc_lo, s24, exec_lo
	s_delay_alu instid0(SALU_CYCLE_1)
	s_or_b32 s17, s17, vcc_lo
	s_and_not1_b32 exec_lo, exec_lo, s16
	s_cbranch_execz .LBB2_3973
.LBB2_3967:                             ;   Parent Loop BB2_51 Depth=1
                                        ;     Parent Loop BB2_3804 Depth=2
                                        ;       Parent Loop BB2_3806 Depth=3
                                        ; =>      This Inner Loop Header: Depth=4
	s_add_i32 s38, s38, 1
                                        ; implicit-def: $sgpr40
	s_delay_alu instid0(SALU_CYCLE_1) | instskip(SKIP_1) | instid1(SALU_CYCLE_1)
	s_cmpk_lg_i32 s38, 0x2710
	s_cselect_b32 s39, -1, 0
	s_and_b32 vcc_lo, exec_lo, s39
	s_cbranch_vccnz .LBB2_3970
; %bb.3968:                             ;   in Loop: Header=BB2_3967 Depth=4
	s_cbranch_execnz .LBB2_4836
; %bb.3969:                             ;   in Loop: Header=BB2_3967 Depth=4
	ds_load_b64 v[8:9], v0
	s_and_not1_b32 s39, s39, exec_lo
	s_mov_b32 s38, 0
	s_mov_b32 s40, -1
	s_waitcnt lgkmcnt(0)
	flat_load_b32 v2, v[8:9] glc
	s_waitcnt vmcnt(0) lgkmcnt(0)
	buffer_gl1_inv
	buffer_gl0_inv
	v_cmp_eq_u32_e32 vcc_lo, 0, v2
	s_and_b32 vcc_lo, vcc_lo, exec_lo
	s_delay_alu instid0(SALU_CYCLE_1)
	s_or_b32 s39, s39, vcc_lo
.LBB2_3970:                             ;   in Loop: Header=BB2_3967 Depth=4
	s_and_not1_b32 s24, s24, exec_lo
	s_and_b32 s40, s40, exec_lo
	s_mov_b32 vcc_lo, -1
	s_or_b32 s24, s24, s40
	s_and_saveexec_b32 s40, s39
	s_cbranch_execz .LBB2_3966
; %bb.3971:                             ;   in Loop: Header=BB2_3967 Depth=4
	s_sleep 1
	s_cbranch_execnz .LBB2_4828
; %bb.3972:                             ;   in Loop: Header=BB2_3967 Depth=4
	ds_load_b64 v[8:9], v0
	s_and_not1_b32 s24, s24, exec_lo
	s_waitcnt lgkmcnt(0)
	v_cmp_ge_u64_e32 vcc_lo, v[8:9], v[32:33]
	s_or_not1_b32 vcc_lo, vcc_lo, exec_lo
	s_branch .LBB2_3966
.LBB2_3973:                             ;   in Loop: Header=BB2_3806 Depth=3
	s_or_b32 exec_lo, exec_lo, s16
	s_and_saveexec_b32 s16, s17
	s_delay_alu instid0(SALU_CYCLE_1)
	s_xor_b32 s16, exec_lo, s16
	s_cbranch_execz .LBB2_3975
; %bb.3974:                             ;   in Loop: Header=BB2_3806 Depth=3
	ds_store_b32 v0, v119
	s_cbranch_execnz .LBB2_4882
.LBB2_3975:                             ;   in Loop: Header=BB2_3806 Depth=3
	s_or_b32 exec_lo, exec_lo, s15
	;;#ASMSTART
	s_wakeup
	;;#ASMEND
.LBB2_3976:                             ;   in Loop: Header=BB2_3806 Depth=3
	s_or_b32 exec_lo, exec_lo, s14
.LBB2_3977:                             ;   in Loop: Header=BB2_3806 Depth=3
	s_and_not1_saveexec_b32 s13, s13
	s_cbranch_execz .LBB2_3979
; %bb.3978:                             ;   in Loop: Header=BB2_3806 Depth=3
	s_waitcnt lgkmcnt(0)
	s_waitcnt_vscnt null, 0x0
	buffer_gl1_inv
	buffer_gl0_inv
	s_barrier
.LBB2_3979:                             ;   in Loop: Header=BB2_3806 Depth=3
	s_or_b32 exec_lo, exec_lo, s13
.LBB2_3980:                             ;   in Loop: Header=BB2_3806 Depth=3
	s_delay_alu instid0(SALU_CYCLE_1) | instskip(SKIP_1) | instid1(SALU_CYCLE_1)
	s_or_b32 exec_lo, exec_lo, s3
                                        ; implicit-def: $vgpr2
	s_and_saveexec_b32 s3, s7
	s_xor_b32 s3, exec_lo, s3
	s_cbranch_execz .LBB2_3984
; %bb.3981:                             ;   in Loop: Header=BB2_3806 Depth=3
	v_and_b32_e32 v2, 16, v30
	v_cmp_lt_i32_e32 vcc_lo, 0, v65
	s_delay_alu instid0(VALU_DEP_2) | instskip(SKIP_1) | instid1(VALU_DEP_2)
	v_cmp_ne_u32_e64 s13, 0, v2
	v_and_b32_e32 v2, 16, v30
	s_and_b32 s14, s13, vcc_lo
	s_delay_alu instid0(SALU_CYCLE_1)
	s_and_saveexec_b32 s13, s14
	s_cbranch_execz .LBB2_3983
; %bb.3982:                             ;   in Loop: Header=BB2_3806 Depth=3
	v_mov_b32_e32 v2, 1
	s_waitcnt lgkmcnt(0)
	s_waitcnt_vscnt null, 0x0
	buffer_gl1_inv
	buffer_gl0_inv
.LBB2_3983:                             ;   in Loop: Header=BB2_3806 Depth=3
	s_or_b32 exec_lo, exec_lo, s13
.LBB2_3984:                             ;   in Loop: Header=BB2_3806 Depth=3
	s_and_not1_saveexec_b32 s3, s3
	s_cbranch_execz .LBB2_4006
; %bb.3985:                             ;   in Loop: Header=BB2_3806 Depth=3
	s_and_saveexec_b32 s13, s4
	s_delay_alu instid0(SALU_CYCLE_1)
	s_xor_b32 s13, exec_lo, s13
	s_cbranch_execz .LBB2_4003
; %bb.3986:                             ;   in Loop: Header=BB2_3806 Depth=3
	s_and_saveexec_b32 s14, s1
	s_cbranch_execz .LBB2_4002
; %bb.3987:                             ;   in Loop: Header=BB2_3806 Depth=3
	s_mov_b32 s16, exec_lo
	s_mov_b32 s15, exec_lo
	v_mbcnt_lo_u32_b32 v2, s16, 0
	;;#ASMSTART
	s_waitcnt lgkmcnt(0) vmcnt(0)
	;;#ASMEND
	s_delay_alu instid0(VALU_DEP_1)
	v_cmpx_eq_u32_e32 0, v2
	s_cbranch_execz .LBB2_3989
; %bb.3988:                             ;   in Loop: Header=BB2_3806 Depth=3
	s_bcnt1_i32_b32 s16, s16
	s_delay_alu instid0(SALU_CYCLE_1)
	v_mov_b32_e32 v2, s16
	ds_add_u64 v0, v[2:3]
	s_cbranch_execnz .LBB2_4798
.LBB2_3989:                             ;   in Loop: Header=BB2_3806 Depth=3
	s_or_b32 exec_lo, exec_lo, s15
	s_cbranch_execnz .LBB2_4778
; %bb.3990:                             ;   in Loop: Header=BB2_3806 Depth=3
	ds_load_b64 v[8:9], v0
	v_add_co_u32 v32, vcc_lo, v32, v83
	v_add_co_ci_u32_e32 v33, vcc_lo, 0, v33, vcc_lo
	s_mov_b32 s15, exec_lo
	s_waitcnt lgkmcnt(0)
	s_delay_alu instid0(VALU_DEP_1)
	v_cmpx_lt_u64_e64 v[8:9], v[32:33]
	s_cbranch_execz .LBB2_4001
; %bb.3991:                             ;   in Loop: Header=BB2_3806 Depth=3
	s_mov_b32 s16, 0
	s_mov_b32 s38, 0
                                        ; implicit-def: $sgpr17
                                        ; implicit-def: $sgpr24
	s_branch .LBB2_3993
.LBB2_3992:                             ;   in Loop: Header=BB2_3993 Depth=4
	s_or_b32 exec_lo, exec_lo, s40
	s_delay_alu instid0(SALU_CYCLE_1) | instskip(NEXT) | instid1(SALU_CYCLE_1)
	s_and_b32 vcc_lo, exec_lo, vcc_lo
	s_or_b32 s16, vcc_lo, s16
	s_and_not1_b32 s17, s17, exec_lo
	s_and_b32 vcc_lo, s24, exec_lo
	s_delay_alu instid0(SALU_CYCLE_1)
	s_or_b32 s17, s17, vcc_lo
	s_and_not1_b32 exec_lo, exec_lo, s16
	s_cbranch_execz .LBB2_3999
.LBB2_3993:                             ;   Parent Loop BB2_51 Depth=1
                                        ;     Parent Loop BB2_3804 Depth=2
                                        ;       Parent Loop BB2_3806 Depth=3
                                        ; =>      This Inner Loop Header: Depth=4
	s_add_i32 s38, s38, 1
                                        ; implicit-def: $sgpr40
	s_delay_alu instid0(SALU_CYCLE_1) | instskip(SKIP_1) | instid1(SALU_CYCLE_1)
	s_cmpk_lg_i32 s38, 0x2710
	s_cselect_b32 s39, -1, 0
	s_and_b32 vcc_lo, exec_lo, s39
	s_cbranch_vccz .LBB2_3997
.LBB2_3994:                             ;   in Loop: Header=BB2_3993 Depth=4
	s_and_not1_b32 s24, s24, exec_lo
	s_and_b32 s40, s40, exec_lo
	s_mov_b32 vcc_lo, -1
	s_or_b32 s24, s24, s40
	s_and_saveexec_b32 s40, s39
	s_cbranch_execz .LBB2_3992
; %bb.3995:                             ;   in Loop: Header=BB2_3993 Depth=4
	s_sleep 1
	s_cbranch_execnz .LBB2_4834
; %bb.3996:                             ;   in Loop: Header=BB2_3993 Depth=4
	ds_load_b64 v[8:9], v0
	s_and_not1_b32 s24, s24, exec_lo
	s_waitcnt lgkmcnt(0)
	v_cmp_ge_u64_e32 vcc_lo, v[8:9], v[32:33]
	s_or_not1_b32 vcc_lo, vcc_lo, exec_lo
	s_branch .LBB2_3992
.LBB2_3997:                             ;   in Loop: Header=BB2_3993 Depth=4
	s_cbranch_execnz .LBB2_4840
; %bb.3998:                             ;   in Loop: Header=BB2_3993 Depth=4
	ds_load_b64 v[8:9], v0
	s_and_not1_b32 s39, s39, exec_lo
	s_mov_b32 s38, 0
	s_mov_b32 s40, -1
	s_waitcnt lgkmcnt(0)
	s_waitcnt_vscnt null, 0x0
	flat_load_b32 v2, v[8:9] glc
	s_waitcnt vmcnt(0) lgkmcnt(0)
	buffer_gl1_inv
	buffer_gl0_inv
	v_cmp_eq_u32_e32 vcc_lo, 0, v2
	s_and_b32 vcc_lo, vcc_lo, exec_lo
	s_delay_alu instid0(SALU_CYCLE_1)
	s_or_b32 s39, s39, vcc_lo
	s_branch .LBB2_3994
.LBB2_3999:                             ;   in Loop: Header=BB2_3806 Depth=3
	s_or_b32 exec_lo, exec_lo, s16
	s_and_saveexec_b32 s16, s17
	s_delay_alu instid0(SALU_CYCLE_1)
	s_xor_b32 s16, exec_lo, s16
	s_cbranch_execz .LBB2_4001
; %bb.4000:                             ;   in Loop: Header=BB2_3806 Depth=3
	ds_store_b32 v0, v119
	s_cbranch_execnz .LBB2_4884
.LBB2_4001:                             ;   in Loop: Header=BB2_3806 Depth=3
	s_or_b32 exec_lo, exec_lo, s15
	;;#ASMSTART
	s_wakeup
	;;#ASMEND
.LBB2_4002:                             ;   in Loop: Header=BB2_3806 Depth=3
	s_or_b32 exec_lo, exec_lo, s14
.LBB2_4003:                             ;   in Loop: Header=BB2_3806 Depth=3
	s_and_not1_saveexec_b32 s13, s13
	s_cbranch_execz .LBB2_4005
; %bb.4004:                             ;   in Loop: Header=BB2_3806 Depth=3
	;;#ASMSTART
	s_waitcnt lgkmcnt(0) vmcnt(0)
	;;#ASMEND
	s_waitcnt lgkmcnt(0)
	s_waitcnt_vscnt null, 0x0
	s_barrier
.LBB2_4005:                             ;   in Loop: Header=BB2_3806 Depth=3
	s_or_b32 exec_lo, exec_lo, s13
	v_and_b32_e32 v2, 16, v30
.LBB2_4006:                             ;   in Loop: Header=BB2_3806 Depth=3
	s_or_b32 exec_lo, exec_lo, s3
	s_delay_alu instid0(VALU_DEP_1) | instskip(SKIP_1) | instid1(SALU_CYCLE_1)
	v_cmp_ne_u32_e32 vcc_lo, 0, v2
	s_xor_b32 s3, s10, -1
	s_and_b32 s13, vcc_lo, s3
	s_delay_alu instid0(SALU_CYCLE_1)
	s_and_saveexec_b32 s3, s13
	s_cbranch_execz .LBB2_4008
; %bb.4007:                             ;   in Loop: Header=BB2_3806 Depth=3
	s_waitcnt lgkmcnt(0)
	s_waitcnt_vscnt null, 0x0
	flat_store_b32 v[28:29], v119
.LBB2_4008:                             ;   in Loop: Header=BB2_3806 Depth=3
	s_or_b32 exec_lo, exec_lo, s3
	v_and_b32_e32 v2, 48, v30
	s_mov_b32 s3, exec_lo
	s_delay_alu instid0(VALU_DEP_1)
	v_cmpx_ne_u32_e32 0, v2
	s_cbranch_execz .LBB2_4010
; %bb.4009:                             ;   in Loop: Header=BB2_3806 Depth=3
	v_add_co_u32 v24, vcc_lo, v24, 2
	v_add_co_ci_u32_e32 v25, vcc_lo, 0, v25, vcc_lo
	s_waitcnt lgkmcnt(0)
	s_waitcnt_vscnt null, 0x0
	flat_store_b64 v[22:23], v[24:25]
.LBB2_4010:                             ;   in Loop: Header=BB2_3806 Depth=3
	s_or_b32 exec_lo, exec_lo, s3
	v_add_nc_u32_e32 v54, v12, v54
	s_xor_b32 s3, s35, -1
	v_mov_b32_e32 v2, s36
	s_mov_b32 s35, 0
	s_mov_b32 s36, 2
	v_cmp_ge_i32_e32 vcc_lo, v54, v15
	s_or_b32 s3, s3, vcc_lo
	s_delay_alu instid0(SALU_CYCLE_1) | instskip(NEXT) | instid1(SALU_CYCLE_1)
	s_and_b32 s3, exec_lo, s3
	s_or_b32 s34, s3, s34
	s_delay_alu instid0(SALU_CYCLE_1)
	s_and_not1_b32 exec_lo, exec_lo, s34
	s_cbranch_execnz .LBB2_3806
; %bb.4011:                             ;   in Loop: Header=BB2_3804 Depth=2
	s_or_b32 exec_lo, exec_lo, s34
.LBB2_4012:                             ;   in Loop: Header=BB2_3804 Depth=2
	s_delay_alu instid0(SALU_CYCLE_1) | instskip(NEXT) | instid1(SALU_CYCLE_1)
	s_or_b32 exec_lo, exec_lo, s31
	s_mov_b32 s14, exec_lo
	v_cmpx_gt_i32_e32 2, v2
	s_cbranch_execz .LBB2_4098
; %bb.4013:                             ;   in Loop: Header=BB2_3804 Depth=2
	v_cmp_eq_u32_e64 s3, 0, v2
	s_mov_b32 s15, 0
.LBB2_4014:                             ;   Parent Loop BB2_51 Depth=1
                                        ;     Parent Loop BB2_3804 Depth=2
                                        ; =>    This Loop Header: Depth=3
                                        ;         Child Loop BB2_4020 Depth 4
                                        ;         Child Loop BB2_4052 Depth 4
                                        ;         Child Loop BB2_4079 Depth 4
	v_and_b32_e32 v2, 12, v30
	s_mov_b32 s16, -1
	s_mov_b32 s13, exec_lo
	s_delay_alu instid0(VALU_DEP_1)
	v_cmpx_ne_u32_e32 0, v2
	s_cbranch_execz .LBB2_4028
; %bb.4015:                             ;   in Loop: Header=BB2_4014 Depth=3
	v_and_b32_e32 v2, 8, v30
	s_delay_alu instid0(VALU_DEP_1) | instskip(SKIP_3) | instid1(VALU_DEP_1)
	v_add_co_u32 v10, vcc_lo, v34, v2
	v_add_co_ci_u32_e32 v11, vcc_lo, 0, v35, vcc_lo
	v_add_co_u32 v8, vcc_lo, v24, 2
	v_add_co_ci_u32_e32 v9, vcc_lo, 0, v25, vcc_lo
	v_cmp_lt_u64_e32 vcc_lo, v[10:11], v[8:9]
	v_mov_b32_e32 v10, 1
	s_and_saveexec_b32 s16, vcc_lo
	s_cbranch_execz .LBB2_4027
; %bb.4016:                             ;   in Loop: Header=BB2_4014 Depth=3
	v_mov_b32_e32 v10, 0
	s_mov_b32 s17, 0
                                        ; implicit-def: $sgpr24
	s_branch .LBB2_4020
.LBB2_4017:                             ;   in Loop: Header=BB2_4020 Depth=4
	s_or_b32 exec_lo, exec_lo, s36
	v_mov_b32_e32 v11, 0
	s_or_not1_b32 s35, s35, exec_lo
.LBB2_4018:                             ;   in Loop: Header=BB2_4020 Depth=4
	s_or_b32 exec_lo, exec_lo, s34
	s_delay_alu instid0(VALU_DEP_1) | instskip(SKIP_2) | instid1(SALU_CYCLE_1)
	v_mov_b32_e32 v10, v11
	s_and_not1_b32 s24, s24, exec_lo
	s_and_b32 vcc_lo, s35, exec_lo
	s_or_b32 s24, s24, vcc_lo
.LBB2_4019:                             ;   in Loop: Header=BB2_4020 Depth=4
	s_or_b32 exec_lo, exec_lo, s31
	s_waitcnt vmcnt(0) lgkmcnt(0)
	v_add_co_u32 v13, vcc_lo, v34, v2
	v_add_co_ci_u32_e32 v14, vcc_lo, 0, v35, vcc_lo
	s_xor_b32 s31, s24, -1
	s_delay_alu instid0(VALU_DEP_1) | instskip(SKIP_1) | instid1(SALU_CYCLE_1)
	v_cmp_ge_u64_e32 vcc_lo, v[13:14], v[8:9]
	s_or_b32 vcc_lo, s31, vcc_lo
	s_and_b32 vcc_lo, exec_lo, vcc_lo
	s_delay_alu instid0(SALU_CYCLE_1) | instskip(NEXT) | instid1(SALU_CYCLE_1)
	s_or_b32 s17, vcc_lo, s17
	s_and_not1_b32 exec_lo, exec_lo, s17
	s_cbranch_execz .LBB2_4026
.LBB2_4020:                             ;   Parent Loop BB2_51 Depth=1
                                        ;     Parent Loop BB2_3804 Depth=2
                                        ;       Parent Loop BB2_4014 Depth=3
                                        ; =>      This Inner Loop Header: Depth=4
	s_sleep 1
	flat_load_b64 v[34:35], v[22:23] glc
	v_and_b32_e32 v11, 64, v30
	s_and_not1_b32 s24, s24, exec_lo
	s_mov_b32 s31, exec_lo
	s_delay_alu instid0(VALU_DEP_1)
	v_cmpx_eq_u32_e32 0, v11
	s_cbranch_execz .LBB2_4019
; %bb.4021:                             ;   in Loop: Header=BB2_4020 Depth=4
	v_add_nc_u32_e32 v11, 1, v10
	s_mov_b32 s35, -1
	s_mov_b32 s34, exec_lo
	v_cmpx_lt_i32_e32 0x270e, v10
	s_cbranch_execz .LBB2_4018
; %bb.4022:                             ;   in Loop: Header=BB2_4020 Depth=4
	s_cbranch_execnz .LBB2_4542
; %bb.4023:                             ;   in Loop: Header=BB2_4020 Depth=4
	ds_load_b64 v[10:11], v0
	s_mov_b32 s36, exec_lo
	s_waitcnt vmcnt(0) lgkmcnt(0)
	s_waitcnt_vscnt null, 0x0
	flat_load_b32 v10, v[10:11] glc
	s_waitcnt vmcnt(0) lgkmcnt(0)
	buffer_gl1_inv
	buffer_gl0_inv
	v_cmpx_ne_u32_e32 0, v10
	s_cbranch_execz .LBB2_4017
; %bb.4024:                             ;   in Loop: Header=BB2_4020 Depth=4
	ds_store_b32 v0, v10
	s_cbranch_execnz .LBB2_4626
; %bb.4025:                             ;   in Loop: Header=BB2_4020 Depth=4
	v_or_b32_e32 v30, 64, v30
	s_xor_b32 s35, exec_lo, -1
	s_branch .LBB2_4017
.LBB2_4026:                             ;   in Loop: Header=BB2_4014 Depth=3
	s_or_b32 exec_lo, exec_lo, s17
	v_and_b32_e32 v10, 12, v30
.LBB2_4027:                             ;   in Loop: Header=BB2_4014 Depth=3
	s_or_b32 exec_lo, exec_lo, s16
	s_delay_alu instid0(VALU_DEP_1)
	v_cmp_eq_u32_e32 vcc_lo, 0, v10
	;;#ASMSTART
	s_wakeup
	;;#ASMEND
	s_or_not1_b32 s16, vcc_lo, exec_lo
.LBB2_4028:                             ;   in Loop: Header=BB2_4014 Depth=3
	s_or_b32 exec_lo, exec_lo, s13
	v_sub_nc_u32_e32 v2, v15, v54
	s_xor_b32 s3, s3, -1
	s_delay_alu instid0(SALU_CYCLE_1) | instskip(NEXT) | instid1(SALU_CYCLE_1)
	s_and_b32 s3, exec_lo, s3
	s_or_b32 s15, s3, s15
	s_delay_alu instid0(VALU_DEP_1) | instskip(SKIP_1) | instid1(SALU_CYCLE_1)
	v_min_i32_e32 v12, v12, v2
	s_xor_b32 s13, s16, -1
	s_and_saveexec_b32 s3, s13
	s_cbranch_execz .LBB2_4043
; %bb.4029:                             ;   in Loop: Header=BB2_4014 Depth=3
	v_and_b32_e32 v2, 0x108, v30
	s_mov_b32 s13, exec_lo
	s_delay_alu instid0(VALU_DEP_1)
	v_cmpx_ne_u32_e32 0x108, v2
	s_xor_b32 s13, exec_lo, s13
                                        ; implicit-def: $vgpr8_vgpr9
; %bb.4030:                             ;   in Loop: Header=BB2_4014 Depth=3
	v_and_b32_e32 v8, 7, v24
; %bb.4031:                             ;   in Loop: Header=BB2_4014 Depth=3
	s_and_not1_saveexec_b32 s13, s13
	s_cbranch_execz .LBB2_4033
; %bb.4032:                             ;   in Loop: Header=BB2_4014 Depth=3
	v_and_b32_e32 v8, 7, v24
	v_ashrrev_i32_e32 v13, 31, v12
	s_delay_alu instid0(VALU_DEP_2)
	v_mad_u64_u32 v[9:10], null, v8, 24, v[6:7]
	flat_store_b64 v[9:10], v[12:13] offset:8
.LBB2_4033:                             ;   in Loop: Header=BB2_4014 Depth=3
	s_or_b32 exec_lo, exec_lo, s13
	v_and_b32_e32 v2, 0x100, v30
	s_mov_b32 s13, -1
	s_mov_b32 s16, exec_lo
                                        ; implicit-def: $vgpr9_vgpr10
	s_delay_alu instid0(VALU_DEP_1)
	v_cmpx_ne_u32_e32 0, v2
	s_cbranch_execnz .LBB2_4036
; %bb.4034:                             ;   in Loop: Header=BB2_4014 Depth=3
	s_or_b32 exec_lo, exec_lo, s16
	s_and_saveexec_b32 s16, s13
	s_cbranch_execnz .LBB2_4039
.LBB2_4035:                             ;   in Loop: Header=BB2_4014 Depth=3
	s_or_b32 exec_lo, exec_lo, s16
	s_cbranch_execnz .LBB2_4532
	s_branch .LBB2_4040
.LBB2_4036:                             ;   in Loop: Header=BB2_4014 Depth=3
	v_mad_u64_u32 v[13:14], null, v8, 24, v[6:7]
	s_mov_b32 s17, exec_lo
	s_delay_alu instid0(VALU_DEP_1) | instskip(NEXT) | instid1(VALU_DEP_1)
	v_mov_b32_e32 v2, v14
	v_mad_u64_u32 v[9:10], null, v3, 24, v[2:3]
	s_delay_alu instid0(VALU_DEP_1)
	v_mov_b32_e32 v14, v9
                                        ; implicit-def: $vgpr9_vgpr10
	flat_load_b32 v2, v[13:14]
	s_waitcnt vmcnt(0) lgkmcnt(0)
	v_cmp_ne_u32_e32 vcc_lo, 1, v2
	v_cmpx_eq_u32_e32 1, v2
	s_cbranch_execz .LBB2_4038
; %bb.4037:                             ;   in Loop: Header=BB2_4014 Depth=3
	flat_load_b32 v9, v[13:14] offset:4 glc
	s_waitcnt vmcnt(0) lgkmcnt(0)
	v_ashrrev_i32_e32 v10, 31, v9
.LBB2_4038:                             ;   in Loop: Header=BB2_4014 Depth=3
	s_or_b32 exec_lo, exec_lo, s17
	s_delay_alu instid0(SALU_CYCLE_1)
	s_or_not1_b32 s13, vcc_lo, exec_lo
	s_or_b32 exec_lo, exec_lo, s16
	s_and_saveexec_b32 s16, s13
	s_cbranch_execz .LBB2_4035
.LBB2_4039:                             ;   in Loop: Header=BB2_4014 Depth=3
	v_mul_lo_u32 v2, v3, v80
	v_mul_lo_u32 v11, v8, v82
	v_mad_u64_u32 v[9:10], null, v8, v80, 0
	s_delay_alu instid0(VALU_DEP_1)
	v_add3_u32 v10, v10, v11, v2
	s_or_b32 exec_lo, exec_lo, s16
	s_cbranch_execnz .LBB2_4532
.LBB2_4040:                             ;   in Loop: Header=BB2_4014 Depth=3
	s_delay_alu instid0(VALU_DEP_2)
	v_add_co_u32 v8, vcc_lo, v26, v9
	v_and_b32_e32 v2, 0x2000, v30
	v_add_co_ci_u32_e32 v9, vcc_lo, v27, v10, vcc_lo
	s_mov_b32 s13, exec_lo
	ds_store_b64 v0, v[8:9]
	v_cmpx_ne_u32_e32 0, v2
	s_cbranch_execz .LBB2_4042
; %bb.4041:                             ;   in Loop: Header=BB2_4014 Depth=3
	ds_load_b64 v[8:9], v0 offset:584
	s_waitcnt lgkmcnt(0)
	v_add_co_u32 v8, vcc_lo, v8, 1
	v_add_co_ci_u32_e32 v9, vcc_lo, 0, v9, vcc_lo
	ds_store_b64 v0, v[8:9] offset:584
.LBB2_4042:                             ;   in Loop: Header=BB2_4014 Depth=3
	s_or_b32 exec_lo, exec_lo, s13
	v_add_co_u32 v24, vcc_lo, v24, 2
	v_add_co_ci_u32_e32 v25, vcc_lo, 0, v25, vcc_lo
.LBB2_4043:                             ;   in Loop: Header=BB2_4014 Depth=3
	s_or_b32 exec_lo, exec_lo, s3
	s_and_saveexec_b32 s3, s37
	s_cbranch_execz .LBB2_4065
; %bb.4044:                             ;   in Loop: Header=BB2_4014 Depth=3
	s_and_saveexec_b32 s13, s4
	s_delay_alu instid0(SALU_CYCLE_1)
	s_xor_b32 s13, exec_lo, s13
	s_cbranch_execz .LBB2_4062
; %bb.4045:                             ;   in Loop: Header=BB2_4014 Depth=3
	s_and_saveexec_b32 s16, s1
	s_cbranch_execz .LBB2_4061
; %bb.4046:                             ;   in Loop: Header=BB2_4014 Depth=3
	s_mov_b32 s24, exec_lo
	s_mov_b32 s17, exec_lo
	v_mbcnt_lo_u32_b32 v2, s24, 0
	s_waitcnt lgkmcnt(0)
	s_waitcnt_vscnt null, 0x0
	buffer_gl1_inv
	buffer_gl0_inv
	v_cmpx_eq_u32_e32 0, v2
	s_cbranch_execz .LBB2_4048
; %bb.4047:                             ;   in Loop: Header=BB2_4014 Depth=3
	s_bcnt1_i32_b32 s24, s24
	s_delay_alu instid0(SALU_CYCLE_1)
	v_mov_b32_e32 v2, s24
	ds_add_u64 v0, v[2:3]
	s_cbranch_execnz .LBB2_4682
.LBB2_4048:                             ;   in Loop: Header=BB2_4014 Depth=3
	s_or_b32 exec_lo, exec_lo, s17
	s_cbranch_execnz .LBB2_4652
; %bb.4049:                             ;   in Loop: Header=BB2_4014 Depth=3
	ds_load_b64 v[8:9], v0
	v_add_co_u32 v32, vcc_lo, v32, v83
	v_add_co_ci_u32_e32 v33, vcc_lo, 0, v33, vcc_lo
	s_mov_b32 s17, exec_lo
	s_waitcnt lgkmcnt(0)
	s_delay_alu instid0(VALU_DEP_1)
	v_cmpx_lt_u64_e64 v[8:9], v[32:33]
	s_cbranch_execz .LBB2_4060
; %bb.4050:                             ;   in Loop: Header=BB2_4014 Depth=3
	s_mov_b32 s24, 0
	s_mov_b32 s35, 0
                                        ; implicit-def: $sgpr31
                                        ; implicit-def: $sgpr34
	s_branch .LBB2_4052
.LBB2_4051:                             ;   in Loop: Header=BB2_4052 Depth=4
	s_or_b32 exec_lo, exec_lo, s38
	s_delay_alu instid0(SALU_CYCLE_1) | instskip(NEXT) | instid1(SALU_CYCLE_1)
	s_and_b32 vcc_lo, exec_lo, vcc_lo
	s_or_b32 s24, vcc_lo, s24
	s_and_not1_b32 vcc_lo, s31, exec_lo
	s_and_b32 s31, s34, exec_lo
	s_delay_alu instid0(SALU_CYCLE_1)
	s_or_b32 s31, vcc_lo, s31
	s_and_not1_b32 exec_lo, exec_lo, s24
	s_cbranch_execz .LBB2_4058
.LBB2_4052:                             ;   Parent Loop BB2_51 Depth=1
                                        ;     Parent Loop BB2_3804 Depth=2
                                        ;       Parent Loop BB2_4014 Depth=3
                                        ; =>      This Inner Loop Header: Depth=4
	s_add_i32 s35, s35, 1
                                        ; implicit-def: $sgpr38
	s_delay_alu instid0(SALU_CYCLE_1) | instskip(SKIP_1) | instid1(SALU_CYCLE_1)
	s_cmpk_lg_i32 s35, 0x2710
	s_cselect_b32 s36, -1, 0
	s_and_b32 vcc_lo, exec_lo, s36
	s_cbranch_vccz .LBB2_4056
.LBB2_4053:                             ;   in Loop: Header=BB2_4052 Depth=4
	s_and_not1_b32 s34, s34, exec_lo
	s_and_b32 s38, s38, exec_lo
	s_mov_b32 vcc_lo, -1
	s_or_b32 s34, s34, s38
	s_and_saveexec_b32 s38, s36
	s_cbranch_execz .LBB2_4051
; %bb.4054:                             ;   in Loop: Header=BB2_4052 Depth=4
	s_sleep 1
	s_cbranch_execnz .LBB2_4732
; %bb.4055:                             ;   in Loop: Header=BB2_4052 Depth=4
	ds_load_b64 v[8:9], v0
	s_and_not1_b32 s34, s34, exec_lo
	s_waitcnt lgkmcnt(0)
	v_cmp_ge_u64_e32 vcc_lo, v[8:9], v[32:33]
	s_or_not1_b32 vcc_lo, vcc_lo, exec_lo
	s_branch .LBB2_4051
.LBB2_4056:                             ;   in Loop: Header=BB2_4052 Depth=4
	s_cbranch_execnz .LBB2_4750
; %bb.4057:                             ;   in Loop: Header=BB2_4052 Depth=4
	ds_load_b64 v[8:9], v0
	s_and_not1_b32 s36, s36, exec_lo
	s_mov_b32 s35, 0
	s_mov_b32 s38, -1
	s_waitcnt lgkmcnt(0)
	flat_load_b32 v2, v[8:9] glc
	s_waitcnt vmcnt(0) lgkmcnt(0)
	buffer_gl1_inv
	buffer_gl0_inv
	v_cmp_eq_u32_e32 vcc_lo, 0, v2
	s_and_b32 vcc_lo, vcc_lo, exec_lo
	s_delay_alu instid0(SALU_CYCLE_1)
	s_or_b32 s36, s36, vcc_lo
	s_branch .LBB2_4053
.LBB2_4058:                             ;   in Loop: Header=BB2_4014 Depth=3
	s_or_b32 exec_lo, exec_lo, s24
	s_and_saveexec_b32 s24, s31
	s_delay_alu instid0(SALU_CYCLE_1)
	s_xor_b32 s24, exec_lo, s24
	s_cbranch_execz .LBB2_4060
; %bb.4059:                             ;   in Loop: Header=BB2_4014 Depth=3
	ds_store_b32 v0, v119
	s_cbranch_execnz .LBB2_4864
.LBB2_4060:                             ;   in Loop: Header=BB2_4014 Depth=3
	s_or_b32 exec_lo, exec_lo, s17
	;;#ASMSTART
	s_wakeup
	;;#ASMEND
.LBB2_4061:                             ;   in Loop: Header=BB2_4014 Depth=3
	s_or_b32 exec_lo, exec_lo, s16
.LBB2_4062:                             ;   in Loop: Header=BB2_4014 Depth=3
	s_and_not1_saveexec_b32 s13, s13
	s_cbranch_execz .LBB2_4064
; %bb.4063:                             ;   in Loop: Header=BB2_4014 Depth=3
	s_waitcnt lgkmcnt(0)
	s_waitcnt_vscnt null, 0x0
	buffer_gl1_inv
	buffer_gl0_inv
	s_barrier
.LBB2_4064:                             ;   in Loop: Header=BB2_4014 Depth=3
	s_or_b32 exec_lo, exec_lo, s13
.LBB2_4065:                             ;   in Loop: Header=BB2_4014 Depth=3
	s_delay_alu instid0(SALU_CYCLE_1) | instskip(SKIP_1) | instid1(SALU_CYCLE_1)
	s_or_b32 exec_lo, exec_lo, s3
                                        ; implicit-def: $vgpr2
	s_and_saveexec_b32 s3, s7
	s_xor_b32 s3, exec_lo, s3
	s_cbranch_execz .LBB2_4070
; %bb.4066:                             ;   in Loop: Header=BB2_4014 Depth=3
	s_cbranch_execnz .LBB2_4564
; %bb.4067:                             ;   in Loop: Header=BB2_4014 Depth=3
	ds_load_b32 v2, v0
	v_cmp_lt_i32_e32 vcc_lo, 0, v12
	s_waitcnt lgkmcnt(0)
	v_readfirstlane_b32 s13, v2
	v_and_b32_e32 v2, 16, v30
	s_delay_alu instid0(VALU_DEP_2) | instskip(NEXT) | instid1(VALU_DEP_1)
	s_cmp_eq_u32 s13, 0
	v_cmp_ne_u32_e64 s13, 0, v2
	s_cselect_b32 s16, -1, 0
	v_and_b32_e32 v2, 16, v30
	s_and_b32 s16, vcc_lo, s16
	s_delay_alu instid0(VALU_DEP_2) | instid1(SALU_CYCLE_1)
	s_and_b32 s16, s13, s16
	s_delay_alu instid0(SALU_CYCLE_1)
	s_and_saveexec_b32 s13, s16
	s_cbranch_execz .LBB2_4069
; %bb.4068:                             ;   in Loop: Header=BB2_4014 Depth=3
	v_mov_b32_e32 v2, 1
	s_waitcnt_vscnt null, 0x0
	buffer_gl1_inv
	buffer_gl0_inv
.LBB2_4069:                             ;   in Loop: Header=BB2_4014 Depth=3
	s_or_b32 exec_lo, exec_lo, s13
.LBB2_4070:                             ;   in Loop: Header=BB2_4014 Depth=3
	s_and_not1_saveexec_b32 s3, s3
	s_cbranch_execz .LBB2_4092
; %bb.4071:                             ;   in Loop: Header=BB2_4014 Depth=3
	s_and_saveexec_b32 s13, s4
	s_delay_alu instid0(SALU_CYCLE_1)
	s_xor_b32 s13, exec_lo, s13
	s_cbranch_execz .LBB2_4089
; %bb.4072:                             ;   in Loop: Header=BB2_4014 Depth=3
	s_and_saveexec_b32 s16, s1
	s_cbranch_execz .LBB2_4088
; %bb.4073:                             ;   in Loop: Header=BB2_4014 Depth=3
	s_mov_b32 s24, exec_lo
	s_mov_b32 s17, exec_lo
	v_mbcnt_lo_u32_b32 v2, s24, 0
	;;#ASMSTART
	s_waitcnt lgkmcnt(0) vmcnt(0)
	;;#ASMEND
	s_delay_alu instid0(VALU_DEP_1)
	v_cmpx_eq_u32_e32 0, v2
	s_cbranch_execz .LBB2_4075
; %bb.4074:                             ;   in Loop: Header=BB2_4014 Depth=3
	s_bcnt1_i32_b32 s24, s24
	s_delay_alu instid0(SALU_CYCLE_1)
	v_mov_b32_e32 v2, s24
	ds_add_u64 v0, v[2:3]
	s_cbranch_execnz .LBB2_4702
.LBB2_4075:                             ;   in Loop: Header=BB2_4014 Depth=3
	s_or_b32 exec_lo, exec_lo, s17
	s_cbranch_execnz .LBB2_4680
; %bb.4076:                             ;   in Loop: Header=BB2_4014 Depth=3
	ds_load_b64 v[8:9], v0
	v_add_co_u32 v32, vcc_lo, v32, v83
	v_add_co_ci_u32_e32 v33, vcc_lo, 0, v33, vcc_lo
	s_mov_b32 s17, exec_lo
	s_waitcnt lgkmcnt(0)
	s_delay_alu instid0(VALU_DEP_1)
	v_cmpx_lt_u64_e64 v[8:9], v[32:33]
	s_cbranch_execz .LBB2_4087
; %bb.4077:                             ;   in Loop: Header=BB2_4014 Depth=3
	s_mov_b32 s24, 0
	s_mov_b32 s35, 0
                                        ; implicit-def: $sgpr31
                                        ; implicit-def: $sgpr34
	s_branch .LBB2_4079
.LBB2_4078:                             ;   in Loop: Header=BB2_4079 Depth=4
	s_or_b32 exec_lo, exec_lo, s38
	s_delay_alu instid0(SALU_CYCLE_1) | instskip(NEXT) | instid1(SALU_CYCLE_1)
	s_and_b32 vcc_lo, exec_lo, vcc_lo
	s_or_b32 s24, vcc_lo, s24
	s_and_not1_b32 vcc_lo, s31, exec_lo
	s_and_b32 s31, s34, exec_lo
	s_delay_alu instid0(SALU_CYCLE_1)
	s_or_b32 s31, vcc_lo, s31
	s_and_not1_b32 exec_lo, exec_lo, s24
	s_cbranch_execz .LBB2_4085
.LBB2_4079:                             ;   Parent Loop BB2_51 Depth=1
                                        ;     Parent Loop BB2_3804 Depth=2
                                        ;       Parent Loop BB2_4014 Depth=3
                                        ; =>      This Inner Loop Header: Depth=4
	s_add_i32 s35, s35, 1
                                        ; implicit-def: $sgpr38
	s_delay_alu instid0(SALU_CYCLE_1) | instskip(SKIP_1) | instid1(SALU_CYCLE_1)
	s_cmpk_lg_i32 s35, 0x2710
	s_cselect_b32 s36, -1, 0
	s_and_b32 vcc_lo, exec_lo, s36
	s_cbranch_vccz .LBB2_4083
.LBB2_4080:                             ;   in Loop: Header=BB2_4079 Depth=4
	s_and_not1_b32 s34, s34, exec_lo
	s_and_b32 s38, s38, exec_lo
	s_mov_b32 vcc_lo, -1
	s_or_b32 s34, s34, s38
	s_and_saveexec_b32 s38, s36
	s_cbranch_execz .LBB2_4078
; %bb.4081:                             ;   in Loop: Header=BB2_4079 Depth=4
	s_sleep 1
	s_cbranch_execnz .LBB2_4758
; %bb.4082:                             ;   in Loop: Header=BB2_4079 Depth=4
	ds_load_b64 v[8:9], v0
	s_and_not1_b32 s34, s34, exec_lo
	s_waitcnt lgkmcnt(0)
	v_cmp_ge_u64_e32 vcc_lo, v[8:9], v[32:33]
	s_or_not1_b32 vcc_lo, vcc_lo, exec_lo
	s_branch .LBB2_4078
.LBB2_4083:                             ;   in Loop: Header=BB2_4079 Depth=4
	s_cbranch_execnz .LBB2_4772
; %bb.4084:                             ;   in Loop: Header=BB2_4079 Depth=4
	ds_load_b64 v[8:9], v0
	s_and_not1_b32 s36, s36, exec_lo
	s_mov_b32 s35, 0
	s_mov_b32 s38, -1
	s_waitcnt lgkmcnt(0)
	s_waitcnt_vscnt null, 0x0
	flat_load_b32 v2, v[8:9] glc
	s_waitcnt vmcnt(0) lgkmcnt(0)
	buffer_gl1_inv
	buffer_gl0_inv
	v_cmp_eq_u32_e32 vcc_lo, 0, v2
	s_and_b32 vcc_lo, vcc_lo, exec_lo
	s_delay_alu instid0(SALU_CYCLE_1)
	s_or_b32 s36, s36, vcc_lo
	s_branch .LBB2_4080
.LBB2_4085:                             ;   in Loop: Header=BB2_4014 Depth=3
	s_or_b32 exec_lo, exec_lo, s24
	s_and_saveexec_b32 s24, s31
	s_delay_alu instid0(SALU_CYCLE_1)
	s_xor_b32 s24, exec_lo, s24
	s_cbranch_execz .LBB2_4087
; %bb.4086:                             ;   in Loop: Header=BB2_4014 Depth=3
	ds_store_b32 v0, v119
	s_cbranch_execnz .LBB2_4872
.LBB2_4087:                             ;   in Loop: Header=BB2_4014 Depth=3
	s_or_b32 exec_lo, exec_lo, s17
	;;#ASMSTART
	s_wakeup
	;;#ASMEND
.LBB2_4088:                             ;   in Loop: Header=BB2_4014 Depth=3
	s_or_b32 exec_lo, exec_lo, s16
.LBB2_4089:                             ;   in Loop: Header=BB2_4014 Depth=3
	s_and_not1_saveexec_b32 s13, s13
	s_cbranch_execz .LBB2_4091
; %bb.4090:                             ;   in Loop: Header=BB2_4014 Depth=3
	;;#ASMSTART
	s_waitcnt lgkmcnt(0) vmcnt(0)
	;;#ASMEND
	s_waitcnt lgkmcnt(0)
	s_waitcnt_vscnt null, 0x0
	s_barrier
.LBB2_4091:                             ;   in Loop: Header=BB2_4014 Depth=3
	s_or_b32 exec_lo, exec_lo, s13
	v_and_b32_e32 v2, 16, v30
.LBB2_4092:                             ;   in Loop: Header=BB2_4014 Depth=3
	s_or_b32 exec_lo, exec_lo, s3
	s_delay_alu instid0(VALU_DEP_1) | instskip(SKIP_1) | instid1(SALU_CYCLE_1)
	v_cmp_ne_u32_e32 vcc_lo, 0, v2
	s_xor_b32 s3, s10, -1
	s_and_b32 s13, vcc_lo, s3
	s_delay_alu instid0(SALU_CYCLE_1)
	s_and_saveexec_b32 s3, s13
	s_cbranch_execz .LBB2_4094
; %bb.4093:                             ;   in Loop: Header=BB2_4014 Depth=3
	s_waitcnt lgkmcnt(0)
	s_waitcnt_vscnt null, 0x0
	flat_store_b32 v[28:29], v119
.LBB2_4094:                             ;   in Loop: Header=BB2_4014 Depth=3
	s_or_b32 exec_lo, exec_lo, s3
	v_and_b32_e32 v2, 48, v30
	s_mov_b32 s3, exec_lo
	s_delay_alu instid0(VALU_DEP_1)
	v_cmpx_ne_u32_e32 0, v2
	s_cbranch_execz .LBB2_4096
; %bb.4095:                             ;   in Loop: Header=BB2_4014 Depth=3
	v_add_co_u32 v24, vcc_lo, v24, 2
	v_add_co_ci_u32_e32 v25, vcc_lo, 0, v25, vcc_lo
	s_waitcnt lgkmcnt(0)
	s_waitcnt_vscnt null, 0x0
	flat_store_b64 v[22:23], v[24:25]
.LBB2_4096:                             ;   in Loop: Header=BB2_4014 Depth=3
	s_or_b32 exec_lo, exec_lo, s3
	v_add_nc_u32_e32 v54, v12, v54
	s_mov_b32 s3, 0
	s_and_not1_b32 exec_lo, exec_lo, s15
	s_cbranch_execnz .LBB2_4014
; %bb.4097:                             ;   in Loop: Header=BB2_3804 Depth=2
	s_or_b32 exec_lo, exec_lo, s15
.LBB2_4098:                             ;   in Loop: Header=BB2_3804 Depth=2
	s_delay_alu instid0(SALU_CYCLE_1) | instskip(SKIP_2) | instid1(VALU_DEP_1)
	s_or_b32 exec_lo, exec_lo, s14
	v_readlane_b32 s13, v42, 7
	s_add_i32 s3, s30, 1
	s_cmp_eq_u32 s30, s13
	s_cbranch_scc1 .LBB2_4100
; %bb.4099:                             ;   in Loop: Header=BB2_3804 Depth=2
	s_mov_b32 s30, s3
	s_branch .LBB2_3804
.LBB2_4100:                             ;   in Loop: Header=BB2_51 Depth=1
	v_readlane_b32 s13, v42, 5
	v_readlane_b32 s3, v42, 6
	v_mov_b32_e32 v14, 0
	s_mov_b32 s16, 0
	s_delay_alu instid0(VALU_DEP_3) | instskip(NEXT) | instid1(VALU_DEP_3)
	v_mul_lo_u32 v2, v51, s13
	v_mul_lo_u32 v10, v50, s3
	v_mad_u64_u32 v[8:9], null, v50, s13, 0
	v_readlane_b32 s3, v42, 9
	s_delay_alu instid0(VALU_DEP_2) | instskip(NEXT) | instid1(VALU_DEP_3)
	v_add3_u32 v9, v9, v10, v2
	v_sub_co_u32 v10, vcc_lo, v52, v8
	s_delay_alu instid0(VALU_DEP_2) | instskip(NEXT) | instid1(VALU_DEP_1)
	v_sub_co_ci_u32_e32 v11, vcc_lo, v53, v9, vcc_lo
	v_cmp_lt_i64_e32 vcc_lo, v[50:51], v[10:11]
	v_cndmask_b32_e32 v10, v10, v50, vcc_lo
	s_delay_alu instid0(VALU_DEP_1) | instskip(SKIP_1) | instid1(VALU_DEP_2)
	v_max_i32_e32 v12, 0, v10
	v_cmp_lt_i32_e32 vcc_lo, 0, v10
	v_add_nc_u32_e32 v2, 31, v12
	s_and_b32 s3, s3, vcc_lo
	s_delay_alu instid0(VALU_DEP_1) | instskip(NEXT) | instid1(VALU_DEP_1)
	v_lshrrev_b32_e32 v2, 1, v2
	v_dual_mov_b32 v2, 0 :: v_dual_and_b32 v11, 0x3ffffff0, v2
	s_delay_alu instid0(VALU_DEP_1)
	v_max_i32_e32 v13, s28, v11
	s_and_saveexec_b32 s15, s3
	s_cbranch_execz .LBB2_4261
; %bb.4101:                             ;   in Loop: Header=BB2_51 Depth=1
	v_add_co_u32 v15, vcc_lo, v8, v128
	v_add_co_ci_u32_e32 v52, vcc_lo, v9, v129, vcc_lo
	v_mov_b32_e32 v14, 0
	s_mov_b32 s30, 1
	s_mov_b32 s17, -1
.LBB2_4102:                             ;   Parent Loop BB2_51 Depth=1
                                        ; =>  This Loop Header: Depth=2
                                        ;       Child Loop BB2_4111 Depth 3
                                        ;       Child Loop BB2_4138 Depth 3
	;; [unrolled: 1-line block ×9, first 2 shown]
	s_and_saveexec_b32 s3, s0
	s_cbranch_execz .LBB2_4105
; %bb.4103:                             ;   in Loop: Header=BB2_4102 Depth=2
	s_cbranch_execnz .LBB2_4516
; %bb.4104:                             ;   in Loop: Header=BB2_4102 Depth=2
	ds_load_b128 v[8:11], v0
	v_ashrrev_i32_e32 v2, 31, v14
	s_waitcnt lgkmcnt(0)
	v_add_co_u32 v53, vcc_lo, v10, v15
	v_add_co_ci_u32_e32 v54, vcc_lo, v11, v52, vcc_lo
	v_add_co_u32 v8, vcc_lo, v8, v15
	v_add_co_ci_u32_e32 v9, vcc_lo, v9, v52, vcc_lo
	s_delay_alu instid0(VALU_DEP_4) | instskip(NEXT) | instid1(VALU_DEP_4)
	v_add_co_u32 v53, vcc_lo, v53, v14
	v_add_co_ci_u32_e32 v54, vcc_lo, v54, v2, vcc_lo
	v_cmp_ne_u64_e32 vcc_lo, 0, v[10:11]
	v_add_co_u32 v8, s13, v8, v14
	s_delay_alu instid0(VALU_DEP_1) | instskip(NEXT) | instid1(VALU_DEP_4)
	v_add_co_ci_u32_e64 v9, s13, v9, v2, s13
	v_dual_cndmask_b32 v11, 0, v54 :: v_dual_cndmask_b32 v10, 0, v53
	ds_store_b64 v0, v[8:9]
	ds_store_b64 v0, v[10:11]
.LBB2_4105:                             ;   in Loop: Header=BB2_4102 Depth=2
	s_or_b32 exec_lo, exec_lo, s3
	v_and_b32_e32 v2, 4, v30
	s_mov_b32 s13, -1
	s_mov_b32 s3, exec_lo
	s_delay_alu instid0(VALU_DEP_1)
	v_cmpx_ne_u32_e32 0, v2
	s_cbranch_execz .LBB2_4119
; %bb.4106:                             ;   in Loop: Header=BB2_4102 Depth=2
	v_add_co_u32 v8, vcc_lo, v24, 2
	v_add_co_ci_u32_e32 v9, vcc_lo, 0, v25, vcc_lo
	v_mov_b32_e32 v2, 1
	s_mov_b32 s13, exec_lo
	s_delay_alu instid0(VALU_DEP_2)
	v_cmpx_lt_u64_e64 v[34:35], v[8:9]
	s_cbranch_execz .LBB2_4118
; %bb.4107:                             ;   in Loop: Header=BB2_4102 Depth=2
	v_mov_b32_e32 v2, 0
	s_mov_b32 s14, 0
                                        ; implicit-def: $sgpr24
	s_branch .LBB2_4111
.LBB2_4108:                             ;   in Loop: Header=BB2_4111 Depth=3
	s_or_b32 exec_lo, exec_lo, s36
	v_mov_b32_e32 v10, 0
	s_or_not1_b32 s35, s35, exec_lo
.LBB2_4109:                             ;   in Loop: Header=BB2_4111 Depth=3
	s_or_b32 exec_lo, exec_lo, s34
	s_delay_alu instid0(VALU_DEP_1) | instskip(SKIP_2) | instid1(SALU_CYCLE_1)
	v_mov_b32_e32 v2, v10
	s_and_not1_b32 s24, s24, exec_lo
	s_and_b32 vcc_lo, s35, exec_lo
	s_or_b32 s24, s24, vcc_lo
.LBB2_4110:                             ;   in Loop: Header=BB2_4111 Depth=3
	s_or_b32 exec_lo, exec_lo, s31
	s_waitcnt vmcnt(0) lgkmcnt(0)
	v_cmp_ge_u64_e32 vcc_lo, v[34:35], v[8:9]
	s_xor_b32 s31, s24, -1
	s_delay_alu instid0(SALU_CYCLE_1) | instskip(NEXT) | instid1(SALU_CYCLE_1)
	s_or_b32 vcc_lo, s31, vcc_lo
	s_and_b32 vcc_lo, exec_lo, vcc_lo
	s_delay_alu instid0(SALU_CYCLE_1) | instskip(NEXT) | instid1(SALU_CYCLE_1)
	s_or_b32 s14, vcc_lo, s14
	s_and_not1_b32 exec_lo, exec_lo, s14
	s_cbranch_execz .LBB2_4117
.LBB2_4111:                             ;   Parent Loop BB2_51 Depth=1
                                        ;     Parent Loop BB2_4102 Depth=2
                                        ; =>    This Inner Loop Header: Depth=3
	s_sleep 1
	flat_load_b64 v[34:35], v[22:23] glc
	v_and_b32_e32 v10, 64, v30
	s_and_not1_b32 s24, s24, exec_lo
	s_mov_b32 s31, exec_lo
	s_delay_alu instid0(VALU_DEP_1)
	v_cmpx_eq_u32_e32 0, v10
	s_cbranch_execz .LBB2_4110
; %bb.4112:                             ;   in Loop: Header=BB2_4111 Depth=3
	v_add_nc_u32_e32 v10, 1, v2
	s_mov_b32 s35, -1
	s_mov_b32 s34, exec_lo
	v_cmpx_lt_i32_e32 0x270e, v2
	s_cbranch_execz .LBB2_4109
; %bb.4113:                             ;   in Loop: Header=BB2_4111 Depth=3
	s_cbranch_execnz .LBB2_4560
; %bb.4114:                             ;   in Loop: Header=BB2_4111 Depth=3
	ds_load_b64 v[10:11], v0
	s_mov_b32 s36, exec_lo
	s_waitcnt vmcnt(0) lgkmcnt(0)
	s_waitcnt_vscnt null, 0x0
	flat_load_b32 v2, v[10:11] glc
	s_waitcnt vmcnt(0) lgkmcnt(0)
	buffer_gl1_inv
	buffer_gl0_inv
	v_cmpx_ne_u32_e32 0, v2
	s_cbranch_execz .LBB2_4108
; %bb.4115:                             ;   in Loop: Header=BB2_4111 Depth=3
	ds_store_b32 v0, v2
	s_cbranch_execnz .LBB2_4638
; %bb.4116:                             ;   in Loop: Header=BB2_4111 Depth=3
	v_or_b32_e32 v30, 64, v30
	s_xor_b32 s35, exec_lo, -1
	s_branch .LBB2_4108
.LBB2_4117:                             ;   in Loop: Header=BB2_4102 Depth=2
	s_or_b32 exec_lo, exec_lo, s14
	v_and_b32_e32 v2, 4, v30
.LBB2_4118:                             ;   in Loop: Header=BB2_4102 Depth=2
	s_or_b32 exec_lo, exec_lo, s13
	s_delay_alu instid0(VALU_DEP_1)
	v_cmp_eq_u32_e32 vcc_lo, 0, v2
	;;#ASMSTART
	s_wakeup
	;;#ASMEND
	s_or_not1_b32 s13, vcc_lo, exec_lo
.LBB2_4119:                             ;   in Loop: Header=BB2_4102 Depth=2
	s_or_b32 exec_lo, exec_lo, s3
	s_xor_b32 s13, s13, -1
	s_delay_alu instid0(SALU_CYCLE_1)
	s_and_saveexec_b32 s3, s13
	s_cbranch_execz .LBB2_4129
; %bb.4120:                             ;   in Loop: Header=BB2_4102 Depth=2
	v_and_b32_e32 v2, 0x100, v30
	s_mov_b32 s13, -1
                                        ; implicit-def: $vgpr8_vgpr9
	s_delay_alu instid0(VALU_DEP_1)
	v_cmp_ne_u32_e32 vcc_lo, 0, v2
	v_and_b32_e32 v2, 7, v24
	s_and_saveexec_b32 s14, vcc_lo
	s_cbranch_execz .LBB2_4124
; %bb.4121:                             ;   in Loop: Header=BB2_4102 Depth=2
	s_delay_alu instid0(VALU_DEP_1) | instskip(SKIP_4) | instid1(VALU_DEP_1)
	v_mad_u64_u32 v[10:11], null, v2, 24, v[6:7]
	flat_load_b32 v8, v[10:11]
	s_waitcnt vmcnt(0) lgkmcnt(0)
	v_cmp_ne_u32_e32 vcc_lo, 1, v8
	v_cmp_eq_u32_e64 s13, 1, v8
                                        ; implicit-def: $vgpr8_vgpr9
	s_and_saveexec_b32 s24, s13
	s_cbranch_execz .LBB2_4123
; %bb.4122:                             ;   in Loop: Header=BB2_4102 Depth=2
	flat_load_b32 v8, v[10:11] offset:4 glc
	s_waitcnt vmcnt(0) lgkmcnt(0)
	v_ashrrev_i32_e32 v9, 31, v8
.LBB2_4123:                             ;   in Loop: Header=BB2_4102 Depth=2
	s_or_b32 exec_lo, exec_lo, s24
	s_delay_alu instid0(SALU_CYCLE_1)
	s_or_not1_b32 s13, vcc_lo, exec_lo
.LBB2_4124:                             ;   in Loop: Header=BB2_4102 Depth=2
	s_or_b32 exec_lo, exec_lo, s14
	s_and_saveexec_b32 s14, s13
; %bb.4125:                             ;   in Loop: Header=BB2_4102 Depth=2
	v_mad_i64_i32 v[8:9], null, v2, v80, 0
; %bb.4126:                             ;   in Loop: Header=BB2_4102 Depth=2
	s_or_b32 exec_lo, exec_lo, s14
	s_delay_alu instid0(VALU_DEP_1) | instskip(SKIP_1) | instid1(VALU_DEP_3)
	v_add_co_u32 v8, vcc_lo, v26, v8
	v_and_b32_e32 v2, 0x2000, v30
	v_add_co_ci_u32_e32 v9, vcc_lo, v27, v9, vcc_lo
	s_mov_b32 s13, exec_lo
	ds_store_b64 v0, v[8:9] offset:720
	v_cmpx_ne_u32_e32 0, v2
	s_cbranch_execz .LBB2_4128
; %bb.4127:                             ;   in Loop: Header=BB2_4102 Depth=2
	ds_load_b64 v[8:9], v0 offset:584
	s_waitcnt lgkmcnt(0)
	v_add_co_u32 v8, vcc_lo, v8, 1
	v_add_co_ci_u32_e32 v9, vcc_lo, 0, v9, vcc_lo
	ds_store_b64 v0, v[8:9] offset:584
.LBB2_4128:                             ;   in Loop: Header=BB2_4102 Depth=2
	s_or_b32 exec_lo, exec_lo, s13
	v_add_co_u32 v24, vcc_lo, v24, 2
	v_add_co_ci_u32_e32 v25, vcc_lo, 0, v25, vcc_lo
.LBB2_4129:                             ;   in Loop: Header=BB2_4102 Depth=2
	s_or_b32 exec_lo, exec_lo, s3
	s_and_saveexec_b32 s3, s37
	s_cbranch_execz .LBB2_4151
; %bb.4130:                             ;   in Loop: Header=BB2_4102 Depth=2
	s_and_saveexec_b32 s13, s4
	s_delay_alu instid0(SALU_CYCLE_1)
	s_xor_b32 s13, exec_lo, s13
	s_cbranch_execz .LBB2_4148
; %bb.4131:                             ;   in Loop: Header=BB2_4102 Depth=2
	s_and_saveexec_b32 s14, s1
	s_cbranch_execz .LBB2_4147
; %bb.4132:                             ;   in Loop: Header=BB2_4102 Depth=2
	s_mov_b32 s31, exec_lo
	s_mov_b32 s24, exec_lo
	v_mbcnt_lo_u32_b32 v2, s31, 0
	s_waitcnt lgkmcnt(0)
	s_waitcnt_vscnt null, 0x0
	buffer_gl1_inv
	buffer_gl0_inv
	v_cmpx_eq_u32_e32 0, v2
	s_cbranch_execz .LBB2_4134
; %bb.4133:                             ;   in Loop: Header=BB2_4102 Depth=2
	s_bcnt1_i32_b32 vcc_lo, s31
	s_delay_alu instid0(SALU_CYCLE_1)
	v_mov_b32_e32 v2, vcc_lo
	ds_add_u64 v0, v[2:3]
	s_cbranch_execnz .LBB2_4674
.LBB2_4134:                             ;   in Loop: Header=BB2_4102 Depth=2
	s_or_b32 exec_lo, exec_lo, s24
	s_cbranch_execnz .LBB2_4646
; %bb.4135:                             ;   in Loop: Header=BB2_4102 Depth=2
	ds_load_b64 v[8:9], v0
	v_add_co_u32 v32, vcc_lo, v32, v83
	v_add_co_ci_u32_e32 v33, vcc_lo, 0, v33, vcc_lo
	s_mov_b32 s24, exec_lo
	s_waitcnt lgkmcnt(0)
	s_delay_alu instid0(VALU_DEP_1)
	v_cmpx_lt_u64_e64 v[8:9], v[32:33]
	s_cbranch_execz .LBB2_4146
; %bb.4136:                             ;   in Loop: Header=BB2_4102 Depth=2
	s_mov_b32 s31, 0
	s_mov_b32 s36, 0
                                        ; implicit-def: $sgpr34
                                        ; implicit-def: $sgpr35
	s_branch .LBB2_4138
.LBB2_4137:                             ;   in Loop: Header=BB2_4138 Depth=3
	s_or_b32 exec_lo, exec_lo, s39
	s_delay_alu instid0(SALU_CYCLE_1) | instskip(NEXT) | instid1(SALU_CYCLE_1)
	s_and_b32 vcc_lo, exec_lo, vcc_lo
	s_or_b32 s31, vcc_lo, s31
	s_and_not1_b32 vcc_lo, s34, exec_lo
	s_and_b32 s34, s35, exec_lo
	s_delay_alu instid0(SALU_CYCLE_1)
	s_or_b32 s34, vcc_lo, s34
	s_and_not1_b32 exec_lo, exec_lo, s31
	s_cbranch_execz .LBB2_4144
.LBB2_4138:                             ;   Parent Loop BB2_51 Depth=1
                                        ;     Parent Loop BB2_4102 Depth=2
                                        ; =>    This Inner Loop Header: Depth=3
	s_add_i32 s36, s36, 1
                                        ; implicit-def: $sgpr39
	s_delay_alu instid0(SALU_CYCLE_1) | instskip(SKIP_1) | instid1(SALU_CYCLE_1)
	s_cmpk_lg_i32 s36, 0x2710
	s_cselect_b32 s38, -1, 0
	s_and_b32 vcc_lo, exec_lo, s38
	s_cbranch_vccz .LBB2_4142
.LBB2_4139:                             ;   in Loop: Header=BB2_4138 Depth=3
	s_and_not1_b32 s35, s35, exec_lo
	s_and_b32 s39, s39, exec_lo
	s_mov_b32 vcc_lo, -1
	s_or_b32 s35, s35, s39
	s_and_saveexec_b32 s39, s38
	s_cbranch_execz .LBB2_4137
; %bb.4140:                             ;   in Loop: Header=BB2_4138 Depth=3
	s_sleep 1
	s_cbranch_execnz .LBB2_4726
; %bb.4141:                             ;   in Loop: Header=BB2_4138 Depth=3
	ds_load_b64 v[8:9], v0
	s_and_not1_b32 s35, s35, exec_lo
	s_waitcnt lgkmcnt(0)
	v_cmp_ge_u64_e32 vcc_lo, v[8:9], v[32:33]
	s_or_not1_b32 vcc_lo, vcc_lo, exec_lo
	s_branch .LBB2_4137
.LBB2_4142:                             ;   in Loop: Header=BB2_4138 Depth=3
	s_cbranch_execnz .LBB2_4740
; %bb.4143:                             ;   in Loop: Header=BB2_4138 Depth=3
	ds_load_b64 v[8:9], v0
	s_and_not1_b32 s38, s38, exec_lo
	s_mov_b32 s36, 0
	s_mov_b32 s39, -1
	s_waitcnt lgkmcnt(0)
	flat_load_b32 v2, v[8:9] glc
	s_waitcnt vmcnt(0) lgkmcnt(0)
	buffer_gl1_inv
	buffer_gl0_inv
	v_cmp_eq_u32_e32 vcc_lo, 0, v2
	s_and_b32 vcc_lo, vcc_lo, exec_lo
	s_delay_alu instid0(SALU_CYCLE_1)
	s_or_b32 s38, s38, vcc_lo
	s_branch .LBB2_4139
.LBB2_4144:                             ;   in Loop: Header=BB2_4102 Depth=2
	s_or_b32 exec_lo, exec_lo, s31
	s_and_saveexec_b32 vcc_lo, s34
	s_delay_alu instid0(SALU_CYCLE_1)
	s_xor_b32 vcc_lo, exec_lo, vcc_lo
	s_cbranch_execz .LBB2_4146
; %bb.4145:                             ;   in Loop: Header=BB2_4102 Depth=2
	ds_store_b32 v0, v119
	s_cbranch_execnz .LBB2_4860
.LBB2_4146:                             ;   in Loop: Header=BB2_4102 Depth=2
	s_or_b32 exec_lo, exec_lo, s24
	;;#ASMSTART
	s_wakeup
	;;#ASMEND
.LBB2_4147:                             ;   in Loop: Header=BB2_4102 Depth=2
	s_or_b32 exec_lo, exec_lo, s14
.LBB2_4148:                             ;   in Loop: Header=BB2_4102 Depth=2
	s_and_not1_saveexec_b32 s13, s13
	s_cbranch_execz .LBB2_4150
; %bb.4149:                             ;   in Loop: Header=BB2_4102 Depth=2
	s_waitcnt lgkmcnt(0)
	s_waitcnt_vscnt null, 0x0
	buffer_gl1_inv
	buffer_gl0_inv
	s_barrier
.LBB2_4150:                             ;   in Loop: Header=BB2_4102 Depth=2
	s_or_b32 exec_lo, exec_lo, s13
.LBB2_4151:                             ;   in Loop: Header=BB2_4102 Depth=2
	s_delay_alu instid0(SALU_CYCLE_1)
	s_or_b32 exec_lo, exec_lo, s3
	s_cbranch_execnz .LBB2_4510
; %bb.4152:                             ;   in Loop: Header=BB2_4102 Depth=2
	ds_load_b32 v8, v0
	v_and_b32_e32 v2, 0x4000, v30
	s_xor_b32 s3, s2, -1
	s_delay_alu instid0(VALU_DEP_1) | instskip(SKIP_1) | instid1(SALU_CYCLE_1)
	v_cmp_ne_u32_e32 vcc_lo, 0, v2
	s_and_b32 s13, s3, vcc_lo
	s_and_saveexec_b32 s3, s13
	s_cbranch_execz .LBB2_4174
; %bb.4153:                             ;   in Loop: Header=BB2_4102 Depth=2
	s_and_saveexec_b32 s13, s4
	s_delay_alu instid0(SALU_CYCLE_1)
	s_xor_b32 s13, exec_lo, s13
	s_cbranch_execz .LBB2_4171
; %bb.4154:                             ;   in Loop: Header=BB2_4102 Depth=2
	s_and_saveexec_b32 s14, s1
	s_cbranch_execz .LBB2_4170
; %bb.4155:                             ;   in Loop: Header=BB2_4102 Depth=2
	s_mov_b32 s31, exec_lo
	s_mov_b32 s24, exec_lo
	v_mbcnt_lo_u32_b32 v2, s31, 0
	s_waitcnt lgkmcnt(0)
	s_waitcnt_vscnt null, 0x0
	buffer_gl1_inv
	buffer_gl0_inv
	v_cmpx_eq_u32_e32 0, v2
	s_cbranch_execz .LBB2_4157
; %bb.4156:                             ;   in Loop: Header=BB2_4102 Depth=2
	s_bcnt1_i32_b32 vcc_lo, s31
	s_delay_alu instid0(SALU_CYCLE_1)
	v_mov_b32_e32 v2, vcc_lo
	ds_add_u64 v0, v[2:3]
	s_cbranch_execnz .LBB2_4716
.LBB2_4157:                             ;   in Loop: Header=BB2_4102 Depth=2
	s_or_b32 exec_lo, exec_lo, s24
	s_cbranch_execnz .LBB2_4696
; %bb.4158:                             ;   in Loop: Header=BB2_4102 Depth=2
	ds_load_b64 v[9:10], v0
	v_add_co_u32 v32, vcc_lo, v32, v83
	v_add_co_ci_u32_e32 v33, vcc_lo, 0, v33, vcc_lo
	s_mov_b32 s24, exec_lo
	s_waitcnt lgkmcnt(0)
	s_delay_alu instid0(VALU_DEP_1)
	v_cmpx_lt_u64_e64 v[9:10], v[32:33]
	s_cbranch_execz .LBB2_4169
; %bb.4159:                             ;   in Loop: Header=BB2_4102 Depth=2
	s_mov_b32 s31, 0
	s_mov_b32 s36, 0
                                        ; implicit-def: $sgpr34
                                        ; implicit-def: $sgpr35
	s_branch .LBB2_4161
.LBB2_4160:                             ;   in Loop: Header=BB2_4161 Depth=3
	s_or_b32 exec_lo, exec_lo, s39
	s_delay_alu instid0(SALU_CYCLE_1) | instskip(NEXT) | instid1(SALU_CYCLE_1)
	s_and_b32 vcc_lo, exec_lo, vcc_lo
	s_or_b32 s31, vcc_lo, s31
	s_and_not1_b32 vcc_lo, s34, exec_lo
	s_and_b32 s34, s35, exec_lo
	s_delay_alu instid0(SALU_CYCLE_1)
	s_or_b32 s34, vcc_lo, s34
	s_and_not1_b32 exec_lo, exec_lo, s31
	s_cbranch_execz .LBB2_4167
.LBB2_4161:                             ;   Parent Loop BB2_51 Depth=1
                                        ;     Parent Loop BB2_4102 Depth=2
                                        ; =>    This Inner Loop Header: Depth=3
	s_add_i32 s36, s36, 1
                                        ; implicit-def: $sgpr39
	s_delay_alu instid0(SALU_CYCLE_1) | instskip(SKIP_1) | instid1(SALU_CYCLE_1)
	s_cmpk_lg_i32 s36, 0x2710
	s_cselect_b32 s38, -1, 0
	s_and_b32 vcc_lo, exec_lo, s38
	s_cbranch_vccz .LBB2_4165
.LBB2_4162:                             ;   in Loop: Header=BB2_4161 Depth=3
	s_and_not1_b32 s35, s35, exec_lo
	s_and_b32 s39, s39, exec_lo
	s_mov_b32 vcc_lo, -1
	s_or_b32 s35, s35, s39
	s_and_saveexec_b32 s39, s38
	s_cbranch_execz .LBB2_4160
; %bb.4163:                             ;   in Loop: Header=BB2_4161 Depth=3
	s_sleep 1
	s_cbranch_execnz .LBB2_4776
; %bb.4164:                             ;   in Loop: Header=BB2_4161 Depth=3
	ds_load_b64 v[9:10], v0
	s_and_not1_b32 s35, s35, exec_lo
	s_waitcnt lgkmcnt(0)
	v_cmp_ge_u64_e32 vcc_lo, v[9:10], v[32:33]
	s_or_not1_b32 vcc_lo, vcc_lo, exec_lo
	s_branch .LBB2_4160
.LBB2_4165:                             ;   in Loop: Header=BB2_4161 Depth=3
	s_cbranch_execnz .LBB2_4788
; %bb.4166:                             ;   in Loop: Header=BB2_4161 Depth=3
	ds_load_b64 v[9:10], v0
	s_and_not1_b32 s38, s38, exec_lo
	s_mov_b32 s36, 0
	s_mov_b32 s39, -1
	s_waitcnt lgkmcnt(0)
	flat_load_b32 v2, v[9:10] glc
	s_waitcnt vmcnt(0) lgkmcnt(0)
	buffer_gl1_inv
	buffer_gl0_inv
	v_cmp_eq_u32_e32 vcc_lo, 0, v2
	s_and_b32 vcc_lo, vcc_lo, exec_lo
	s_delay_alu instid0(SALU_CYCLE_1)
	s_or_b32 s38, s38, vcc_lo
	s_branch .LBB2_4162
.LBB2_4167:                             ;   in Loop: Header=BB2_4102 Depth=2
	s_or_b32 exec_lo, exec_lo, s31
	s_and_saveexec_b32 vcc_lo, s34
	s_delay_alu instid0(SALU_CYCLE_1)
	s_xor_b32 vcc_lo, exec_lo, vcc_lo
	s_cbranch_execz .LBB2_4169
; %bb.4168:                             ;   in Loop: Header=BB2_4102 Depth=2
	ds_store_b32 v0, v119
	s_cbranch_execnz .LBB2_4874
.LBB2_4169:                             ;   in Loop: Header=BB2_4102 Depth=2
	s_or_b32 exec_lo, exec_lo, s24
	;;#ASMSTART
	s_wakeup
	;;#ASMEND
.LBB2_4170:                             ;   in Loop: Header=BB2_4102 Depth=2
	s_or_b32 exec_lo, exec_lo, s14
.LBB2_4171:                             ;   in Loop: Header=BB2_4102 Depth=2
	s_and_not1_saveexec_b32 s13, s13
	s_cbranch_execz .LBB2_4173
; %bb.4172:                             ;   in Loop: Header=BB2_4102 Depth=2
	s_waitcnt lgkmcnt(0)
	s_waitcnt_vscnt null, 0x0
	buffer_gl1_inv
	buffer_gl0_inv
	s_barrier
.LBB2_4173:                             ;   in Loop: Header=BB2_4102 Depth=2
	s_or_b32 exec_lo, exec_lo, s13
.LBB2_4174:                             ;   in Loop: Header=BB2_4102 Depth=2
	s_delay_alu instid0(SALU_CYCLE_1)
	s_or_b32 exec_lo, exec_lo, s3
	s_cbranch_execnz .LBB2_4568
; %bb.4175:                             ;   in Loop: Header=BB2_4102 Depth=2
	ds_load_b64 v[9:10], v0
	v_sub_nc_u32_e32 v2, v12, v14
	v_mov_b32_e32 v53, 0
	s_delay_alu instid0(VALU_DEP_2) | instskip(SKIP_3) | instid1(SALU_CYCLE_1)
	v_min_i32_e32 v13, v13, v2
	s_waitcnt lgkmcnt(0)
	v_cmp_eq_u64_e32 vcc_lo, 0, v[9:10]
	s_or_b32 s3, vcc_lo, vcc_lo
	s_and_b32 vcc_lo, exec_lo, s3
	s_cbranch_vccnz .LBB2_4209
; %bb.4176:                             ;   in Loop: Header=BB2_4102 Depth=2
	s_mov_b32 s3, -1
	s_and_saveexec_b32 s13, s6
	s_cbranch_execz .LBB2_4178
; %bb.4177:                             ;   in Loop: Header=BB2_4102 Depth=2
	ds_load_b32 v2, v0 offset:720
	s_waitcnt lgkmcnt(0)
	v_and_b32_e32 v2, 15, v2
	s_delay_alu instid0(VALU_DEP_1)
	v_cmp_eq_u32_e32 vcc_lo, 0, v2
	s_or_not1_b32 s3, vcc_lo, exec_lo
.LBB2_4178:                             ;   in Loop: Header=BB2_4102 Depth=2
	s_or_b32 exec_lo, exec_lo, s13
	s_and_saveexec_b32 s13, s5
	s_cbranch_execz .LBB2_4180
; %bb.4179:                             ;   in Loop: Header=BB2_4102 Depth=2
	ds_load_b32 v2, v0 offset:784
	s_waitcnt lgkmcnt(0)
	v_and_b32_e32 v2, 15, v2
	s_delay_alu instid0(VALU_DEP_1) | instskip(SKIP_3) | instid1(SALU_CYCLE_1)
	v_cmp_eq_u32_e32 vcc_lo, 0, v2
	s_and_b32 s14, s3, vcc_lo
	s_and_not1_b32 s3, s3, exec_lo
	s_and_b32 s14, s14, exec_lo
	s_or_b32 s3, s3, s14
.LBB2_4180:                             ;   in Loop: Header=BB2_4102 Depth=2
	s_or_b32 exec_lo, exec_lo, s13
	v_cmp_eq_u32_e32 vcc_lo, 0, v8
	s_xor_b32 s3, s3, -1
	v_mov_b32_e32 v66, v84
	v_cndmask_b32_e64 v2, 0, 1, s3
	;;#ASMSTART
	;;#ASMEND
	v_cndmask_b32_e32 v53, 0, v13, vcc_lo
	s_delay_alu instid0(VALU_DEP_2) | instskip(SKIP_2) | instid1(VALU_DEP_3)
	v_cmp_ne_u32_e32 vcc_lo, 0, v2
	v_mov_b32_e32 v2, 0
	s_mov_b32 s13, -1
	v_dual_mov_b32 v55, v0 :: v_dual_mov_b32 v54, v53
	s_cbranch_vccnz .LBB2_4196
; %bb.4181:                             ;   in Loop: Header=BB2_4102 Depth=2
	v_ashrrev_i32_e32 v2, 31, v53
	s_mov_b32 s3, exec_lo
	s_delay_alu instid0(VALU_DEP_1) | instskip(NEXT) | instid1(VALU_DEP_1)
	v_lshrrev_b32_e32 v2, 22, v2
	v_add_nc_u32_e32 v2, v53, v2
	s_delay_alu instid0(VALU_DEP_1) | instskip(NEXT) | instid1(VALU_DEP_1)
	v_ashrrev_i32_e32 v2, 10, v2
	v_sub_nc_u32_e32 v64, v2, v84
	s_delay_alu instid0(VALU_DEP_1)
	v_cmpx_lt_i32_e32 0, v64
	s_cbranch_execz .LBB2_4186
; %bb.4182:                             ;   in Loop: Header=BB2_4102 Depth=2
	s_cbranch_execnz .LBB2_4746
; %bb.4183:                             ;   in Loop: Header=BB2_4102 Depth=2
	ds_load_b64 v[8:9], v0
	v_dual_mov_b32 v10, v38 :: v_dual_mov_b32 v11, v39
	s_mov_b32 s14, 0
.LBB2_4184:                             ;   Parent Loop BB2_51 Depth=1
                                        ;     Parent Loop BB2_4102 Depth=2
                                        ; =>    This Inner Loop Header: Depth=3
	s_waitcnt lgkmcnt(0)
	s_delay_alu instid0(VALU_DEP_1) | instskip(NEXT) | instid1(VALU_DEP_2)
	v_add_co_u32 v54, vcc_lo, v8, v10
	v_add_co_ci_u32_e32 v55, vcc_lo, v9, v11, vcc_lo
	v_sub_nc_u32_e32 v64, v64, v83
	v_add_co_u32 v10, s13, v10, v96
	s_clause 0x1
	global_load_b128 v[65:68], v[54:55], off slc dlc
	global_load_b128 v[128:131], v[54:55], off offset:512 slc dlc
	v_add_co_ci_u32_e64 v11, s13, v11, v97, s13
	v_cmp_gt_i32_e32 vcc_lo, 1, v64
	s_waitcnt vmcnt(1)
	global_store_b128 v[54:55], v[65:68], off glc slc dlc
	s_waitcnt vmcnt(0)
	global_store_b128 v[54:55], v[128:131], off offset:512 glc slc dlc
	s_or_b32 s14, vcc_lo, s14
	s_delay_alu instid0(SALU_CYCLE_1)
	s_and_not1_b32 exec_lo, exec_lo, s14
	s_cbranch_execnz .LBB2_4184
; %bb.4185:                             ;   in Loop: Header=BB2_4102 Depth=2
	s_or_b32 exec_lo, exec_lo, s14
.LBB2_4186:                             ;   in Loop: Header=BB2_4102 Depth=2
	s_delay_alu instid0(SALU_CYCLE_1) | instskip(SKIP_4) | instid1(VALU_DEP_2)
	s_or_b32 exec_lo, exec_lo, s3
	v_lshlrev_b32_e32 v10, 10, v2
	v_mov_b32_e32 v2, 0
	s_mov_b32 s13, 0
	s_mov_b32 s3, exec_lo
                                        ; implicit-def: $vgpr54
                                        ; implicit-def: $vgpr55
                                        ; implicit-def: $vgpr66
	v_cmpx_ne_u32_e64 v53, v10
	s_cbranch_execz .LBB2_4195
; %bb.4187:                             ;   in Loop: Header=BB2_4102 Depth=2
	v_lshlrev_b32_e32 v2, 5, v64
	v_sub_nc_u32_e32 v9, v53, v10
	s_mov_b32 s24, exec_lo
	s_delay_alu instid0(VALU_DEP_2) | instskip(NEXT) | instid1(VALU_DEP_2)
	v_sub_nc_u32_e32 v2, v85, v2
	v_ashrrev_i32_e32 v11, 31, v9
	s_delay_alu instid0(VALU_DEP_2) | instskip(NEXT) | instid1(VALU_DEP_2)
	v_ashrrev_i32_e32 v8, 31, v2
	v_lshrrev_b32_e32 v11, 23, v11
	s_delay_alu instid0(VALU_DEP_2) | instskip(NEXT) | instid1(VALU_DEP_2)
	v_lshrrev_b32_e32 v8, 27, v8
	v_add_nc_u32_e32 v55, v9, v11
	s_delay_alu instid0(VALU_DEP_2) | instskip(NEXT) | instid1(VALU_DEP_2)
	v_add_nc_u32_e32 v8, v2, v8
	v_and_b32_e32 v11, 0xfffffe00, v55
	v_ashrrev_i32_e32 v55, 9, v55
	s_delay_alu instid0(VALU_DEP_3) | instskip(NEXT) | instid1(VALU_DEP_3)
	v_and_b32_e32 v54, 0xffffffe0, v8
	v_sub_nc_u32_e32 v65, v9, v11
	v_ashrrev_i32_e32 v8, 5, v8
	s_delay_alu instid0(VALU_DEP_3) | instskip(NEXT) | instid1(VALU_DEP_3)
	v_sub_nc_u32_e32 v64, v2, v54
	v_cmp_lt_i32_e32 vcc_lo, 15, v65
	s_delay_alu instid0(VALU_DEP_2) | instskip(SKIP_1) | instid1(VALU_DEP_2)
	v_lshlrev_b32_e32 v2, 4, v64
	v_add_co_ci_u32_e64 v55, s13, 0, v55, vcc_lo
	v_lshl_add_u32 v54, v8, 9, v2
	s_delay_alu instid0(VALU_DEP_2) | instskip(NEXT) | instid1(VALU_DEP_2)
	v_sub_nc_u32_e32 v67, v55, v8
	v_sub_nc_u32_e32 v2, v9, v54
	s_delay_alu instid0(VALU_DEP_1)
	v_cmpx_lt_i32_e32 15, v2
	s_cbranch_execz .LBB2_4192
; %bb.4188:                             ;   in Loop: Header=BB2_4102 Depth=2
	s_cbranch_execnz .LBB2_4800
; %bb.4189:                             ;   in Loop: Header=BB2_4102 Depth=2
	ds_load_b64 v[8:9], v0
	v_add_nc_u32_e32 v54, v54, v10
	s_mov_b32 s31, 0
	s_delay_alu instid0(VALU_DEP_1)
	v_ashrrev_i32_e32 v55, 31, v54
.LBB2_4190:                             ;   Parent Loop BB2_51 Depth=1
                                        ;     Parent Loop BB2_4102 Depth=2
                                        ; =>    This Inner Loop Header: Depth=3
	s_waitcnt lgkmcnt(0)
	v_add_co_u32 v128, s13, v8, v54
	s_delay_alu instid0(VALU_DEP_1)
	v_add_co_ci_u32_e64 v129, s13, v9, v55, s13
	v_sub_nc_u32_e32 v2, v2, v86
	v_add_co_u32 v54, s14, v54, v100
	global_load_b128 v[68:71], v[128:129], off slc dlc
	v_sub_nc_u32_e32 v67, v67, v83
	v_cmp_gt_i32_e64 s13, 16, v2
	v_add_co_ci_u32_e64 v55, s14, v55, v101, s14
	s_delay_alu instid0(VALU_DEP_2)
	s_or_b32 s31, s13, s31
	s_waitcnt vmcnt(0)
	global_store_b128 v[128:129], v[68:71], off glc slc dlc
	s_and_not1_b32 exec_lo, exec_lo, s31
	s_cbranch_execnz .LBB2_4190
; %bb.4191:                             ;   in Loop: Header=BB2_4102 Depth=2
	s_or_b32 exec_lo, exec_lo, s31
.LBB2_4192:                             ;   in Loop: Header=BB2_4102 Depth=2
	s_delay_alu instid0(SALU_CYCLE_1) | instskip(SKIP_4) | instid1(VALU_DEP_2)
	s_or_b32 exec_lo, exec_lo, s24
	v_and_b32_e32 v8, 15, v53
	v_mov_b32_e32 v2, 0
	s_mov_b32 s14, 0
	s_mov_b32 s24, exec_lo
                                        ; implicit-def: $vgpr55
                                        ; implicit-def: $vgpr66
	v_cndmask_b32_e32 v54, v65, v8, vcc_lo
	s_delay_alu instid0(VALU_DEP_1)
	v_cmpx_ne_u32_e32 0, v54
; %bb.4193:                             ;   in Loop: Header=BB2_4102 Depth=2
	v_cmp_lt_i32_e64 s13, 0, v67
	v_sub_nc_u32_e32 v8, v65, v8
	s_mov_b32 s14, exec_lo
	s_delay_alu instid0(VALU_DEP_2) | instskip(NEXT) | instid1(VALU_DEP_1)
	v_cndmask_b32_e64 v2, 0, v83, s13
	v_sub_nc_u32_e32 v2, v2, v67
	s_delay_alu instid0(VALU_DEP_1) | instskip(NEXT) | instid1(VALU_DEP_1)
	v_lshl_add_u32 v55, v2, 5, v64
	v_ashrrev_i32_e32 v2, 31, v55
	s_delay_alu instid0(VALU_DEP_1) | instskip(NEXT) | instid1(VALU_DEP_1)
	v_lshrrev_b32_e32 v2, 27, v2
	v_dual_cndmask_b32 v8, 0, v8 :: v_dual_add_nc_u32 v9, v55, v2
	s_delay_alu instid0(VALU_DEP_1) | instskip(NEXT) | instid1(VALU_DEP_2)
	v_add3_u32 v2, v11, v10, v8
	v_ashrrev_i32_e32 v66, 5, v9
; %bb.4194:                             ;   in Loop: Header=BB2_4102 Depth=2
	s_or_b32 exec_lo, exec_lo, s24
	s_delay_alu instid0(SALU_CYCLE_1)
	s_and_b32 s13, s14, exec_lo
.LBB2_4195:                             ;   in Loop: Header=BB2_4102 Depth=2
	s_or_b32 exec_lo, exec_lo, s3
.LBB2_4196:                             ;   in Loop: Header=BB2_4102 Depth=2
	s_and_saveexec_b32 s3, s13
	s_cbranch_execz .LBB2_4208
; %bb.4197:                             ;   in Loop: Header=BB2_4102 Depth=2
	s_delay_alu instid0(VALU_DEP_1) | instskip(SKIP_1) | instid1(VALU_DEP_1)
	v_ashrrev_i32_e32 v8, 31, v54
	s_mov_b32 s13, exec_lo
	v_lshrrev_b32_e32 v8, 24, v8
	s_delay_alu instid0(VALU_DEP_1) | instskip(NEXT) | instid1(VALU_DEP_1)
	v_add_nc_u32_e32 v8, v54, v8
	v_ashrrev_i32_e32 v65, 8, v8
	s_delay_alu instid0(VALU_DEP_1) | instskip(NEXT) | instid1(VALU_DEP_1)
	v_sub_nc_u32_e32 v64, v65, v66
	v_cmpx_lt_i32_e32 0, v64
	s_cbranch_execz .LBB2_4202
; %bb.4198:                             ;   in Loop: Header=BB2_4102 Depth=2
	s_cbranch_execnz .LBB2_4738
; %bb.4199:                             ;   in Loop: Header=BB2_4102 Depth=2
	v_ashrrev_i32_e32 v8, 31, v55
	s_mov_b32 s14, 0
	s_delay_alu instid0(VALU_DEP_1) | instskip(NEXT) | instid1(VALU_DEP_1)
	v_lshrrev_b32_e32 v8, 27, v8
	v_add_nc_u32_e32 v10, v55, v8
	ds_load_b64 v[8:9], v0
	v_lshlrev_b32_e32 v11, 8, v66
	v_and_b32_e32 v10, 0xffffffe0, v10
	s_delay_alu instid0(VALU_DEP_1) | instskip(NEXT) | instid1(VALU_DEP_1)
	v_sub_nc_u32_e32 v10, v55, v10
	v_add3_u32 v66, v2, v10, v11
	s_delay_alu instid0(VALU_DEP_1)
	v_ashrrev_i32_e32 v67, 31, v66
	s_waitcnt lgkmcnt(0)
	v_dual_mov_b32 v11, v9 :: v_dual_mov_b32 v10, v8
.LBB2_4200:                             ;   Parent Loop BB2_51 Depth=1
                                        ;     Parent Loop BB2_4102 Depth=2
                                        ; =>    This Inner Loop Header: Depth=3
	s_delay_alu instid0(VALU_DEP_1) | instskip(NEXT) | instid1(VALU_DEP_2)
	v_add_co_u32 v68, vcc_lo, v66, v10
	v_add_co_ci_u32_e32 v69, vcc_lo, v67, v11, vcc_lo
	v_sub_nc_u32_e32 v64, v64, v83
	s_clause 0x7
	flat_load_u8 v70, v[68:69] slc dlc
	flat_load_u8 v71, v[68:69] offset:32 slc dlc
	flat_load_u8 v128, v[68:69] offset:64 slc dlc
	;; [unrolled: 1-line block ×7, first 2 shown]
	v_add_co_u32 v68, vcc_lo, v66, v8
	v_add_co_ci_u32_e32 v69, vcc_lo, v67, v9, vcc_lo
	v_add_co_u32 v10, vcc_lo, v10, v103
	v_add_co_ci_u32_e32 v11, vcc_lo, v11, v112, vcc_lo
	;; [unrolled: 2-line block ×3, first 2 shown]
	v_cmp_gt_i32_e32 vcc_lo, 1, v64
	s_waitcnt vmcnt(7) lgkmcnt(7)
	flat_store_b8 v[68:69], v70 glc slc dlc
	s_waitcnt vmcnt(6) lgkmcnt(7)
	flat_store_b8 v[68:69], v71 offset:32 glc slc dlc
	s_waitcnt vmcnt(5) lgkmcnt(7)
	flat_store_b8 v[68:69], v128 offset:64 glc slc dlc
	;; [unrolled: 2-line block ×7, first 2 shown]
	s_or_b32 s14, vcc_lo, s14
	s_delay_alu instid0(SALU_CYCLE_1)
	s_and_not1_b32 exec_lo, exec_lo, s14
	s_cbranch_execnz .LBB2_4200
; %bb.4201:                             ;   in Loop: Header=BB2_4102 Depth=2
	s_or_b32 exec_lo, exec_lo, s14
.LBB2_4202:                             ;   in Loop: Header=BB2_4102 Depth=2
	s_delay_alu instid0(SALU_CYCLE_1) | instskip(SKIP_2) | instid1(VALU_DEP_1)
	s_or_b32 exec_lo, exec_lo, s13
	v_lshlrev_b32_e32 v8, 8, v65
	s_mov_b32 s14, exec_lo
	v_cmpx_ne_u32_e64 v54, v8
	s_cbranch_execz .LBB2_4207
; %bb.4203:                             ;   in Loop: Header=BB2_4102 Depth=2
	v_ashrrev_i32_e32 v9, 31, v55
	v_lshlrev_b32_e32 v10, 5, v64
	s_delay_alu instid0(VALU_DEP_2) | instskip(NEXT) | instid1(VALU_DEP_1)
	v_lshrrev_b32_e32 v9, 27, v9
	v_add_nc_u32_e32 v9, v55, v9
	s_delay_alu instid0(VALU_DEP_1) | instskip(NEXT) | instid1(VALU_DEP_1)
	v_and_b32_e32 v9, 0xffffffe0, v9
	v_sub_nc_u32_e32 v9, v55, v9
	s_delay_alu instid0(VALU_DEP_1) | instskip(NEXT) | instid1(VALU_DEP_1)
	v_sub_nc_u32_e32 v9, v9, v10
	v_add_nc_u32_e32 v11, v8, v9
	s_delay_alu instid0(VALU_DEP_1) | instskip(NEXT) | instid1(VALU_DEP_1)
	v_sub_nc_u32_e32 v10, v54, v11
	v_cmp_lt_i32_e32 vcc_lo, 0, v10
	s_and_b32 exec_lo, exec_lo, vcc_lo
	s_cbranch_execz .LBB2_4207
; %bb.4204:                             ;   in Loop: Header=BB2_4102 Depth=2
	s_cbranch_execnz .LBB2_4794
; %bb.4205:                             ;   in Loop: Header=BB2_4102 Depth=2
	ds_load_b64 v[8:9], v0
	v_add_nc_u32_e32 v2, v11, v2
	s_mov_b32 s24, 0
	s_delay_alu instid0(VALU_DEP_1)
	v_ashrrev_i32_e32 v11, 31, v2
.LBB2_4206:                             ;   Parent Loop BB2_51 Depth=1
                                        ;     Parent Loop BB2_4102 Depth=2
                                        ; =>    This Inner Loop Header: Depth=3
	s_waitcnt lgkmcnt(0)
	v_add_co_u32 v54, vcc_lo, v8, v2
	s_delay_alu instid0(VALU_DEP_2)
	v_add_co_ci_u32_e32 v55, vcc_lo, v9, v11, vcc_lo
	v_sub_nc_u32_e32 v10, v10, v99
	v_add_co_u32 v2, s13, v2, v114
	flat_load_u8 v64, v[54:55] slc dlc
	v_add_co_ci_u32_e64 v11, s13, v11, v115, s13
	v_cmp_gt_i32_e32 vcc_lo, 1, v10
	s_or_b32 s24, vcc_lo, s24
	s_waitcnt vmcnt(0) lgkmcnt(0)
	flat_store_b8 v[54:55], v64 glc slc dlc
	s_and_not1_b32 exec_lo, exec_lo, s24
	s_cbranch_execnz .LBB2_4206
.LBB2_4207:                             ;   in Loop: Header=BB2_4102 Depth=2
	s_or_b32 exec_lo, exec_lo, s14
.LBB2_4208:                             ;   in Loop: Header=BB2_4102 Depth=2
	s_delay_alu instid0(SALU_CYCLE_1)
	s_or_b32 exec_lo, exec_lo, s3
.LBB2_4209:                             ;   in Loop: Header=BB2_4102 Depth=2
	s_and_saveexec_b32 s3, s37
	s_cbranch_execz .LBB2_4231
; %bb.4210:                             ;   in Loop: Header=BB2_4102 Depth=2
	s_and_saveexec_b32 s13, s4
	s_delay_alu instid0(SALU_CYCLE_1)
	s_xor_b32 s13, exec_lo, s13
	s_cbranch_execz .LBB2_4228
; %bb.4211:                             ;   in Loop: Header=BB2_4102 Depth=2
	s_and_saveexec_b32 s14, s1
	s_cbranch_execz .LBB2_4227
; %bb.4212:                             ;   in Loop: Header=BB2_4102 Depth=2
	s_mov_b32 s31, exec_lo
	s_mov_b32 s24, exec_lo
	v_mbcnt_lo_u32_b32 v2, s31, 0
	s_waitcnt lgkmcnt(0)
	s_waitcnt_vscnt null, 0x0
	buffer_gl1_inv
	buffer_gl0_inv
	v_cmpx_eq_u32_e32 0, v2
	s_cbranch_execz .LBB2_4214
; %bb.4213:                             ;   in Loop: Header=BB2_4102 Depth=2
	s_bcnt1_i32_b32 vcc_lo, s31
	s_delay_alu instid0(SALU_CYCLE_1)
	v_mov_b32_e32 v2, vcc_lo
	ds_add_u64 v0, v[2:3]
	s_cbranch_execnz .LBB2_4780
.LBB2_4214:                             ;   in Loop: Header=BB2_4102 Depth=2
	s_or_b32 exec_lo, exec_lo, s24
	s_cbranch_execnz .LBB2_4754
; %bb.4215:                             ;   in Loop: Header=BB2_4102 Depth=2
	ds_load_b64 v[8:9], v0
	v_add_co_u32 v32, vcc_lo, v32, v83
	v_add_co_ci_u32_e32 v33, vcc_lo, 0, v33, vcc_lo
	s_mov_b32 s24, exec_lo
	s_waitcnt lgkmcnt(0)
	s_delay_alu instid0(VALU_DEP_1)
	v_cmpx_lt_u64_e64 v[8:9], v[32:33]
	s_cbranch_execz .LBB2_4226
; %bb.4216:                             ;   in Loop: Header=BB2_4102 Depth=2
	s_mov_b32 s31, 0
	s_mov_b32 s36, 0
                                        ; implicit-def: $sgpr34
                                        ; implicit-def: $sgpr35
	s_branch .LBB2_4218
.LBB2_4217:                             ;   in Loop: Header=BB2_4218 Depth=3
	s_or_b32 exec_lo, exec_lo, s39
	s_delay_alu instid0(SALU_CYCLE_1) | instskip(NEXT) | instid1(SALU_CYCLE_1)
	s_and_b32 vcc_lo, exec_lo, vcc_lo
	s_or_b32 s31, vcc_lo, s31
	s_and_not1_b32 vcc_lo, s34, exec_lo
	s_and_b32 s34, s35, exec_lo
	s_delay_alu instid0(SALU_CYCLE_1)
	s_or_b32 s34, vcc_lo, s34
	s_and_not1_b32 exec_lo, exec_lo, s31
	s_cbranch_execz .LBB2_4224
.LBB2_4218:                             ;   Parent Loop BB2_51 Depth=1
                                        ;     Parent Loop BB2_4102 Depth=2
                                        ; =>    This Inner Loop Header: Depth=3
	s_add_i32 s36, s36, 1
                                        ; implicit-def: $sgpr39
	s_delay_alu instid0(SALU_CYCLE_1) | instskip(SKIP_1) | instid1(SALU_CYCLE_1)
	s_cmpk_lg_i32 s36, 0x2710
	s_cselect_b32 s38, -1, 0
	s_and_b32 vcc_lo, exec_lo, s38
	s_cbranch_vccz .LBB2_4222
.LBB2_4219:                             ;   in Loop: Header=BB2_4218 Depth=3
	s_and_not1_b32 s35, s35, exec_lo
	s_and_b32 s39, s39, exec_lo
	s_mov_b32 vcc_lo, -1
	s_or_b32 s35, s35, s39
	s_and_saveexec_b32 s39, s38
	s_cbranch_execz .LBB2_4217
; %bb.4220:                             ;   in Loop: Header=BB2_4218 Depth=3
	s_sleep 1
	s_cbranch_execnz .LBB2_4814
; %bb.4221:                             ;   in Loop: Header=BB2_4218 Depth=3
	ds_load_b64 v[8:9], v0
	s_and_not1_b32 s35, s35, exec_lo
	s_waitcnt lgkmcnt(0)
	v_cmp_ge_u64_e32 vcc_lo, v[8:9], v[32:33]
	s_or_not1_b32 vcc_lo, vcc_lo, exec_lo
	s_branch .LBB2_4217
.LBB2_4222:                             ;   in Loop: Header=BB2_4218 Depth=3
	s_cbranch_execnz .LBB2_4824
; %bb.4223:                             ;   in Loop: Header=BB2_4218 Depth=3
	ds_load_b64 v[8:9], v0
	s_and_not1_b32 s38, s38, exec_lo
	s_mov_b32 s36, 0
	s_mov_b32 s39, -1
	s_waitcnt lgkmcnt(0)
	flat_load_b32 v2, v[8:9] glc
	s_waitcnt vmcnt(0) lgkmcnt(0)
	buffer_gl1_inv
	buffer_gl0_inv
	v_cmp_eq_u32_e32 vcc_lo, 0, v2
	s_and_b32 vcc_lo, vcc_lo, exec_lo
	s_delay_alu instid0(SALU_CYCLE_1)
	s_or_b32 s38, s38, vcc_lo
	s_branch .LBB2_4219
.LBB2_4224:                             ;   in Loop: Header=BB2_4102 Depth=2
	s_or_b32 exec_lo, exec_lo, s31
	s_and_saveexec_b32 vcc_lo, s34
	s_delay_alu instid0(SALU_CYCLE_1)
	s_xor_b32 vcc_lo, exec_lo, vcc_lo
	s_cbranch_execz .LBB2_4226
; %bb.4225:                             ;   in Loop: Header=BB2_4102 Depth=2
	ds_store_b32 v0, v119
	s_cbranch_execnz .LBB2_4878
.LBB2_4226:                             ;   in Loop: Header=BB2_4102 Depth=2
	s_or_b32 exec_lo, exec_lo, s24
	;;#ASMSTART
	s_wakeup
	;;#ASMEND
.LBB2_4227:                             ;   in Loop: Header=BB2_4102 Depth=2
	s_or_b32 exec_lo, exec_lo, s14
.LBB2_4228:                             ;   in Loop: Header=BB2_4102 Depth=2
	s_and_not1_saveexec_b32 s13, s13
	s_cbranch_execz .LBB2_4230
; %bb.4229:                             ;   in Loop: Header=BB2_4102 Depth=2
	s_waitcnt lgkmcnt(0)
	s_waitcnt_vscnt null, 0x0
	buffer_gl1_inv
	buffer_gl0_inv
	s_barrier
.LBB2_4230:                             ;   in Loop: Header=BB2_4102 Depth=2
	s_or_b32 exec_lo, exec_lo, s13
.LBB2_4231:                             ;   in Loop: Header=BB2_4102 Depth=2
	s_delay_alu instid0(SALU_CYCLE_1) | instskip(SKIP_1) | instid1(SALU_CYCLE_1)
	s_or_b32 exec_lo, exec_lo, s3
	s_and_saveexec_b32 s3, s7
	s_xor_b32 s3, exec_lo, s3
	s_cbranch_execz .LBB2_4235
; %bb.4232:                             ;   in Loop: Header=BB2_4102 Depth=2
	v_and_b32_e32 v2, 16, v30
	v_cmp_lt_i32_e32 vcc_lo, 0, v53
	s_delay_alu instid0(VALU_DEP_2) | instskip(NEXT) | instid1(VALU_DEP_1)
	v_cmp_ne_u32_e64 s13, 0, v2
	s_and_b32 s14, s13, vcc_lo
	s_delay_alu instid0(SALU_CYCLE_1)
	s_and_saveexec_b32 s13, s14
	s_cbranch_execz .LBB2_4234
; %bb.4233:                             ;   in Loop: Header=BB2_4102 Depth=2
	s_waitcnt lgkmcnt(0)
	s_waitcnt_vscnt null, 0x0
	buffer_gl1_inv
	buffer_gl0_inv
.LBB2_4234:                             ;   in Loop: Header=BB2_4102 Depth=2
	s_or_b32 exec_lo, exec_lo, s13
.LBB2_4235:                             ;   in Loop: Header=BB2_4102 Depth=2
	s_and_not1_saveexec_b32 s3, s3
	s_cbranch_execz .LBB2_4257
; %bb.4236:                             ;   in Loop: Header=BB2_4102 Depth=2
	s_and_saveexec_b32 s13, s4
	s_delay_alu instid0(SALU_CYCLE_1)
	s_xor_b32 s13, exec_lo, s13
	s_cbranch_execz .LBB2_4254
; %bb.4237:                             ;   in Loop: Header=BB2_4102 Depth=2
	s_and_saveexec_b32 s14, s1
	s_cbranch_execz .LBB2_4253
; %bb.4238:                             ;   in Loop: Header=BB2_4102 Depth=2
	s_mov_b32 s31, exec_lo
	s_mov_b32 s24, exec_lo
	v_mbcnt_lo_u32_b32 v2, s31, 0
	;;#ASMSTART
	s_waitcnt lgkmcnt(0) vmcnt(0)
	;;#ASMEND
	s_delay_alu instid0(VALU_DEP_1)
	v_cmpx_eq_u32_e32 0, v2
	s_cbranch_execz .LBB2_4240
; %bb.4239:                             ;   in Loop: Header=BB2_4102 Depth=2
	s_bcnt1_i32_b32 vcc_lo, s31
	s_delay_alu instid0(SALU_CYCLE_1)
	v_mov_b32_e32 v2, vcc_lo
	ds_add_u64 v0, v[2:3]
	s_cbranch_execnz .LBB2_4784
.LBB2_4240:                             ;   in Loop: Header=BB2_4102 Depth=2
	s_or_b32 exec_lo, exec_lo, s24
	s_cbranch_execnz .LBB2_4764
; %bb.4241:                             ;   in Loop: Header=BB2_4102 Depth=2
	ds_load_b64 v[8:9], v0
	v_add_co_u32 v32, vcc_lo, v32, v83
	v_add_co_ci_u32_e32 v33, vcc_lo, 0, v33, vcc_lo
	s_mov_b32 s24, exec_lo
	s_waitcnt lgkmcnt(0)
	s_delay_alu instid0(VALU_DEP_1)
	v_cmpx_lt_u64_e64 v[8:9], v[32:33]
	s_cbranch_execz .LBB2_4252
; %bb.4242:                             ;   in Loop: Header=BB2_4102 Depth=2
	s_mov_b32 s31, 0
	s_mov_b32 s36, 0
                                        ; implicit-def: $sgpr34
                                        ; implicit-def: $sgpr35
	s_branch .LBB2_4244
.LBB2_4243:                             ;   in Loop: Header=BB2_4244 Depth=3
	s_or_b32 exec_lo, exec_lo, s39
	s_delay_alu instid0(SALU_CYCLE_1) | instskip(NEXT) | instid1(SALU_CYCLE_1)
	s_and_b32 vcc_lo, exec_lo, vcc_lo
	s_or_b32 s31, vcc_lo, s31
	s_and_not1_b32 vcc_lo, s34, exec_lo
	s_and_b32 s34, s35, exec_lo
	s_delay_alu instid0(SALU_CYCLE_1)
	s_or_b32 s34, vcc_lo, s34
	s_and_not1_b32 exec_lo, exec_lo, s31
	s_cbranch_execz .LBB2_4250
.LBB2_4244:                             ;   Parent Loop BB2_51 Depth=1
                                        ;     Parent Loop BB2_4102 Depth=2
                                        ; =>    This Inner Loop Header: Depth=3
	s_add_i32 s36, s36, 1
                                        ; implicit-def: $sgpr39
	s_delay_alu instid0(SALU_CYCLE_1) | instskip(SKIP_1) | instid1(SALU_CYCLE_1)
	s_cmpk_lg_i32 s36, 0x2710
	s_cselect_b32 s38, -1, 0
	s_and_b32 vcc_lo, exec_lo, s38
	s_cbranch_vccnz .LBB2_4247
; %bb.4245:                             ;   in Loop: Header=BB2_4244 Depth=3
	s_cbranch_execnz .LBB2_4832
; %bb.4246:                             ;   in Loop: Header=BB2_4244 Depth=3
	ds_load_b64 v[8:9], v0
	s_and_not1_b32 s38, s38, exec_lo
	s_mov_b32 s36, 0
	s_mov_b32 s39, -1
	s_waitcnt lgkmcnt(0)
	s_waitcnt_vscnt null, 0x0
	flat_load_b32 v2, v[8:9] glc
	s_waitcnt vmcnt(0) lgkmcnt(0)
	buffer_gl1_inv
	buffer_gl0_inv
	v_cmp_eq_u32_e32 vcc_lo, 0, v2
	s_and_b32 vcc_lo, vcc_lo, exec_lo
	s_delay_alu instid0(SALU_CYCLE_1)
	s_or_b32 s38, s38, vcc_lo
.LBB2_4247:                             ;   in Loop: Header=BB2_4244 Depth=3
	s_and_not1_b32 s35, s35, exec_lo
	s_and_b32 s39, s39, exec_lo
	s_mov_b32 vcc_lo, -1
	s_or_b32 s35, s35, s39
	s_and_saveexec_b32 s39, s38
	s_cbranch_execz .LBB2_4243
; %bb.4248:                             ;   in Loop: Header=BB2_4244 Depth=3
	s_sleep 1
	s_cbranch_execnz .LBB2_4818
; %bb.4249:                             ;   in Loop: Header=BB2_4244 Depth=3
	ds_load_b64 v[8:9], v0
	s_and_not1_b32 s35, s35, exec_lo
	s_waitcnt lgkmcnt(0)
	v_cmp_ge_u64_e32 vcc_lo, v[8:9], v[32:33]
	s_or_not1_b32 vcc_lo, vcc_lo, exec_lo
	s_branch .LBB2_4243
.LBB2_4250:                             ;   in Loop: Header=BB2_4102 Depth=2
	s_or_b32 exec_lo, exec_lo, s31
	s_and_saveexec_b32 vcc_lo, s34
	s_delay_alu instid0(SALU_CYCLE_1)
	s_xor_b32 vcc_lo, exec_lo, vcc_lo
	s_cbranch_execz .LBB2_4252
; %bb.4251:                             ;   in Loop: Header=BB2_4102 Depth=2
	ds_store_b32 v0, v119
	s_cbranch_execnz .LBB2_4880
.LBB2_4252:                             ;   in Loop: Header=BB2_4102 Depth=2
	s_or_b32 exec_lo, exec_lo, s24
	;;#ASMSTART
	s_wakeup
	;;#ASMEND
.LBB2_4253:                             ;   in Loop: Header=BB2_4102 Depth=2
	s_or_b32 exec_lo, exec_lo, s14
.LBB2_4254:                             ;   in Loop: Header=BB2_4102 Depth=2
	s_and_not1_saveexec_b32 s13, s13
	s_cbranch_execz .LBB2_4256
; %bb.4255:                             ;   in Loop: Header=BB2_4102 Depth=2
	;;#ASMSTART
	s_waitcnt lgkmcnt(0) vmcnt(0)
	;;#ASMEND
	s_waitcnt lgkmcnt(0)
	s_waitcnt_vscnt null, 0x0
	s_barrier
.LBB2_4256:                             ;   in Loop: Header=BB2_4102 Depth=2
	s_or_b32 exec_lo, exec_lo, s13
.LBB2_4257:                             ;   in Loop: Header=BB2_4102 Depth=2
	s_delay_alu instid0(SALU_CYCLE_1) | instskip(SKIP_2) | instid1(VALU_DEP_1)
	s_or_b32 exec_lo, exec_lo, s3
	v_and_b32_e32 v2, 32, v30
	s_mov_b32 s3, exec_lo
	v_cmpx_ne_u32_e32 0, v2
	s_cbranch_execz .LBB2_4259
; %bb.4258:                             ;   in Loop: Header=BB2_4102 Depth=2
	v_add_co_u32 v24, vcc_lo, v24, 2
	v_add_co_ci_u32_e32 v25, vcc_lo, 0, v25, vcc_lo
	s_waitcnt lgkmcnt(0)
	s_waitcnt_vscnt null, 0x0
	flat_store_b64 v[22:23], v[24:25]
.LBB2_4259:                             ;   in Loop: Header=BB2_4102 Depth=2
	s_or_b32 exec_lo, exec_lo, s3
	v_add_nc_u32_e32 v14, v13, v14
	s_xor_b32 s3, s17, -1
	v_mov_b32_e32 v2, s30
	s_mov_b32 s17, 0
	s_mov_b32 s30, 2
	v_cmp_ge_i32_e32 vcc_lo, v14, v12
	s_or_b32 s3, s3, vcc_lo
	s_delay_alu instid0(SALU_CYCLE_1) | instskip(NEXT) | instid1(SALU_CYCLE_1)
	s_and_b32 s3, exec_lo, s3
	s_or_b32 s16, s3, s16
	s_delay_alu instid0(SALU_CYCLE_1)
	s_and_not1_b32 exec_lo, exec_lo, s16
	s_cbranch_execnz .LBB2_4102
; %bb.4260:                             ;   in Loop: Header=BB2_51 Depth=1
	s_or_b32 exec_lo, exec_lo, s16
.LBB2_4261:                             ;   in Loop: Header=BB2_51 Depth=1
	s_delay_alu instid0(SALU_CYCLE_1) | instskip(NEXT) | instid1(SALU_CYCLE_1)
	s_or_b32 exec_lo, exec_lo, s15
	s_mov_b32 s14, exec_lo
	v_cmpx_gt_i32_e32 2, v2
	s_cbranch_execz .LBB2_4340
; %bb.4262:                             ;   in Loop: Header=BB2_51 Depth=1
	v_cmp_eq_u32_e64 s3, 0, v2
	s_mov_b32 s15, 0
.LBB2_4263:                             ;   Parent Loop BB2_51 Depth=1
                                        ; =>  This Loop Header: Depth=2
                                        ;       Child Loop BB2_4269 Depth 3
                                        ;       Child Loop BB2_4296 Depth 3
	;; [unrolled: 1-line block ×3, first 2 shown]
	v_and_b32_e32 v2, 4, v30
	s_mov_b32 s16, -1
	s_mov_b32 s13, exec_lo
	s_delay_alu instid0(VALU_DEP_1)
	v_cmpx_ne_u32_e32 0, v2
	s_cbranch_execz .LBB2_4277
; %bb.4264:                             ;   in Loop: Header=BB2_4263 Depth=2
	v_add_co_u32 v8, vcc_lo, v24, 2
	v_add_co_ci_u32_e32 v9, vcc_lo, 0, v25, vcc_lo
	v_mov_b32_e32 v2, 1
	s_mov_b32 s16, exec_lo
	s_delay_alu instid0(VALU_DEP_2)
	v_cmpx_lt_u64_e64 v[34:35], v[8:9]
	s_cbranch_execz .LBB2_4276
; %bb.4265:                             ;   in Loop: Header=BB2_4263 Depth=2
	v_mov_b32_e32 v2, 0
	s_mov_b32 s17, 0
                                        ; implicit-def: $sgpr24
	s_branch .LBB2_4269
.LBB2_4266:                             ;   in Loop: Header=BB2_4269 Depth=3
	s_or_b32 exec_lo, exec_lo, s35
	v_mov_b32_e32 v10, 0
	s_or_not1_b32 s34, s34, exec_lo
.LBB2_4267:                             ;   in Loop: Header=BB2_4269 Depth=3
	s_or_b32 exec_lo, exec_lo, s31
	s_delay_alu instid0(VALU_DEP_1) | instskip(SKIP_2) | instid1(SALU_CYCLE_1)
	v_mov_b32_e32 v2, v10
	s_and_not1_b32 s24, s24, exec_lo
	s_and_b32 vcc_lo, s34, exec_lo
	s_or_b32 s24, s24, vcc_lo
.LBB2_4268:                             ;   in Loop: Header=BB2_4269 Depth=3
	s_or_b32 exec_lo, exec_lo, s30
	s_waitcnt vmcnt(0) lgkmcnt(0)
	v_cmp_ge_u64_e32 vcc_lo, v[34:35], v[8:9]
	s_xor_b32 s30, s24, -1
	s_delay_alu instid0(SALU_CYCLE_1) | instskip(NEXT) | instid1(SALU_CYCLE_1)
	s_or_b32 vcc_lo, s30, vcc_lo
	s_and_b32 vcc_lo, exec_lo, vcc_lo
	s_delay_alu instid0(SALU_CYCLE_1) | instskip(NEXT) | instid1(SALU_CYCLE_1)
	s_or_b32 s17, vcc_lo, s17
	s_and_not1_b32 exec_lo, exec_lo, s17
	s_cbranch_execz .LBB2_4275
.LBB2_4269:                             ;   Parent Loop BB2_51 Depth=1
                                        ;     Parent Loop BB2_4263 Depth=2
                                        ; =>    This Inner Loop Header: Depth=3
	s_sleep 1
	flat_load_b64 v[34:35], v[22:23] glc
	v_and_b32_e32 v10, 64, v30
	s_and_not1_b32 s24, s24, exec_lo
	s_mov_b32 s30, exec_lo
	s_delay_alu instid0(VALU_DEP_1)
	v_cmpx_eq_u32_e32 0, v10
	s_cbranch_execz .LBB2_4268
; %bb.4270:                             ;   in Loop: Header=BB2_4269 Depth=3
	v_add_nc_u32_e32 v10, 1, v2
	s_mov_b32 s34, -1
	s_mov_b32 s31, exec_lo
	v_cmpx_lt_i32_e32 0x270e, v2
	s_cbranch_execz .LBB2_4267
; %bb.4271:                             ;   in Loop: Header=BB2_4269 Depth=3
	s_cbranch_execnz .LBB2_4552
; %bb.4272:                             ;   in Loop: Header=BB2_4269 Depth=3
	ds_load_b64 v[10:11], v0
	s_mov_b32 s35, exec_lo
	s_waitcnt vmcnt(0) lgkmcnt(0)
	s_waitcnt_vscnt null, 0x0
	flat_load_b32 v2, v[10:11] glc
	s_waitcnt vmcnt(0) lgkmcnt(0)
	buffer_gl1_inv
	buffer_gl0_inv
	v_cmpx_ne_u32_e32 0, v2
	s_cbranch_execz .LBB2_4266
; %bb.4273:                             ;   in Loop: Header=BB2_4269 Depth=3
	ds_store_b32 v0, v2
	s_cbranch_execnz .LBB2_4630
; %bb.4274:                             ;   in Loop: Header=BB2_4269 Depth=3
	v_or_b32_e32 v30, 64, v30
	s_xor_b32 s34, exec_lo, -1
	s_branch .LBB2_4266
.LBB2_4275:                             ;   in Loop: Header=BB2_4263 Depth=2
	s_or_b32 exec_lo, exec_lo, s17
	v_and_b32_e32 v2, 4, v30
.LBB2_4276:                             ;   in Loop: Header=BB2_4263 Depth=2
	s_or_b32 exec_lo, exec_lo, s16
	s_delay_alu instid0(VALU_DEP_1)
	v_cmp_eq_u32_e32 vcc_lo, 0, v2
	;;#ASMSTART
	s_wakeup
	;;#ASMEND
	s_or_not1_b32 s16, vcc_lo, exec_lo
.LBB2_4277:                             ;   in Loop: Header=BB2_4263 Depth=2
	s_or_b32 exec_lo, exec_lo, s13
	s_xor_b32 s3, s3, -1
	s_delay_alu instid0(SALU_CYCLE_1) | instskip(NEXT) | instid1(SALU_CYCLE_1)
	s_and_b32 s3, exec_lo, s3
	s_or_b32 s15, s3, s15
	s_xor_b32 s13, s16, -1
	s_delay_alu instid0(SALU_CYCLE_1)
	s_and_saveexec_b32 s3, s13
	s_cbranch_execz .LBB2_4287
; %bb.4278:                             ;   in Loop: Header=BB2_4263 Depth=2
	v_and_b32_e32 v2, 0x100, v30
	s_mov_b32 s13, -1
                                        ; implicit-def: $vgpr8_vgpr9
	s_delay_alu instid0(VALU_DEP_1)
	v_cmp_ne_u32_e32 vcc_lo, 0, v2
	v_and_b32_e32 v2, 7, v24
	s_and_saveexec_b32 s16, vcc_lo
	s_cbranch_execz .LBB2_4282
; %bb.4279:                             ;   in Loop: Header=BB2_4263 Depth=2
	s_delay_alu instid0(VALU_DEP_1) | instskip(SKIP_4) | instid1(VALU_DEP_1)
	v_mad_u64_u32 v[10:11], null, v2, 24, v[6:7]
	flat_load_b32 v8, v[10:11]
	s_waitcnt vmcnt(0) lgkmcnt(0)
	v_cmp_ne_u32_e32 vcc_lo, 1, v8
	v_cmp_eq_u32_e64 s13, 1, v8
                                        ; implicit-def: $vgpr8_vgpr9
	s_and_saveexec_b32 s17, s13
	s_cbranch_execz .LBB2_4281
; %bb.4280:                             ;   in Loop: Header=BB2_4263 Depth=2
	flat_load_b32 v8, v[10:11] offset:4 glc
	s_waitcnt vmcnt(0) lgkmcnt(0)
	v_ashrrev_i32_e32 v9, 31, v8
.LBB2_4281:                             ;   in Loop: Header=BB2_4263 Depth=2
	s_or_b32 exec_lo, exec_lo, s17
	s_delay_alu instid0(SALU_CYCLE_1)
	s_or_not1_b32 s13, vcc_lo, exec_lo
.LBB2_4282:                             ;   in Loop: Header=BB2_4263 Depth=2
	s_or_b32 exec_lo, exec_lo, s16
	s_and_saveexec_b32 s16, s13
; %bb.4283:                             ;   in Loop: Header=BB2_4263 Depth=2
	v_mad_i64_i32 v[8:9], null, v2, v80, 0
; %bb.4284:                             ;   in Loop: Header=BB2_4263 Depth=2
	s_or_b32 exec_lo, exec_lo, s16
	s_delay_alu instid0(VALU_DEP_1) | instskip(SKIP_1) | instid1(VALU_DEP_3)
	v_add_co_u32 v8, vcc_lo, v26, v8
	v_and_b32_e32 v2, 0x2000, v30
	v_add_co_ci_u32_e32 v9, vcc_lo, v27, v9, vcc_lo
	s_mov_b32 s13, exec_lo
	ds_store_b64 v0, v[8:9] offset:720
	v_cmpx_ne_u32_e32 0, v2
	s_cbranch_execz .LBB2_4286
; %bb.4285:                             ;   in Loop: Header=BB2_4263 Depth=2
	ds_load_b64 v[8:9], v0 offset:584
	s_waitcnt lgkmcnt(0)
	v_add_co_u32 v8, vcc_lo, v8, 1
	v_add_co_ci_u32_e32 v9, vcc_lo, 0, v9, vcc_lo
	ds_store_b64 v0, v[8:9] offset:584
.LBB2_4286:                             ;   in Loop: Header=BB2_4263 Depth=2
	s_or_b32 exec_lo, exec_lo, s13
	v_add_co_u32 v24, vcc_lo, v24, 2
	v_add_co_ci_u32_e32 v25, vcc_lo, 0, v25, vcc_lo
.LBB2_4287:                             ;   in Loop: Header=BB2_4263 Depth=2
	s_or_b32 exec_lo, exec_lo, s3
	s_and_saveexec_b32 s3, s37
	s_cbranch_execz .LBB2_4309
; %bb.4288:                             ;   in Loop: Header=BB2_4263 Depth=2
	s_and_saveexec_b32 s13, s4
	s_delay_alu instid0(SALU_CYCLE_1)
	s_xor_b32 s13, exec_lo, s13
	s_cbranch_execz .LBB2_4306
; %bb.4289:                             ;   in Loop: Header=BB2_4263 Depth=2
	s_and_saveexec_b32 s16, s1
	s_cbranch_execz .LBB2_4305
; %bb.4290:                             ;   in Loop: Header=BB2_4263 Depth=2
	s_mov_b32 s24, exec_lo
	s_mov_b32 s17, exec_lo
	v_mbcnt_lo_u32_b32 v2, s24, 0
	s_waitcnt lgkmcnt(0)
	s_waitcnt_vscnt null, 0x0
	buffer_gl1_inv
	buffer_gl0_inv
	v_cmpx_eq_u32_e32 0, v2
	s_cbranch_execz .LBB2_4292
; %bb.4291:                             ;   in Loop: Header=BB2_4263 Depth=2
	s_bcnt1_i32_b32 s24, s24
	s_delay_alu instid0(SALU_CYCLE_1)
	v_mov_b32_e32 v2, s24
	ds_add_u64 v0, v[2:3]
	s_cbranch_execnz .LBB2_4666
.LBB2_4292:                             ;   in Loop: Header=BB2_4263 Depth=2
	s_or_b32 exec_lo, exec_lo, s17
	s_cbranch_execnz .LBB2_4642
; %bb.4293:                             ;   in Loop: Header=BB2_4263 Depth=2
	ds_load_b64 v[8:9], v0
	v_add_co_u32 v32, vcc_lo, v32, v83
	v_add_co_ci_u32_e32 v33, vcc_lo, 0, v33, vcc_lo
	s_mov_b32 s17, exec_lo
	s_waitcnt lgkmcnt(0)
	s_delay_alu instid0(VALU_DEP_1)
	v_cmpx_lt_u64_e64 v[8:9], v[32:33]
	s_cbranch_execz .LBB2_4304
; %bb.4294:                             ;   in Loop: Header=BB2_4263 Depth=2
	s_mov_b32 s24, 0
	s_mov_b32 s34, 0
                                        ; implicit-def: $sgpr30
                                        ; implicit-def: $sgpr31
	s_branch .LBB2_4296
.LBB2_4295:                             ;   in Loop: Header=BB2_4296 Depth=3
	s_or_b32 exec_lo, exec_lo, s36
	s_delay_alu instid0(SALU_CYCLE_1) | instskip(NEXT) | instid1(SALU_CYCLE_1)
	s_and_b32 vcc_lo, exec_lo, vcc_lo
	s_or_b32 s24, vcc_lo, s24
	s_and_not1_b32 vcc_lo, s30, exec_lo
	s_and_b32 s30, s31, exec_lo
	s_delay_alu instid0(SALU_CYCLE_1)
	s_or_b32 s30, vcc_lo, s30
	s_and_not1_b32 exec_lo, exec_lo, s24
	s_cbranch_execz .LBB2_4302
.LBB2_4296:                             ;   Parent Loop BB2_51 Depth=1
                                        ;     Parent Loop BB2_4263 Depth=2
                                        ; =>    This Inner Loop Header: Depth=3
	s_add_i32 s34, s34, 1
                                        ; implicit-def: $sgpr36
	s_delay_alu instid0(SALU_CYCLE_1) | instskip(SKIP_1) | instid1(SALU_CYCLE_1)
	s_cmpk_lg_i32 s34, 0x2710
	s_cselect_b32 s35, -1, 0
	s_and_b32 vcc_lo, exec_lo, s35
	s_cbranch_vccz .LBB2_4300
.LBB2_4297:                             ;   in Loop: Header=BB2_4296 Depth=3
	s_and_not1_b32 s31, s31, exec_lo
	s_and_b32 s36, s36, exec_lo
	s_mov_b32 vcc_lo, -1
	s_or_b32 s31, s31, s36
	s_and_saveexec_b32 s36, s35
	s_cbranch_execz .LBB2_4295
; %bb.4298:                             ;   in Loop: Header=BB2_4296 Depth=3
	s_sleep 1
	s_cbranch_execnz .LBB2_4714
; %bb.4299:                             ;   in Loop: Header=BB2_4296 Depth=3
	ds_load_b64 v[8:9], v0
	s_and_not1_b32 s31, s31, exec_lo
	s_waitcnt lgkmcnt(0)
	v_cmp_ge_u64_e32 vcc_lo, v[8:9], v[32:33]
	s_or_not1_b32 vcc_lo, vcc_lo, exec_lo
	s_branch .LBB2_4295
.LBB2_4300:                             ;   in Loop: Header=BB2_4296 Depth=3
	s_cbranch_execnz .LBB2_4734
; %bb.4301:                             ;   in Loop: Header=BB2_4296 Depth=3
	ds_load_b64 v[8:9], v0
	s_and_not1_b32 s35, s35, exec_lo
	s_mov_b32 s34, 0
	s_mov_b32 s36, -1
	s_waitcnt lgkmcnt(0)
	flat_load_b32 v2, v[8:9] glc
	s_waitcnt vmcnt(0) lgkmcnt(0)
	buffer_gl1_inv
	buffer_gl0_inv
	v_cmp_eq_u32_e32 vcc_lo, 0, v2
	s_and_b32 vcc_lo, vcc_lo, exec_lo
	s_delay_alu instid0(SALU_CYCLE_1)
	s_or_b32 s35, s35, vcc_lo
	s_branch .LBB2_4297
.LBB2_4302:                             ;   in Loop: Header=BB2_4263 Depth=2
	s_or_b32 exec_lo, exec_lo, s24
	s_and_saveexec_b32 s24, s30
	s_delay_alu instid0(SALU_CYCLE_1)
	s_xor_b32 s24, exec_lo, s24
	s_cbranch_execz .LBB2_4304
; %bb.4303:                             ;   in Loop: Header=BB2_4263 Depth=2
	ds_store_b32 v0, v119
	s_cbranch_execnz .LBB2_4858
.LBB2_4304:                             ;   in Loop: Header=BB2_4263 Depth=2
	s_or_b32 exec_lo, exec_lo, s17
	;;#ASMSTART
	s_wakeup
	;;#ASMEND
.LBB2_4305:                             ;   in Loop: Header=BB2_4263 Depth=2
	s_or_b32 exec_lo, exec_lo, s16
.LBB2_4306:                             ;   in Loop: Header=BB2_4263 Depth=2
	s_and_not1_saveexec_b32 s13, s13
	s_cbranch_execz .LBB2_4308
; %bb.4307:                             ;   in Loop: Header=BB2_4263 Depth=2
	s_waitcnt lgkmcnt(0)
	s_waitcnt_vscnt null, 0x0
	buffer_gl1_inv
	buffer_gl0_inv
	s_barrier
.LBB2_4308:                             ;   in Loop: Header=BB2_4263 Depth=2
	s_or_b32 exec_lo, exec_lo, s13
.LBB2_4309:                             ;   in Loop: Header=BB2_4263 Depth=2
	s_delay_alu instid0(SALU_CYCLE_1) | instskip(SKIP_1) | instid1(VALU_DEP_1)
	s_or_b32 exec_lo, exec_lo, s3
	v_sub_nc_u32_e32 v2, v12, v14
	v_min_i32_e32 v13, v13, v2
	s_and_saveexec_b32 s3, s7
	s_delay_alu instid0(SALU_CYCLE_1)
	s_xor_b32 s3, exec_lo, s3
	s_cbranch_execz .LBB2_4314
; %bb.4310:                             ;   in Loop: Header=BB2_4263 Depth=2
	s_cbranch_execnz .LBB2_4548
; %bb.4311:                             ;   in Loop: Header=BB2_4263 Depth=2
	ds_load_b32 v2, v0
	v_cmp_lt_i32_e32 vcc_lo, 0, v13
	s_waitcnt lgkmcnt(0)
	v_readfirstlane_b32 s13, v2
	v_and_b32_e32 v2, 16, v30
	s_delay_alu instid0(VALU_DEP_2) | instskip(NEXT) | instid1(VALU_DEP_1)
	s_cmp_eq_u32 s13, 0
	v_cmp_ne_u32_e64 s13, 0, v2
	s_cselect_b32 s16, -1, 0
	s_delay_alu instid0(SALU_CYCLE_1)
	s_and_b32 s16, vcc_lo, s16
	s_delay_alu instid0(VALU_DEP_1) | instid1(SALU_CYCLE_1)
	s_and_b32 s16, s13, s16
	s_delay_alu instid0(SALU_CYCLE_1)
	s_and_saveexec_b32 s13, s16
	s_cbranch_execz .LBB2_4313
; %bb.4312:                             ;   in Loop: Header=BB2_4263 Depth=2
	s_waitcnt_vscnt null, 0x0
	buffer_gl1_inv
	buffer_gl0_inv
.LBB2_4313:                             ;   in Loop: Header=BB2_4263 Depth=2
	s_or_b32 exec_lo, exec_lo, s13
.LBB2_4314:                             ;   in Loop: Header=BB2_4263 Depth=2
	s_and_not1_saveexec_b32 s3, s3
	s_cbranch_execz .LBB2_4336
; %bb.4315:                             ;   in Loop: Header=BB2_4263 Depth=2
	s_and_saveexec_b32 s13, s4
	s_delay_alu instid0(SALU_CYCLE_1)
	s_xor_b32 s13, exec_lo, s13
	s_cbranch_execz .LBB2_4333
; %bb.4316:                             ;   in Loop: Header=BB2_4263 Depth=2
	s_and_saveexec_b32 s16, s1
	s_cbranch_execz .LBB2_4332
; %bb.4317:                             ;   in Loop: Header=BB2_4263 Depth=2
	s_mov_b32 s24, exec_lo
	s_mov_b32 s17, exec_lo
	v_mbcnt_lo_u32_b32 v2, s24, 0
	;;#ASMSTART
	s_waitcnt lgkmcnt(0) vmcnt(0)
	;;#ASMEND
	s_delay_alu instid0(VALU_DEP_1)
	v_cmpx_eq_u32_e32 0, v2
	s_cbranch_execz .LBB2_4319
; %bb.4318:                             ;   in Loop: Header=BB2_4263 Depth=2
	s_bcnt1_i32_b32 s24, s24
	s_delay_alu instid0(SALU_CYCLE_1)
	v_mov_b32_e32 v2, s24
	ds_add_u64 v0, v[2:3]
	s_cbranch_execnz .LBB2_4692
.LBB2_4319:                             ;   in Loop: Header=BB2_4263 Depth=2
	s_or_b32 exec_lo, exec_lo, s17
	s_cbranch_execnz .LBB2_4664
; %bb.4320:                             ;   in Loop: Header=BB2_4263 Depth=2
	ds_load_b64 v[8:9], v0
	v_add_co_u32 v32, vcc_lo, v32, v83
	v_add_co_ci_u32_e32 v33, vcc_lo, 0, v33, vcc_lo
	s_mov_b32 s17, exec_lo
	s_waitcnt lgkmcnt(0)
	s_delay_alu instid0(VALU_DEP_1)
	v_cmpx_lt_u64_e64 v[8:9], v[32:33]
	s_cbranch_execz .LBB2_4331
; %bb.4321:                             ;   in Loop: Header=BB2_4263 Depth=2
	s_mov_b32 s24, 0
	s_mov_b32 s34, 0
                                        ; implicit-def: $sgpr30
                                        ; implicit-def: $sgpr31
	s_branch .LBB2_4323
.LBB2_4322:                             ;   in Loop: Header=BB2_4323 Depth=3
	s_or_b32 exec_lo, exec_lo, s36
	s_delay_alu instid0(SALU_CYCLE_1) | instskip(NEXT) | instid1(SALU_CYCLE_1)
	s_and_b32 vcc_lo, exec_lo, vcc_lo
	s_or_b32 s24, vcc_lo, s24
	s_and_not1_b32 vcc_lo, s30, exec_lo
	s_and_b32 s30, s31, exec_lo
	s_delay_alu instid0(SALU_CYCLE_1)
	s_or_b32 s30, vcc_lo, s30
	s_and_not1_b32 exec_lo, exec_lo, s24
	s_cbranch_execz .LBB2_4329
.LBB2_4323:                             ;   Parent Loop BB2_51 Depth=1
                                        ;     Parent Loop BB2_4263 Depth=2
                                        ; =>    This Inner Loop Header: Depth=3
	s_add_i32 s34, s34, 1
                                        ; implicit-def: $sgpr36
	s_delay_alu instid0(SALU_CYCLE_1) | instskip(SKIP_1) | instid1(SALU_CYCLE_1)
	s_cmpk_lg_i32 s34, 0x2710
	s_cselect_b32 s35, -1, 0
	s_and_b32 vcc_lo, exec_lo, s35
	s_cbranch_vccz .LBB2_4327
.LBB2_4324:                             ;   in Loop: Header=BB2_4323 Depth=3
	s_and_not1_b32 s31, s31, exec_lo
	s_and_b32 s36, s36, exec_lo
	s_mov_b32 vcc_lo, -1
	s_or_b32 s31, s31, s36
	s_and_saveexec_b32 s36, s35
	s_cbranch_execz .LBB2_4322
; %bb.4325:                             ;   in Loop: Header=BB2_4323 Depth=3
	s_sleep 1
	s_cbranch_execnz .LBB2_4744
; %bb.4326:                             ;   in Loop: Header=BB2_4323 Depth=3
	ds_load_b64 v[8:9], v0
	s_and_not1_b32 s31, s31, exec_lo
	s_waitcnt lgkmcnt(0)
	v_cmp_ge_u64_e32 vcc_lo, v[8:9], v[32:33]
	s_or_not1_b32 vcc_lo, vcc_lo, exec_lo
	s_branch .LBB2_4322
.LBB2_4327:                             ;   in Loop: Header=BB2_4323 Depth=3
	s_cbranch_execnz .LBB2_4762
; %bb.4328:                             ;   in Loop: Header=BB2_4323 Depth=3
	ds_load_b64 v[8:9], v0
	s_and_not1_b32 s35, s35, exec_lo
	s_mov_b32 s34, 0
	s_mov_b32 s36, -1
	s_waitcnt lgkmcnt(0)
	s_waitcnt_vscnt null, 0x0
	flat_load_b32 v2, v[8:9] glc
	s_waitcnt vmcnt(0) lgkmcnt(0)
	buffer_gl1_inv
	buffer_gl0_inv
	v_cmp_eq_u32_e32 vcc_lo, 0, v2
	s_and_b32 vcc_lo, vcc_lo, exec_lo
	s_delay_alu instid0(SALU_CYCLE_1)
	s_or_b32 s35, s35, vcc_lo
	s_branch .LBB2_4324
.LBB2_4329:                             ;   in Loop: Header=BB2_4263 Depth=2
	s_or_b32 exec_lo, exec_lo, s24
	s_and_saveexec_b32 s24, s30
	s_delay_alu instid0(SALU_CYCLE_1)
	s_xor_b32 s24, exec_lo, s24
	s_cbranch_execz .LBB2_4331
; %bb.4330:                             ;   in Loop: Header=BB2_4263 Depth=2
	ds_store_b32 v0, v119
	s_cbranch_execnz .LBB2_4868
.LBB2_4331:                             ;   in Loop: Header=BB2_4263 Depth=2
	s_or_b32 exec_lo, exec_lo, s17
	;;#ASMSTART
	s_wakeup
	;;#ASMEND
.LBB2_4332:                             ;   in Loop: Header=BB2_4263 Depth=2
	s_or_b32 exec_lo, exec_lo, s16
.LBB2_4333:                             ;   in Loop: Header=BB2_4263 Depth=2
	s_and_not1_saveexec_b32 s13, s13
	s_cbranch_execz .LBB2_4335
; %bb.4334:                             ;   in Loop: Header=BB2_4263 Depth=2
	;;#ASMSTART
	s_waitcnt lgkmcnt(0) vmcnt(0)
	;;#ASMEND
	s_waitcnt lgkmcnt(0)
	s_waitcnt_vscnt null, 0x0
	s_barrier
.LBB2_4335:                             ;   in Loop: Header=BB2_4263 Depth=2
	s_or_b32 exec_lo, exec_lo, s13
.LBB2_4336:                             ;   in Loop: Header=BB2_4263 Depth=2
	s_delay_alu instid0(SALU_CYCLE_1) | instskip(SKIP_2) | instid1(VALU_DEP_1)
	s_or_b32 exec_lo, exec_lo, s3
	v_and_b32_e32 v2, 32, v30
	s_mov_b32 s3, exec_lo
	v_cmpx_ne_u32_e32 0, v2
	s_cbranch_execz .LBB2_4338
; %bb.4337:                             ;   in Loop: Header=BB2_4263 Depth=2
	v_add_co_u32 v24, vcc_lo, v24, 2
	v_add_co_ci_u32_e32 v25, vcc_lo, 0, v25, vcc_lo
	s_waitcnt lgkmcnt(0)
	s_waitcnt_vscnt null, 0x0
	flat_store_b64 v[22:23], v[24:25]
.LBB2_4338:                             ;   in Loop: Header=BB2_4263 Depth=2
	s_or_b32 exec_lo, exec_lo, s3
	v_add_nc_u32_e32 v14, v13, v14
	s_mov_b32 s3, 0
	s_and_not1_b32 exec_lo, exec_lo, s15
	s_cbranch_execnz .LBB2_4263
; %bb.4339:                             ;   in Loop: Header=BB2_51 Depth=1
	s_or_b32 exec_lo, exec_lo, s15
.LBB2_4340:                             ;   in Loop: Header=BB2_51 Depth=1
	s_delay_alu instid0(SALU_CYCLE_1)
	s_or_b32 exec_lo, exec_lo, s14
	v_add_co_u32 v48, vcc_lo, v48, v36
	v_add_co_ci_u32_e32 v49, vcc_lo, v49, v37, vcc_lo
	v_readlane_b32 s13, v42, 0
	v_readlane_b32 s14, v42, 5
	;; [unrolled: 1-line block ×3, first 2 shown]
	s_delay_alu instid0(VALU_DEP_4)
	v_cmp_ge_i64_e32 vcc_lo, v[48:49], v[4:5]
	v_readlane_b32 s31, v42, 7
	v_readlane_b32 s34, v42, 9
	;; [unrolled: 1-line block ×3, first 2 shown]
	s_mov_b32 s36, s2
	s_mov_b32 s3, s4
	s_or_b32 s13, vcc_lo, s13
	s_delay_alu instid0(SALU_CYCLE_1)
	v_writelane_b32 v42, s13, 0
	s_and_not1_b32 exec_lo, exec_lo, s13
	s_cbranch_execz .LBB2_4341
; %bb.5040:                             ;   in Loop: Header=BB2_51 Depth=1
	s_getpc_b64 s[46:47]
.Lpost_getpc77:
	s_add_u32 s46, s46, (.LBB2_51-.Lpost_getpc77)&4294967295
	s_addc_u32 s47, s47, (.LBB2_51-.Lpost_getpc77)>>32
	s_setpc_b64 s[46:47]
.LBB2_4341:
	s_delay_alu instid0(VALU_DEP_1) | instskip(NEXT) | instid1(VALU_DEP_1)
	v_readlane_b32 s0, v42, 0
	s_or_b32 exec_lo, exec_lo, s0
.LBB2_4342:
	s_delay_alu instid0(SALU_CYCLE_1)
	s_or_b32 exec_lo, exec_lo, s20
; %bb.4343:
	v_and_b32_e32 v0, 0x800, v30
	s_mov_b32 s0, exec_lo
	s_delay_alu instid0(VALU_DEP_1)
	v_cmpx_eq_u32_e32 0, v0
	s_cbranch_execz .LBB2_4598
; %bb.4344:
	v_and_b32_e32 v0, 48, v30
	s_mov_b32 s1, exec_lo
	s_delay_alu instid0(VALU_DEP_1)
	v_cmpx_ne_u32_e32 0, v0
	s_cbranch_execz .LBB2_4346
; %bb.4345:
	flat_store_b64 v[20:21], v[24:25] offset:104
.LBB2_4346:
	s_or_b32 exec_lo, exec_lo, s1
	v_and_b32_e32 v0, 0x88, v30
	s_mov_b32 s1, exec_lo
	s_delay_alu instid0(VALU_DEP_1)
	v_cmpx_eq_u32_e32 0x88, v0
	s_cbranch_execz .LBB2_4396
; %bb.4347:
	v_add_nc_u32_e32 v0, 6, v24
	s_mov_b32 s2, 0
                                        ; implicit-def: $sgpr3
	s_delay_alu instid0(VALU_DEP_1) | instskip(NEXT) | instid1(VALU_DEP_1)
	v_and_b32_e32 v0, 7, v0
	v_mad_u64_u32 v[2:3], null, v0, 24, v[6:7]
	v_mov_b32_e32 v0, 0
	s_delay_alu instid0(VALU_DEP_2) | instskip(NEXT) | instid1(VALU_DEP_3)
	v_add_co_u32 v2, vcc_lo, v2, 8
	v_add_co_ci_u32_e32 v3, vcc_lo, 0, v3, vcc_lo
	s_branch .LBB2_4382
.LBB2_4348:
	s_trap 2
	s_sendmsg_rtn_b32 s0, sendmsg(MSG_RTN_GET_DOORBELL)
	s_mov_b32 ttmp2, m0
	s_waitcnt lgkmcnt(0)
	s_and_b32 s0, s0, 0x3ff
	s_delay_alu instid0(SALU_CYCLE_1) | instskip(NEXT) | instid1(SALU_CYCLE_1)
	s_bitset1_b32 s0, 10
	s_mov_b32 m0, s0
	s_sendmsg sendmsg(MSG_INTERRUPT)
	s_mov_b32 m0, ttmp2
.LBB2_4349:                             ; =>This Inner Loop Header: Depth=1
	s_sethalt 5
	s_branch .LBB2_4349
.LBB2_4350:
	v_bfe_u32 v9, v7, 8, 8
	v_not_b32_e32 v8, v8
	s_mov_b32 s1, exec_lo
                                        ; implicit-def: $vgpr14_vgpr15
                                        ; implicit-def: $vgpr16_vgpr17
                                        ; implicit-def: $vgpr4_vgpr5
	s_delay_alu instid0(VALU_DEP_2)
	v_cmpx_ne_u32_e64 v9, v6
	s_xor_b32 s1, exec_lo, s1
	s_cbranch_execz .LBB2_4352
; %bb.4351:
	s_clause 0x1
	flat_load_b128 v[9:12], v[2:3] offset:72
	flat_load_b64 v[4:5], v[2:3] offset:96
	v_add_nc_u32_e32 v6, v6, v8
                                        ; implicit-def: $vgpr8
	s_waitcnt vmcnt(0) lgkmcnt(0)
	v_lshrrev_b64 v[14:15], 12, v[4:5]
	v_dual_mov_b32 v4, v11 :: v_dual_mov_b32 v5, v12
	s_delay_alu instid0(VALU_DEP_3) | instskip(SKIP_2) | instid1(VALU_DEP_3)
	v_ashrrev_i32_e32 v7, 31, v6
	v_mad_u64_u32 v[16:17], null, v11, v6, v[9:10]
	v_mul_lo_u32 v6, v12, v6
                                        ; implicit-def: $vgpr9
	v_mul_lo_u32 v7, v11, v7
	s_delay_alu instid0(VALU_DEP_1)
	v_add3_u32 v17, v6, v17, v7
.LBB2_4352:
	s_and_not1_saveexec_b32 s1, s1
	s_cbranch_execz .LBB2_4354
; %bb.4353:
	s_clause 0x1
	flat_load_b128 v[10:13], v[2:3] offset:72
	flat_load_b128 v[4:7], v[2:3] offset:88
	s_waitcnt vmcnt(0) lgkmcnt(0)
	v_add_nc_u32_e32 v6, v9, v8
	s_delay_alu instid0(VALU_DEP_1) | instskip(NEXT) | instid1(VALU_DEP_1)
	v_ashrrev_i32_e32 v8, 31, v6
	v_mul_lo_u32 v8, v12, v8
	v_mad_u64_u32 v[16:17], null, v12, v6, v[10:11]
	v_mul_lo_u32 v6, v13, v6
	v_lshrrev_b32_e32 v14, 1, v7
	s_delay_alu instid0(VALU_DEP_2)
	v_add3_u32 v17, v6, v17, v8
.LBB2_4354:
	s_or_b32 exec_lo, exec_lo, s1
	s_and_not1_saveexec_b32 s0, s0
	s_cbranch_execnz .LBB2_4355
; %bb.5042:
	s_getpc_b64 s[46:47]
.Lpost_getpc78:
	s_add_u32 s46, s46, (.LBB2_3-.Lpost_getpc78)&4294967295
	s_addc_u32 s47, s47, (.LBB2_3-.Lpost_getpc78)>>32
	s_setpc_b64 s[46:47]
.LBB2_4355:
	s_clause 0x1
	flat_load_b64 v[6:7], v[2:3] offset:96
	flat_load_b64 v[4:5], v[2:3] offset:72
	v_mov_b32_e32 v16, 0
	v_mov_b32_e32 v17, 0
	s_waitcnt vmcnt(1) lgkmcnt(1)
	v_lshlrev_b64 v[14:15], 9, v[6:7]
	s_or_b32 exec_lo, exec_lo, s0
	s_cbranch_execnz .LBB2_4356
; %bb.5044:
	s_getpc_b64 s[46:47]
.Lpost_getpc79:
	s_add_u32 s46, s46, (.LBB2_4-.Lpost_getpc79)&4294967295
	s_addc_u32 s47, s47, (.LBB2_4-.Lpost_getpc79)>>32
	s_setpc_b64 s[46:47]
.LBB2_4356:
	s_trap 2
	s_sendmsg_rtn_b32 s0, sendmsg(MSG_RTN_GET_DOORBELL)
	s_mov_b32 ttmp2, m0
	s_waitcnt lgkmcnt(0)
	s_and_b32 s0, s0, 0x3ff
	s_delay_alu instid0(SALU_CYCLE_1) | instskip(NEXT) | instid1(SALU_CYCLE_1)
	s_bitset1_b32 s0, 10
	s_mov_b32 m0, s0
	s_sendmsg sendmsg(MSG_INTERRUPT)
	s_mov_b32 m0, ttmp2
.LBB2_4357:                             ; =>This Inner Loop Header: Depth=1
	s_sethalt 5
	s_branch .LBB2_4357
.LBB2_4358:
	s_trap 2
	s_sendmsg_rtn_b32 s0, sendmsg(MSG_RTN_GET_DOORBELL)
	s_mov_b32 ttmp2, m0
	s_waitcnt lgkmcnt(0)
	s_and_b32 s0, s0, 0x3ff
	s_delay_alu instid0(SALU_CYCLE_1) | instskip(NEXT) | instid1(SALU_CYCLE_1)
	s_bitset1_b32 s0, 10
	s_mov_b32 m0, s0
	s_sendmsg sendmsg(MSG_INTERRUPT)
	s_mov_b32 m0, ttmp2
.LBB2_4359:                             ; =>This Inner Loop Header: Depth=1
	s_sethalt 5
	s_branch .LBB2_4359
.LBB2_4360:
	s_trap 2
	s_sendmsg_rtn_b32 s0, sendmsg(MSG_RTN_GET_DOORBELL)
	s_mov_b32 ttmp2, m0
	s_waitcnt lgkmcnt(0)
	s_and_b32 s0, s0, 0x3ff
	s_delay_alu instid0(SALU_CYCLE_1) | instskip(NEXT) | instid1(SALU_CYCLE_1)
	s_bitset1_b32 s0, 10
	s_mov_b32 m0, s0
	s_sendmsg sendmsg(MSG_INTERRUPT)
	s_mov_b32 m0, ttmp2
.LBB2_4361:                             ; =>This Inner Loop Header: Depth=1
	s_sethalt 5
	s_branch .LBB2_4361
.LBB2_4362:
	s_trap 2
	s_sendmsg_rtn_b32 s0, sendmsg(MSG_RTN_GET_DOORBELL)
	s_mov_b32 ttmp2, m0
	s_waitcnt lgkmcnt(0)
	s_and_b32 s0, s0, 0x3ff
	s_delay_alu instid0(SALU_CYCLE_1) | instskip(NEXT) | instid1(SALU_CYCLE_1)
	s_bitset1_b32 s0, 10
	s_mov_b32 m0, s0
	s_sendmsg sendmsg(MSG_INTERRUPT)
	s_mov_b32 m0, ttmp2
.LBB2_4363:                             ; =>This Inner Loop Header: Depth=1
	s_sethalt 5
	s_branch .LBB2_4363
.LBB2_4364:
	s_trap 2
	s_sendmsg_rtn_b32 s0, sendmsg(MSG_RTN_GET_DOORBELL)
	s_mov_b32 ttmp2, m0
	s_waitcnt lgkmcnt(0)
	s_and_b32 s0, s0, 0x3ff
	s_delay_alu instid0(SALU_CYCLE_1) | instskip(NEXT) | instid1(SALU_CYCLE_1)
	s_bitset1_b32 s0, 10
	s_mov_b32 m0, s0
	s_sendmsg sendmsg(MSG_INTERRUPT)
	s_mov_b32 m0, ttmp2
.LBB2_4365:                             ; =>This Inner Loop Header: Depth=1
	s_sethalt 5
	s_branch .LBB2_4365
.LBB2_4366:
	s_trap 2
	s_sendmsg_rtn_b32 s0, sendmsg(MSG_RTN_GET_DOORBELL)
	s_mov_b32 ttmp2, m0
	s_waitcnt lgkmcnt(0)
	s_and_b32 s0, s0, 0x3ff
	s_delay_alu instid0(SALU_CYCLE_1) | instskip(NEXT) | instid1(SALU_CYCLE_1)
	s_bitset1_b32 s0, 10
	s_mov_b32 m0, s0
	s_sendmsg sendmsg(MSG_INTERRUPT)
	s_mov_b32 m0, ttmp2
.LBB2_4367:                             ; =>This Inner Loop Header: Depth=1
	s_sethalt 5
	s_branch .LBB2_4367
.LBB2_4368:
	s_trap 2
	s_sendmsg_rtn_b32 s0, sendmsg(MSG_RTN_GET_DOORBELL)
	s_mov_b32 ttmp2, m0
	s_waitcnt lgkmcnt(0)
	s_and_b32 s0, s0, 0x3ff
	s_delay_alu instid0(SALU_CYCLE_1) | instskip(NEXT) | instid1(SALU_CYCLE_1)
	s_bitset1_b32 s0, 10
	s_mov_b32 m0, s0
	s_sendmsg sendmsg(MSG_INTERRUPT)
	s_mov_b32 m0, ttmp2
.LBB2_4369:                             ; =>This Inner Loop Header: Depth=1
	s_sethalt 5
	s_branch .LBB2_4369
.LBB2_4370:
	s_trap 2
	s_sendmsg_rtn_b32 s0, sendmsg(MSG_RTN_GET_DOORBELL)
	s_mov_b32 ttmp2, m0
	s_waitcnt lgkmcnt(0)
	s_and_b32 s0, s0, 0x3ff
	s_delay_alu instid0(SALU_CYCLE_1) | instskip(NEXT) | instid1(SALU_CYCLE_1)
	s_bitset1_b32 s0, 10
	s_mov_b32 m0, s0
	s_sendmsg sendmsg(MSG_INTERRUPT)
	s_mov_b32 m0, ttmp2
.LBB2_4371:                             ; =>This Inner Loop Header: Depth=1
	s_sethalt 5
	s_branch .LBB2_4371
.LBB2_4372:
	s_trap 2
	s_sendmsg_rtn_b32 s0, sendmsg(MSG_RTN_GET_DOORBELL)
	s_mov_b32 ttmp2, m0
	s_waitcnt lgkmcnt(0)
	s_and_b32 s0, s0, 0x3ff
	s_delay_alu instid0(SALU_CYCLE_1) | instskip(NEXT) | instid1(SALU_CYCLE_1)
	s_bitset1_b32 s0, 10
	s_mov_b32 m0, s0
	s_sendmsg sendmsg(MSG_INTERRUPT)
	s_mov_b32 m0, ttmp2
.LBB2_4373:                             ; =>This Inner Loop Header: Depth=1
	s_sethalt 5
	s_branch .LBB2_4373
.LBB2_4374:
	s_trap 2
	s_sendmsg_rtn_b32 s0, sendmsg(MSG_RTN_GET_DOORBELL)
	s_mov_b32 ttmp2, m0
	s_waitcnt lgkmcnt(0)
	s_and_b32 s0, s0, 0x3ff
	s_delay_alu instid0(SALU_CYCLE_1) | instskip(NEXT) | instid1(SALU_CYCLE_1)
	s_bitset1_b32 s0, 10
	s_mov_b32 m0, s0
	s_sendmsg sendmsg(MSG_INTERRUPT)
	s_mov_b32 m0, ttmp2
.LBB2_4375:                             ; =>This Inner Loop Header: Depth=1
	s_sethalt 5
	s_branch .LBB2_4375
.LBB2_4376:
	s_trap 2
	s_sendmsg_rtn_b32 s0, sendmsg(MSG_RTN_GET_DOORBELL)
	s_mov_b32 ttmp2, m0
	s_waitcnt lgkmcnt(0)
	s_and_b32 s0, s0, 0x3ff
	s_delay_alu instid0(SALU_CYCLE_1) | instskip(NEXT) | instid1(SALU_CYCLE_1)
	s_bitset1_b32 s0, 10
	s_mov_b32 m0, s0
	s_sendmsg sendmsg(MSG_INTERRUPT)
	s_mov_b32 m0, ttmp2
.LBB2_4377:                             ; =>This Inner Loop Header: Depth=1
	s_sethalt 5
	s_branch .LBB2_4377
.LBB2_4378:                             ;   in Loop: Header=BB2_4382 Depth=1
	s_or_b32 exec_lo, exec_lo, s10
	v_mov_b32_e32 v4, 0
	s_or_not1_b32 s7, s7, exec_lo
.LBB2_4379:                             ;   in Loop: Header=BB2_4382 Depth=1
	s_or_b32 exec_lo, exec_lo, s6
	s_delay_alu instid0(VALU_DEP_1)
	v_mov_b32_e32 v0, v4
	s_and_b32 s6, s7, exec_lo
.LBB2_4380:                             ;   in Loop: Header=BB2_4382 Depth=1
	s_or_b32 exec_lo, exec_lo, s5
	s_xor_b32 s5, s6, -1
	s_and_not1_b32 s3, s3, exec_lo
	s_and_b32 s5, s5, exec_lo
	s_delay_alu instid0(SALU_CYCLE_1)
	s_or_b32 s3, s3, s5
.LBB2_4381:                             ;   in Loop: Header=BB2_4382 Depth=1
	s_or_b32 exec_lo, exec_lo, s4
	s_delay_alu instid0(SALU_CYCLE_1) | instskip(NEXT) | instid1(SALU_CYCLE_1)
	s_and_b32 s4, exec_lo, s3
	s_or_b32 s2, s4, s2
	s_delay_alu instid0(SALU_CYCLE_1)
	s_and_not1_b32 exec_lo, exec_lo, s2
	s_cbranch_execz .LBB2_4395
.LBB2_4382:                             ; =>This Inner Loop Header: Depth=1
	flat_load_b64 v[4:5], v[2:3] glc dlc
	s_waitcnt vmcnt(0)
	s_or_b32 s3, s3, exec_lo
	s_mov_b32 s4, exec_lo
	s_waitcnt lgkmcnt(0)
	v_cmpx_ne_u64_e32 -1, v[4:5]
	s_cbranch_execz .LBB2_4381
; %bb.4383:                             ;   in Loop: Header=BB2_4382 Depth=1
	v_and_b32_e32 v4, 64, v30
	s_mov_b32 s6, 0
	s_mov_b32 s5, exec_lo
	s_delay_alu instid0(VALU_DEP_1)
	v_cmpx_eq_u32_e32 0, v4
	s_cbranch_execz .LBB2_4380
; %bb.4384:                             ;   in Loop: Header=BB2_4382 Depth=1
	v_add_nc_u32_e32 v4, 1, v0
	s_mov_b32 s7, -1
	s_mov_b32 s6, exec_lo
	v_cmpx_lt_i32_e32 0x270e, v0
	s_cbranch_execz .LBB2_4379
; %bb.4385:                             ;   in Loop: Header=BB2_4382 Depth=1
	s_cbranch_execnz .LBB2_4389
; %bb.4386:                             ;   in Loop: Header=BB2_4382 Depth=1
	ds_load_b64 v[4:5], v0
	s_mov_b32 s10, exec_lo
	s_waitcnt lgkmcnt(0)
	s_waitcnt_vscnt null, 0x0
	flat_load_b32 v0, v[4:5] glc
	s_waitcnt vmcnt(0) lgkmcnt(0)
	buffer_gl1_inv
	buffer_gl0_inv
	v_cmpx_ne_u32_e32 0, v0
	s_cbranch_execz .LBB2_4378
; %bb.4387:                             ;   in Loop: Header=BB2_4382 Depth=1
	ds_store_b32 v0, v0
	s_cbranch_execnz .LBB2_4413
; %bb.4388:                             ;   in Loop: Header=BB2_4382 Depth=1
	v_or_b32_e32 v30, 64, v30
	s_xor_b32 s7, exec_lo, -1
	s_branch .LBB2_4378
.LBB2_4389:
	s_trap 2
	s_sendmsg_rtn_b32 s0, sendmsg(MSG_RTN_GET_DOORBELL)
	s_mov_b32 ttmp2, m0
	s_waitcnt lgkmcnt(0)
	s_and_b32 s0, s0, 0x3ff
	s_delay_alu instid0(SALU_CYCLE_1) | instskip(NEXT) | instid1(SALU_CYCLE_1)
	s_bitset1_b32 s0, 10
	s_mov_b32 m0, s0
	s_sendmsg sendmsg(MSG_INTERRUPT)
	s_mov_b32 m0, ttmp2
.LBB2_4390:                             ; =>This Inner Loop Header: Depth=1
	s_sethalt 5
	s_branch .LBB2_4390
.LBB2_4391:
	s_trap 2
	s_sendmsg_rtn_b32 s0, sendmsg(MSG_RTN_GET_DOORBELL)
	s_mov_b32 ttmp2, m0
	s_waitcnt lgkmcnt(0)
	s_and_b32 s0, s0, 0x3ff
	s_delay_alu instid0(SALU_CYCLE_1) | instskip(NEXT) | instid1(SALU_CYCLE_1)
	s_bitset1_b32 s0, 10
	s_mov_b32 m0, s0
	s_sendmsg sendmsg(MSG_INTERRUPT)
	s_mov_b32 m0, ttmp2
.LBB2_4392:                             ; =>This Inner Loop Header: Depth=1
	s_sethalt 5
	s_branch .LBB2_4392
.LBB2_4393:
	s_trap 2
	s_sendmsg_rtn_b32 s0, sendmsg(MSG_RTN_GET_DOORBELL)
	s_mov_b32 ttmp2, m0
	s_waitcnt lgkmcnt(0)
	s_and_b32 s0, s0, 0x3ff
	s_delay_alu instid0(SALU_CYCLE_1) | instskip(NEXT) | instid1(SALU_CYCLE_1)
	s_bitset1_b32 s0, 10
	s_mov_b32 m0, s0
	s_sendmsg sendmsg(MSG_INTERRUPT)
	s_mov_b32 m0, ttmp2
.LBB2_4394:                             ; =>This Inner Loop Header: Depth=1
	s_sethalt 5
	s_branch .LBB2_4394
.LBB2_4395:
	s_or_b32 exec_lo, exec_lo, s2
.LBB2_4396:
	s_delay_alu instid0(SALU_CYCLE_1) | instskip(SKIP_2) | instid1(VALU_DEP_1)
	s_or_b32 exec_lo, exec_lo, s1
	v_and_b32_e32 v0, 0x2000, v30
	s_mov_b32 s1, exec_lo
	v_cmpx_ne_u32_e32 0, v0
	s_cbranch_execz .LBB2_4399
; %bb.4397:
	s_cbranch_execnz .LBB2_4407
; %bb.4398:
	ds_load_b64 v[2:3], v0
	s_waitcnt lgkmcnt(0)
	flat_store_b64 v[18:19], v[2:3] offset:16
.LBB2_4399:
	s_or_b32 exec_lo, exec_lo, s1
	v_cmp_ne_u32_e32 vcc_lo, 32, v1
	s_and_b32 exec_lo, exec_lo, vcc_lo
	s_cbranch_execz .LBB2_4598
; %bb.4400:
	s_mov_b32 s1, exec_lo
	v_cmpx_ne_u32_e64 v81, v1
	s_xor_b32 s1, exec_lo, s1
	s_cbranch_execz .LBB2_4596
; %bb.4401:
	v_and_b32_e32 v0, 31, v31
	s_mov_b32 s2, exec_lo
	s_delay_alu instid0(VALU_DEP_1)
	v_cmpx_eq_u32_e32 0, v0
	s_cbranch_execz .LBB2_4595
; %bb.4402:
	s_mov_b32 s4, exec_lo
	s_mov_b32 s3, exec_lo
	v_mbcnt_lo_u32_b32 v0, s4, 0
	s_waitcnt lgkmcnt(0)
	s_waitcnt_vscnt null, 0x0
	buffer_gl1_inv
	buffer_gl0_inv
	v_cmpx_eq_u32_e32 0, v0
	s_cbranch_execz .LBB2_4404
; %bb.4403:
	s_bcnt1_i32_b32 s4, s4
	s_delay_alu instid0(SALU_CYCLE_1)
	v_dual_mov_b32 v3, 0 :: v_dual_mov_b32 v2, s4
	ds_add_u64 v0, v[2:3]
	s_cbranch_execnz .LBB2_4442
.LBB2_4404:
	s_or_b32 exec_lo, exec_lo, s3
	s_cbranch_execnz .LBB2_4421
; %bb.4405:
	v_ashrrev_i32_e32 v0, 31, v1
	s_mov_b32 s3, exec_lo
	s_delay_alu instid0(VALU_DEP_1) | instskip(NEXT) | instid1(VALU_DEP_1)
	v_lshrrev_b32_e32 v0, 27, v0
	v_add_nc_u32_e32 v0, v1, v0
	ds_load_b64 v[2:3], v0
	v_ashrrev_i32_e32 v0, 5, v0
	s_delay_alu instid0(VALU_DEP_1) | instskip(SKIP_1) | instid1(VALU_DEP_2)
	v_ashrrev_i32_e32 v1, 31, v0
	v_add_co_u32 v0, vcc_lo, v32, v0
	v_add_co_ci_u32_e32 v1, vcc_lo, v33, v1, vcc_lo
	s_waitcnt lgkmcnt(0)
	s_delay_alu instid0(VALU_DEP_1)
	v_cmpx_lt_u64_e64 v[2:3], v[0:1]
	s_cbranch_execz .LBB2_4594
; %bb.4406:
	s_mov_b32 s4, 0
	s_mov_b32 s7, 0
                                        ; implicit-def: $sgpr5
                                        ; implicit-def: $sgpr6
	s_branch .LBB2_4428
.LBB2_4407:
	s_trap 2
	s_sendmsg_rtn_b32 s0, sendmsg(MSG_RTN_GET_DOORBELL)
	s_mov_b32 ttmp2, m0
	s_waitcnt lgkmcnt(0)
	s_and_b32 s0, s0, 0x3ff
	s_delay_alu instid0(SALU_CYCLE_1) | instskip(NEXT) | instid1(SALU_CYCLE_1)
	s_bitset1_b32 s0, 10
	s_mov_b32 m0, s0
	s_sendmsg sendmsg(MSG_INTERRUPT)
	s_mov_b32 m0, ttmp2
.LBB2_4408:                             ; =>This Inner Loop Header: Depth=1
	s_sethalt 5
	s_branch .LBB2_4408
.LBB2_4409:
	s_trap 2
	s_sendmsg_rtn_b32 s0, sendmsg(MSG_RTN_GET_DOORBELL)
	s_mov_b32 ttmp2, m0
	s_waitcnt lgkmcnt(0)
	s_and_b32 s0, s0, 0x3ff
	s_delay_alu instid0(SALU_CYCLE_1) | instskip(NEXT) | instid1(SALU_CYCLE_1)
	s_bitset1_b32 s0, 10
	s_mov_b32 m0, s0
	s_sendmsg sendmsg(MSG_INTERRUPT)
	s_mov_b32 m0, ttmp2
.LBB2_4410:                             ; =>This Inner Loop Header: Depth=1
	s_sethalt 5
	s_branch .LBB2_4410
.LBB2_4411:
	s_trap 2
	s_sendmsg_rtn_b32 s0, sendmsg(MSG_RTN_GET_DOORBELL)
	s_mov_b32 ttmp2, m0
	s_waitcnt lgkmcnt(0)
	s_and_b32 s0, s0, 0x3ff
	s_delay_alu instid0(SALU_CYCLE_1) | instskip(NEXT) | instid1(SALU_CYCLE_1)
	s_bitset1_b32 s0, 10
	s_mov_b32 m0, s0
	s_sendmsg sendmsg(MSG_INTERRUPT)
	s_mov_b32 m0, ttmp2
.LBB2_4412:                             ; =>This Inner Loop Header: Depth=1
	s_sethalt 5
	s_branch .LBB2_4412
.LBB2_4413:
	s_trap 2
	s_sendmsg_rtn_b32 s0, sendmsg(MSG_RTN_GET_DOORBELL)
	s_mov_b32 ttmp2, m0
	s_waitcnt lgkmcnt(0)
	s_and_b32 s0, s0, 0x3ff
	s_delay_alu instid0(SALU_CYCLE_1) | instskip(NEXT) | instid1(SALU_CYCLE_1)
	s_bitset1_b32 s0, 10
	s_mov_b32 m0, s0
	s_sendmsg sendmsg(MSG_INTERRUPT)
	s_mov_b32 m0, ttmp2
.LBB2_4414:                             ; =>This Inner Loop Header: Depth=1
	s_sethalt 5
	s_branch .LBB2_4414
.LBB2_4415:
	s_trap 2
	s_sendmsg_rtn_b32 s0, sendmsg(MSG_RTN_GET_DOORBELL)
	s_mov_b32 ttmp2, m0
	s_waitcnt lgkmcnt(0)
	s_and_b32 s0, s0, 0x3ff
	s_delay_alu instid0(SALU_CYCLE_1) | instskip(NEXT) | instid1(SALU_CYCLE_1)
	s_bitset1_b32 s0, 10
	s_mov_b32 m0, s0
	s_sendmsg sendmsg(MSG_INTERRUPT)
	s_mov_b32 m0, ttmp2
.LBB2_4416:                             ; =>This Inner Loop Header: Depth=1
	s_sethalt 5
	s_branch .LBB2_4416
.LBB2_4417:
	s_trap 2
	s_sendmsg_rtn_b32 s0, sendmsg(MSG_RTN_GET_DOORBELL)
	s_mov_b32 ttmp2, m0
	s_waitcnt lgkmcnt(0)
	s_and_b32 s0, s0, 0x3ff
	s_delay_alu instid0(SALU_CYCLE_1) | instskip(NEXT) | instid1(SALU_CYCLE_1)
	s_bitset1_b32 s0, 10
	s_mov_b32 m0, s0
	s_sendmsg sendmsg(MSG_INTERRUPT)
	s_mov_b32 m0, ttmp2
.LBB2_4418:                             ; =>This Inner Loop Header: Depth=1
	s_sethalt 5
	s_branch .LBB2_4418
.LBB2_4419:
	s_trap 2
	s_sendmsg_rtn_b32 s0, sendmsg(MSG_RTN_GET_DOORBELL)
	s_mov_b32 ttmp2, m0
	s_waitcnt lgkmcnt(0)
	s_and_b32 s0, s0, 0x3ff
	s_delay_alu instid0(SALU_CYCLE_1) | instskip(NEXT) | instid1(SALU_CYCLE_1)
	s_bitset1_b32 s0, 10
	s_mov_b32 m0, s0
	s_sendmsg sendmsg(MSG_INTERRUPT)
	s_mov_b32 m0, ttmp2
.LBB2_4420:                             ; =>This Inner Loop Header: Depth=1
	s_sethalt 5
	s_branch .LBB2_4420
.LBB2_4421:
	s_trap 2
	s_sendmsg_rtn_b32 s0, sendmsg(MSG_RTN_GET_DOORBELL)
	s_mov_b32 ttmp2, m0
	s_waitcnt lgkmcnt(0)
	s_and_b32 s0, s0, 0x3ff
	s_delay_alu instid0(SALU_CYCLE_1) | instskip(NEXT) | instid1(SALU_CYCLE_1)
	s_bitset1_b32 s0, 10
	s_mov_b32 m0, s0
	s_sendmsg sendmsg(MSG_INTERRUPT)
	s_mov_b32 m0, ttmp2
.LBB2_4422:                             ; =>This Inner Loop Header: Depth=1
	s_sethalt 5
	s_branch .LBB2_4422
.LBB2_4423:
	s_trap 2
	s_sendmsg_rtn_b32 s0, sendmsg(MSG_RTN_GET_DOORBELL)
	s_mov_b32 ttmp2, m0
	s_waitcnt lgkmcnt(0)
	s_and_b32 s0, s0, 0x3ff
	s_delay_alu instid0(SALU_CYCLE_1) | instskip(NEXT) | instid1(SALU_CYCLE_1)
	s_bitset1_b32 s0, 10
	s_mov_b32 m0, s0
	s_sendmsg sendmsg(MSG_INTERRUPT)
	s_mov_b32 m0, ttmp2
.LBB2_4424:                             ; =>This Inner Loop Header: Depth=1
	s_sethalt 5
	s_branch .LBB2_4424
.LBB2_4425:
	s_trap 2
	s_sendmsg_rtn_b32 s0, sendmsg(MSG_RTN_GET_DOORBELL)
	s_mov_b32 ttmp2, m0
	s_waitcnt lgkmcnt(0)
	s_and_b32 s0, s0, 0x3ff
	s_delay_alu instid0(SALU_CYCLE_1) | instskip(NEXT) | instid1(SALU_CYCLE_1)
	s_bitset1_b32 s0, 10
	s_mov_b32 m0, s0
	s_sendmsg sendmsg(MSG_INTERRUPT)
	s_mov_b32 m0, ttmp2
.LBB2_4426:                             ; =>This Inner Loop Header: Depth=1
	s_sethalt 5
	s_branch .LBB2_4426
.LBB2_4427:                             ;   in Loop: Header=BB2_4428 Depth=1
	s_or_b32 exec_lo, exec_lo, s12
	s_delay_alu instid0(SALU_CYCLE_1) | instskip(NEXT) | instid1(SALU_CYCLE_1)
	s_and_b32 s10, exec_lo, s11
	s_or_b32 s4, s10, s4
	s_and_not1_b32 s5, s5, exec_lo
	s_and_b32 s10, s6, exec_lo
	s_delay_alu instid0(SALU_CYCLE_1)
	s_or_b32 s5, s5, s10
	s_and_not1_b32 exec_lo, exec_lo, s4
	s_cbranch_execz .LBB2_4592
.LBB2_4428:                             ; =>This Inner Loop Header: Depth=1
	s_add_i32 s7, s7, 1
                                        ; implicit-def: $sgpr11
	s_delay_alu instid0(SALU_CYCLE_1) | instskip(SKIP_1) | instid1(SALU_CYCLE_1)
	s_cmpk_lg_i32 s7, 0x2710
	s_cselect_b32 s10, -1, 0
	s_and_b32 vcc_lo, exec_lo, s10
	s_cbranch_vccz .LBB2_4432
.LBB2_4429:                             ;   in Loop: Header=BB2_4428 Depth=1
	s_and_not1_b32 s6, s6, exec_lo
	s_and_b32 s12, s11, exec_lo
	s_mov_b32 s11, -1
	s_or_b32 s6, s6, s12
	s_and_saveexec_b32 s12, s10
	s_cbranch_execz .LBB2_4427
; %bb.4430:                             ;   in Loop: Header=BB2_4428 Depth=1
	s_sleep 1
	s_cbranch_execnz .LBB2_4480
; %bb.4431:                             ;   in Loop: Header=BB2_4428 Depth=1
	ds_load_b64 v[2:3], v0
	s_and_not1_b32 s6, s6, exec_lo
	s_waitcnt lgkmcnt(0)
	v_cmp_ge_u64_e32 vcc_lo, v[2:3], v[0:1]
	s_or_not1_b32 s11, vcc_lo, exec_lo
	s_branch .LBB2_4427
.LBB2_4432:                             ;   in Loop: Header=BB2_4428 Depth=1
	s_cbranch_execnz .LBB2_4482
; %bb.4433:                             ;   in Loop: Header=BB2_4428 Depth=1
	ds_load_b64 v[2:3], v0
	s_and_not1_b32 s10, s10, exec_lo
	s_mov_b32 s7, 0
	s_mov_b32 s11, -1
	s_waitcnt lgkmcnt(0)
	flat_load_b32 v2, v[2:3] glc
	s_waitcnt vmcnt(0) lgkmcnt(0)
	buffer_gl1_inv
	buffer_gl0_inv
	v_cmp_eq_u32_e32 vcc_lo, 0, v2
	s_and_b32 s12, vcc_lo, exec_lo
	s_delay_alu instid0(SALU_CYCLE_1)
	s_or_b32 s10, s10, s12
	s_branch .LBB2_4429
.LBB2_4434:
	s_trap 2
	s_sendmsg_rtn_b32 s0, sendmsg(MSG_RTN_GET_DOORBELL)
	s_mov_b32 ttmp2, m0
	s_waitcnt lgkmcnt(0)
	s_and_b32 s0, s0, 0x3ff
	s_delay_alu instid0(SALU_CYCLE_1) | instskip(NEXT) | instid1(SALU_CYCLE_1)
	s_bitset1_b32 s0, 10
	s_mov_b32 m0, s0
	s_sendmsg sendmsg(MSG_INTERRUPT)
	s_mov_b32 m0, ttmp2
.LBB2_4435:                             ; =>This Inner Loop Header: Depth=1
	s_sethalt 5
	s_branch .LBB2_4435
.LBB2_4436:
	s_trap 2
	s_sendmsg_rtn_b32 s0, sendmsg(MSG_RTN_GET_DOORBELL)
	s_mov_b32 ttmp2, m0
	s_waitcnt lgkmcnt(0)
	s_and_b32 s0, s0, 0x3ff
	s_delay_alu instid0(SALU_CYCLE_1) | instskip(NEXT) | instid1(SALU_CYCLE_1)
	s_bitset1_b32 s0, 10
	s_mov_b32 m0, s0
	s_sendmsg sendmsg(MSG_INTERRUPT)
	s_mov_b32 m0, ttmp2
.LBB2_4437:                             ; =>This Inner Loop Header: Depth=1
	s_sethalt 5
	s_branch .LBB2_4437
.LBB2_4438:
	s_trap 2
	s_sendmsg_rtn_b32 s0, sendmsg(MSG_RTN_GET_DOORBELL)
	s_mov_b32 ttmp2, m0
	s_waitcnt lgkmcnt(0)
	s_and_b32 s0, s0, 0x3ff
	s_delay_alu instid0(SALU_CYCLE_1) | instskip(NEXT) | instid1(SALU_CYCLE_1)
	s_bitset1_b32 s0, 10
	s_mov_b32 m0, s0
	s_sendmsg sendmsg(MSG_INTERRUPT)
	s_mov_b32 m0, ttmp2
.LBB2_4439:                             ; =>This Inner Loop Header: Depth=1
	s_sethalt 5
	s_branch .LBB2_4439
.LBB2_4440:
	s_trap 2
	s_sendmsg_rtn_b32 s0, sendmsg(MSG_RTN_GET_DOORBELL)
	s_mov_b32 ttmp2, m0
	s_waitcnt lgkmcnt(0)
	s_and_b32 s0, s0, 0x3ff
	s_delay_alu instid0(SALU_CYCLE_1) | instskip(NEXT) | instid1(SALU_CYCLE_1)
	s_bitset1_b32 s0, 10
	s_mov_b32 m0, s0
	s_sendmsg sendmsg(MSG_INTERRUPT)
	s_mov_b32 m0, ttmp2
.LBB2_4441:                             ; =>This Inner Loop Header: Depth=1
	s_sethalt 5
	s_branch .LBB2_4441
.LBB2_4442:
	s_trap 2
	s_sendmsg_rtn_b32 s0, sendmsg(MSG_RTN_GET_DOORBELL)
	s_mov_b32 ttmp2, m0
	s_waitcnt lgkmcnt(0)
	s_and_b32 s0, s0, 0x3ff
	s_delay_alu instid0(SALU_CYCLE_1) | instskip(NEXT) | instid1(SALU_CYCLE_1)
	s_bitset1_b32 s0, 10
	s_mov_b32 m0, s0
	s_sendmsg sendmsg(MSG_INTERRUPT)
	s_mov_b32 m0, ttmp2
.LBB2_4443:                             ; =>This Inner Loop Header: Depth=1
	s_sethalt 5
	s_branch .LBB2_4443
.LBB2_4444:
	s_trap 2
	s_sendmsg_rtn_b32 s0, sendmsg(MSG_RTN_GET_DOORBELL)
	s_mov_b32 ttmp2, m0
	s_waitcnt lgkmcnt(0)
	s_and_b32 s0, s0, 0x3ff
	s_delay_alu instid0(SALU_CYCLE_1) | instskip(NEXT) | instid1(SALU_CYCLE_1)
	s_bitset1_b32 s0, 10
	s_mov_b32 m0, s0
	s_sendmsg sendmsg(MSG_INTERRUPT)
	s_mov_b32 m0, ttmp2
.LBB2_4445:                             ; =>This Inner Loop Header: Depth=1
	s_sethalt 5
	s_branch .LBB2_4445
.LBB2_4446:
	s_trap 2
	s_sendmsg_rtn_b32 s0, sendmsg(MSG_RTN_GET_DOORBELL)
	s_mov_b32 ttmp2, m0
	s_waitcnt lgkmcnt(0)
	s_and_b32 s0, s0, 0x3ff
	s_delay_alu instid0(SALU_CYCLE_1) | instskip(NEXT) | instid1(SALU_CYCLE_1)
	s_bitset1_b32 s0, 10
	s_mov_b32 m0, s0
	s_sendmsg sendmsg(MSG_INTERRUPT)
	s_mov_b32 m0, ttmp2
.LBB2_4447:                             ; =>This Inner Loop Header: Depth=1
	s_sethalt 5
	s_branch .LBB2_4447
.LBB2_4448:
	s_trap 2
	s_sendmsg_rtn_b32 s0, sendmsg(MSG_RTN_GET_DOORBELL)
	s_mov_b32 ttmp2, m0
	s_waitcnt lgkmcnt(0)
	s_and_b32 s0, s0, 0x3ff
	s_delay_alu instid0(SALU_CYCLE_1) | instskip(NEXT) | instid1(SALU_CYCLE_1)
	s_bitset1_b32 s0, 10
	s_mov_b32 m0, s0
	s_sendmsg sendmsg(MSG_INTERRUPT)
	s_mov_b32 m0, ttmp2
.LBB2_4449:                             ; =>This Inner Loop Header: Depth=1
	s_sethalt 5
	s_branch .LBB2_4449
.LBB2_4450:
	s_trap 2
	s_sendmsg_rtn_b32 s0, sendmsg(MSG_RTN_GET_DOORBELL)
	s_mov_b32 ttmp2, m0
	s_waitcnt lgkmcnt(0)
	s_and_b32 s0, s0, 0x3ff
	s_delay_alu instid0(SALU_CYCLE_1) | instskip(NEXT) | instid1(SALU_CYCLE_1)
	s_bitset1_b32 s0, 10
	s_mov_b32 m0, s0
	s_sendmsg sendmsg(MSG_INTERRUPT)
	s_mov_b32 m0, ttmp2
.LBB2_4451:                             ; =>This Inner Loop Header: Depth=1
	s_sethalt 5
	s_branch .LBB2_4451
.LBB2_4452:
	s_trap 2
	s_sendmsg_rtn_b32 s0, sendmsg(MSG_RTN_GET_DOORBELL)
	s_mov_b32 ttmp2, m0
	s_waitcnt lgkmcnt(0)
	s_and_b32 s0, s0, 0x3ff
	s_delay_alu instid0(SALU_CYCLE_1) | instskip(NEXT) | instid1(SALU_CYCLE_1)
	s_bitset1_b32 s0, 10
	s_mov_b32 m0, s0
	s_sendmsg sendmsg(MSG_INTERRUPT)
	s_mov_b32 m0, ttmp2
.LBB2_4453:                             ; =>This Inner Loop Header: Depth=1
	s_sethalt 5
	s_branch .LBB2_4453
.LBB2_4454:
	s_trap 2
	s_sendmsg_rtn_b32 s0, sendmsg(MSG_RTN_GET_DOORBELL)
	s_mov_b32 ttmp2, m0
	s_waitcnt lgkmcnt(0)
	s_and_b32 s0, s0, 0x3ff
	s_delay_alu instid0(SALU_CYCLE_1) | instskip(NEXT) | instid1(SALU_CYCLE_1)
	s_bitset1_b32 s0, 10
	s_mov_b32 m0, s0
	s_sendmsg sendmsg(MSG_INTERRUPT)
	s_mov_b32 m0, ttmp2
.LBB2_4455:                             ; =>This Inner Loop Header: Depth=1
	s_sethalt 5
	s_branch .LBB2_4455
.LBB2_4456:
	s_trap 2
	s_sendmsg_rtn_b32 s0, sendmsg(MSG_RTN_GET_DOORBELL)
	s_mov_b32 ttmp2, m0
	s_waitcnt lgkmcnt(0)
	s_and_b32 s0, s0, 0x3ff
	s_delay_alu instid0(SALU_CYCLE_1) | instskip(NEXT) | instid1(SALU_CYCLE_1)
	s_bitset1_b32 s0, 10
	s_mov_b32 m0, s0
	s_sendmsg sendmsg(MSG_INTERRUPT)
	s_mov_b32 m0, ttmp2
.LBB2_4457:                             ; =>This Inner Loop Header: Depth=1
	s_sethalt 5
	s_branch .LBB2_4457
.LBB2_4458:
	s_trap 2
	s_sendmsg_rtn_b32 s0, sendmsg(MSG_RTN_GET_DOORBELL)
	s_mov_b32 ttmp2, m0
	s_waitcnt lgkmcnt(0)
	s_and_b32 s0, s0, 0x3ff
	s_delay_alu instid0(SALU_CYCLE_1) | instskip(NEXT) | instid1(SALU_CYCLE_1)
	s_bitset1_b32 s0, 10
	s_mov_b32 m0, s0
	s_sendmsg sendmsg(MSG_INTERRUPT)
	s_mov_b32 m0, ttmp2
.LBB2_4459:                             ; =>This Inner Loop Header: Depth=1
	s_sethalt 5
	s_branch .LBB2_4459
.LBB2_4460:
	s_trap 2
	s_sendmsg_rtn_b32 s0, sendmsg(MSG_RTN_GET_DOORBELL)
	s_mov_b32 ttmp2, m0
	s_waitcnt lgkmcnt(0)
	s_and_b32 s0, s0, 0x3ff
	s_delay_alu instid0(SALU_CYCLE_1) | instskip(NEXT) | instid1(SALU_CYCLE_1)
	s_bitset1_b32 s0, 10
	s_mov_b32 m0, s0
	s_sendmsg sendmsg(MSG_INTERRUPT)
	s_mov_b32 m0, ttmp2
.LBB2_4461:                             ; =>This Inner Loop Header: Depth=1
	s_sethalt 5
	s_branch .LBB2_4461
.LBB2_4462:
	s_trap 2
	s_sendmsg_rtn_b32 s0, sendmsg(MSG_RTN_GET_DOORBELL)
	s_mov_b32 ttmp2, m0
	s_waitcnt lgkmcnt(0)
	s_and_b32 s0, s0, 0x3ff
	s_delay_alu instid0(SALU_CYCLE_1) | instskip(NEXT) | instid1(SALU_CYCLE_1)
	s_bitset1_b32 s0, 10
	s_mov_b32 m0, s0
	s_sendmsg sendmsg(MSG_INTERRUPT)
	s_mov_b32 m0, ttmp2
.LBB2_4463:                             ; =>This Inner Loop Header: Depth=1
	s_sethalt 5
	s_branch .LBB2_4463
.LBB2_4464:
	s_trap 2
	s_sendmsg_rtn_b32 s0, sendmsg(MSG_RTN_GET_DOORBELL)
	s_mov_b32 ttmp2, m0
	s_waitcnt lgkmcnt(0)
	s_and_b32 s0, s0, 0x3ff
	s_delay_alu instid0(SALU_CYCLE_1) | instskip(NEXT) | instid1(SALU_CYCLE_1)
	s_bitset1_b32 s0, 10
	s_mov_b32 m0, s0
	s_sendmsg sendmsg(MSG_INTERRUPT)
	s_mov_b32 m0, ttmp2
.LBB2_4465:                             ; =>This Inner Loop Header: Depth=1
	s_sethalt 5
	s_branch .LBB2_4465
.LBB2_4466:
	s_trap 2
	s_sendmsg_rtn_b32 s0, sendmsg(MSG_RTN_GET_DOORBELL)
	s_mov_b32 ttmp2, m0
	s_waitcnt lgkmcnt(0)
	s_and_b32 s0, s0, 0x3ff
	s_delay_alu instid0(SALU_CYCLE_1) | instskip(NEXT) | instid1(SALU_CYCLE_1)
	s_bitset1_b32 s0, 10
	s_mov_b32 m0, s0
	s_sendmsg sendmsg(MSG_INTERRUPT)
	s_mov_b32 m0, ttmp2
.LBB2_4467:                             ; =>This Inner Loop Header: Depth=1
	s_sethalt 5
	s_branch .LBB2_4467
.LBB2_4468:
	s_trap 2
	s_sendmsg_rtn_b32 s0, sendmsg(MSG_RTN_GET_DOORBELL)
	s_mov_b32 ttmp2, m0
	s_waitcnt lgkmcnt(0)
	s_and_b32 s0, s0, 0x3ff
	s_delay_alu instid0(SALU_CYCLE_1) | instskip(NEXT) | instid1(SALU_CYCLE_1)
	s_bitset1_b32 s0, 10
	s_mov_b32 m0, s0
	s_sendmsg sendmsg(MSG_INTERRUPT)
	s_mov_b32 m0, ttmp2
.LBB2_4469:                             ; =>This Inner Loop Header: Depth=1
	s_sethalt 5
	s_branch .LBB2_4469
.LBB2_4470:
	s_trap 2
	s_sendmsg_rtn_b32 s0, sendmsg(MSG_RTN_GET_DOORBELL)
	s_mov_b32 ttmp2, m0
	s_waitcnt lgkmcnt(0)
	s_and_b32 s0, s0, 0x3ff
	s_delay_alu instid0(SALU_CYCLE_1) | instskip(NEXT) | instid1(SALU_CYCLE_1)
	s_bitset1_b32 s0, 10
	s_mov_b32 m0, s0
	s_sendmsg sendmsg(MSG_INTERRUPT)
	s_mov_b32 m0, ttmp2
.LBB2_4471:                             ; =>This Inner Loop Header: Depth=1
	s_sethalt 5
	s_branch .LBB2_4471
.LBB2_4472:
	s_trap 2
	s_sendmsg_rtn_b32 s0, sendmsg(MSG_RTN_GET_DOORBELL)
	s_mov_b32 ttmp2, m0
	s_waitcnt lgkmcnt(0)
	s_and_b32 s0, s0, 0x3ff
	s_delay_alu instid0(SALU_CYCLE_1) | instskip(NEXT) | instid1(SALU_CYCLE_1)
	s_bitset1_b32 s0, 10
	s_mov_b32 m0, s0
	s_sendmsg sendmsg(MSG_INTERRUPT)
	s_mov_b32 m0, ttmp2
.LBB2_4473:                             ; =>This Inner Loop Header: Depth=1
	s_sethalt 5
	s_branch .LBB2_4473
.LBB2_4474:
	s_trap 2
	s_sendmsg_rtn_b32 s0, sendmsg(MSG_RTN_GET_DOORBELL)
	s_mov_b32 ttmp2, m0
	s_waitcnt lgkmcnt(0)
	s_and_b32 s0, s0, 0x3ff
	s_delay_alu instid0(SALU_CYCLE_1) | instskip(NEXT) | instid1(SALU_CYCLE_1)
	s_bitset1_b32 s0, 10
	s_mov_b32 m0, s0
	s_sendmsg sendmsg(MSG_INTERRUPT)
	s_mov_b32 m0, ttmp2
.LBB2_4475:                             ; =>This Inner Loop Header: Depth=1
	s_sethalt 5
	s_branch .LBB2_4475
.LBB2_4476:
	s_trap 2
	s_sendmsg_rtn_b32 s0, sendmsg(MSG_RTN_GET_DOORBELL)
	s_mov_b32 ttmp2, m0
	s_waitcnt lgkmcnt(0)
	s_and_b32 s0, s0, 0x3ff
	s_delay_alu instid0(SALU_CYCLE_1) | instskip(NEXT) | instid1(SALU_CYCLE_1)
	s_bitset1_b32 s0, 10
	s_mov_b32 m0, s0
	s_sendmsg sendmsg(MSG_INTERRUPT)
	s_mov_b32 m0, ttmp2
.LBB2_4477:                             ; =>This Inner Loop Header: Depth=1
	s_sethalt 5
	s_branch .LBB2_4477
.LBB2_4478:
	s_trap 2
	s_sendmsg_rtn_b32 s0, sendmsg(MSG_RTN_GET_DOORBELL)
	s_mov_b32 ttmp2, m0
	s_waitcnt lgkmcnt(0)
	s_and_b32 s0, s0, 0x3ff
	s_delay_alu instid0(SALU_CYCLE_1) | instskip(NEXT) | instid1(SALU_CYCLE_1)
	s_bitset1_b32 s0, 10
	s_mov_b32 m0, s0
	s_sendmsg sendmsg(MSG_INTERRUPT)
	s_mov_b32 m0, ttmp2
.LBB2_4479:                             ; =>This Inner Loop Header: Depth=1
	s_sethalt 5
	s_branch .LBB2_4479
.LBB2_4480:
	s_trap 2
	s_sendmsg_rtn_b32 s0, sendmsg(MSG_RTN_GET_DOORBELL)
	s_mov_b32 ttmp2, m0
	s_waitcnt lgkmcnt(0)
	s_and_b32 s0, s0, 0x3ff
	s_delay_alu instid0(SALU_CYCLE_1) | instskip(NEXT) | instid1(SALU_CYCLE_1)
	s_bitset1_b32 s0, 10
	s_mov_b32 m0, s0
	s_sendmsg sendmsg(MSG_INTERRUPT)
	s_mov_b32 m0, ttmp2
.LBB2_4481:                             ; =>This Inner Loop Header: Depth=1
	s_sethalt 5
	s_branch .LBB2_4481
.LBB2_4482:
	s_trap 2
	s_sendmsg_rtn_b32 s0, sendmsg(MSG_RTN_GET_DOORBELL)
	s_mov_b32 ttmp2, m0
	s_waitcnt lgkmcnt(0)
	s_and_b32 s0, s0, 0x3ff
	s_delay_alu instid0(SALU_CYCLE_1) | instskip(NEXT) | instid1(SALU_CYCLE_1)
	s_bitset1_b32 s0, 10
	s_mov_b32 m0, s0
	s_sendmsg sendmsg(MSG_INTERRUPT)
	s_mov_b32 m0, ttmp2
.LBB2_4483:                             ; =>This Inner Loop Header: Depth=1
	s_sethalt 5
	s_branch .LBB2_4483
.LBB2_4484:
	s_trap 2
	s_sendmsg_rtn_b32 s0, sendmsg(MSG_RTN_GET_DOORBELL)
	s_mov_b32 ttmp2, m0
	s_waitcnt lgkmcnt(0)
	s_and_b32 s0, s0, 0x3ff
	s_delay_alu instid0(SALU_CYCLE_1) | instskip(NEXT) | instid1(SALU_CYCLE_1)
	s_bitset1_b32 s0, 10
	s_mov_b32 m0, s0
	s_sendmsg sendmsg(MSG_INTERRUPT)
	s_mov_b32 m0, ttmp2
.LBB2_4485:                             ; =>This Inner Loop Header: Depth=1
	s_sethalt 5
	s_branch .LBB2_4485
.LBB2_4486:
	s_trap 2
	s_sendmsg_rtn_b32 s0, sendmsg(MSG_RTN_GET_DOORBELL)
	s_mov_b32 ttmp2, m0
	s_waitcnt lgkmcnt(0)
	s_and_b32 s0, s0, 0x3ff
	s_delay_alu instid0(SALU_CYCLE_1) | instskip(NEXT) | instid1(SALU_CYCLE_1)
	s_bitset1_b32 s0, 10
	s_mov_b32 m0, s0
	s_sendmsg sendmsg(MSG_INTERRUPT)
	s_mov_b32 m0, ttmp2
.LBB2_4487:                             ; =>This Inner Loop Header: Depth=1
	s_sethalt 5
	s_branch .LBB2_4487
.LBB2_4488:
	s_trap 2
	s_sendmsg_rtn_b32 s0, sendmsg(MSG_RTN_GET_DOORBELL)
	s_mov_b32 ttmp2, m0
	s_waitcnt lgkmcnt(0)
	s_and_b32 s0, s0, 0x3ff
	s_delay_alu instid0(SALU_CYCLE_1) | instskip(NEXT) | instid1(SALU_CYCLE_1)
	s_bitset1_b32 s0, 10
	s_mov_b32 m0, s0
	s_sendmsg sendmsg(MSG_INTERRUPT)
	s_mov_b32 m0, ttmp2
.LBB2_4489:                             ; =>This Inner Loop Header: Depth=1
	s_sethalt 5
	s_branch .LBB2_4489
.LBB2_4490:
	s_trap 2
	s_sendmsg_rtn_b32 s0, sendmsg(MSG_RTN_GET_DOORBELL)
	s_mov_b32 ttmp2, m0
	s_waitcnt lgkmcnt(0)
	s_and_b32 s0, s0, 0x3ff
	s_delay_alu instid0(SALU_CYCLE_1) | instskip(NEXT) | instid1(SALU_CYCLE_1)
	s_bitset1_b32 s0, 10
	s_mov_b32 m0, s0
	s_sendmsg sendmsg(MSG_INTERRUPT)
	s_mov_b32 m0, ttmp2
.LBB2_4491:                             ; =>This Inner Loop Header: Depth=1
	s_sethalt 5
	s_branch .LBB2_4491
.LBB2_4492:
	s_trap 2
	s_sendmsg_rtn_b32 s0, sendmsg(MSG_RTN_GET_DOORBELL)
	s_mov_b32 ttmp2, m0
	s_waitcnt lgkmcnt(0)
	s_and_b32 s0, s0, 0x3ff
	s_delay_alu instid0(SALU_CYCLE_1) | instskip(NEXT) | instid1(SALU_CYCLE_1)
	s_bitset1_b32 s0, 10
	s_mov_b32 m0, s0
	s_sendmsg sendmsg(MSG_INTERRUPT)
	s_mov_b32 m0, ttmp2
.LBB2_4493:                             ; =>This Inner Loop Header: Depth=1
	s_sethalt 5
	s_branch .LBB2_4493
.LBB2_4494:
	s_trap 2
	s_sendmsg_rtn_b32 s0, sendmsg(MSG_RTN_GET_DOORBELL)
	s_mov_b32 ttmp2, m0
	s_waitcnt lgkmcnt(0)
	s_and_b32 s0, s0, 0x3ff
	s_delay_alu instid0(SALU_CYCLE_1) | instskip(NEXT) | instid1(SALU_CYCLE_1)
	s_bitset1_b32 s0, 10
	s_mov_b32 m0, s0
	s_sendmsg sendmsg(MSG_INTERRUPT)
	s_mov_b32 m0, ttmp2
.LBB2_4495:                             ; =>This Inner Loop Header: Depth=1
	s_sethalt 5
	s_branch .LBB2_4495
.LBB2_4496:
	s_trap 2
	s_sendmsg_rtn_b32 s0, sendmsg(MSG_RTN_GET_DOORBELL)
	s_mov_b32 ttmp2, m0
	s_waitcnt lgkmcnt(0)
	s_and_b32 s0, s0, 0x3ff
	s_delay_alu instid0(SALU_CYCLE_1) | instskip(NEXT) | instid1(SALU_CYCLE_1)
	s_bitset1_b32 s0, 10
	s_mov_b32 m0, s0
	s_sendmsg sendmsg(MSG_INTERRUPT)
	s_mov_b32 m0, ttmp2
.LBB2_4497:                             ; =>This Inner Loop Header: Depth=1
	s_sethalt 5
	s_branch .LBB2_4497
.LBB2_4498:
	s_trap 2
	s_sendmsg_rtn_b32 s0, sendmsg(MSG_RTN_GET_DOORBELL)
	s_mov_b32 ttmp2, m0
	s_waitcnt lgkmcnt(0)
	s_and_b32 s0, s0, 0x3ff
	s_delay_alu instid0(SALU_CYCLE_1) | instskip(NEXT) | instid1(SALU_CYCLE_1)
	s_bitset1_b32 s0, 10
	s_mov_b32 m0, s0
	s_sendmsg sendmsg(MSG_INTERRUPT)
	s_mov_b32 m0, ttmp2
.LBB2_4499:                             ; =>This Inner Loop Header: Depth=1
	s_sethalt 5
	s_branch .LBB2_4499
.LBB2_4500:
	s_trap 2
	s_sendmsg_rtn_b32 s0, sendmsg(MSG_RTN_GET_DOORBELL)
	s_mov_b32 ttmp2, m0
	s_waitcnt lgkmcnt(0)
	s_and_b32 s0, s0, 0x3ff
	s_delay_alu instid0(SALU_CYCLE_1) | instskip(NEXT) | instid1(SALU_CYCLE_1)
	s_bitset1_b32 s0, 10
	s_mov_b32 m0, s0
	s_sendmsg sendmsg(MSG_INTERRUPT)
	s_mov_b32 m0, ttmp2
.LBB2_4501:                             ; =>This Inner Loop Header: Depth=1
	s_sethalt 5
	s_branch .LBB2_4501
.LBB2_4502:
	s_trap 2
	s_sendmsg_rtn_b32 s0, sendmsg(MSG_RTN_GET_DOORBELL)
	s_mov_b32 ttmp2, m0
	s_waitcnt lgkmcnt(0)
	s_and_b32 s0, s0, 0x3ff
	s_delay_alu instid0(SALU_CYCLE_1) | instskip(NEXT) | instid1(SALU_CYCLE_1)
	s_bitset1_b32 s0, 10
	s_mov_b32 m0, s0
	s_sendmsg sendmsg(MSG_INTERRUPT)
	s_mov_b32 m0, ttmp2
.LBB2_4503:                             ; =>This Inner Loop Header: Depth=1
	s_sethalt 5
	s_branch .LBB2_4503
.LBB2_4504:
	s_trap 2
	s_sendmsg_rtn_b32 s0, sendmsg(MSG_RTN_GET_DOORBELL)
	s_mov_b32 ttmp2, m0
	s_waitcnt lgkmcnt(0)
	s_and_b32 s0, s0, 0x3ff
	s_delay_alu instid0(SALU_CYCLE_1) | instskip(NEXT) | instid1(SALU_CYCLE_1)
	s_bitset1_b32 s0, 10
	s_mov_b32 m0, s0
	s_sendmsg sendmsg(MSG_INTERRUPT)
	s_mov_b32 m0, ttmp2
.LBB2_4505:                             ; =>This Inner Loop Header: Depth=1
	s_sethalt 5
	s_branch .LBB2_4505
.LBB2_4506:
	s_trap 2
	s_sendmsg_rtn_b32 s0, sendmsg(MSG_RTN_GET_DOORBELL)
	s_mov_b32 ttmp2, m0
	s_waitcnt lgkmcnt(0)
	s_and_b32 s0, s0, 0x3ff
	s_delay_alu instid0(SALU_CYCLE_1) | instskip(NEXT) | instid1(SALU_CYCLE_1)
	s_bitset1_b32 s0, 10
	s_mov_b32 m0, s0
	s_sendmsg sendmsg(MSG_INTERRUPT)
	s_mov_b32 m0, ttmp2
.LBB2_4507:                             ; =>This Inner Loop Header: Depth=1
	s_sethalt 5
	s_branch .LBB2_4507
.LBB2_4508:
	s_trap 2
	s_sendmsg_rtn_b32 s0, sendmsg(MSG_RTN_GET_DOORBELL)
	s_mov_b32 ttmp2, m0
	s_waitcnt lgkmcnt(0)
	s_and_b32 s0, s0, 0x3ff
	s_delay_alu instid0(SALU_CYCLE_1) | instskip(NEXT) | instid1(SALU_CYCLE_1)
	s_bitset1_b32 s0, 10
	s_mov_b32 m0, s0
	s_sendmsg sendmsg(MSG_INTERRUPT)
	s_mov_b32 m0, ttmp2
.LBB2_4509:                             ; =>This Inner Loop Header: Depth=1
	s_sethalt 5
	s_branch .LBB2_4509
.LBB2_4510:
	s_trap 2
	s_sendmsg_rtn_b32 s0, sendmsg(MSG_RTN_GET_DOORBELL)
	s_mov_b32 ttmp2, m0
	s_waitcnt lgkmcnt(0)
	s_and_b32 s0, s0, 0x3ff
	s_delay_alu instid0(SALU_CYCLE_1) | instskip(NEXT) | instid1(SALU_CYCLE_1)
	s_bitset1_b32 s0, 10
	s_mov_b32 m0, s0
	s_sendmsg sendmsg(MSG_INTERRUPT)
	s_mov_b32 m0, ttmp2
.LBB2_4511:                             ; =>This Inner Loop Header: Depth=1
	s_sethalt 5
	s_branch .LBB2_4511
.LBB2_4512:
	s_trap 2
	s_sendmsg_rtn_b32 s0, sendmsg(MSG_RTN_GET_DOORBELL)
	s_mov_b32 ttmp2, m0
	s_waitcnt lgkmcnt(0)
	s_and_b32 s0, s0, 0x3ff
	s_delay_alu instid0(SALU_CYCLE_1) | instskip(NEXT) | instid1(SALU_CYCLE_1)
	s_bitset1_b32 s0, 10
	s_mov_b32 m0, s0
	s_sendmsg sendmsg(MSG_INTERRUPT)
	s_mov_b32 m0, ttmp2
.LBB2_4513:                             ; =>This Inner Loop Header: Depth=1
	s_sethalt 5
	s_branch .LBB2_4513
.LBB2_4514:
	s_trap 2
	s_sendmsg_rtn_b32 s0, sendmsg(MSG_RTN_GET_DOORBELL)
	s_mov_b32 ttmp2, m0
	s_waitcnt lgkmcnt(0)
	s_and_b32 s0, s0, 0x3ff
	s_delay_alu instid0(SALU_CYCLE_1) | instskip(NEXT) | instid1(SALU_CYCLE_1)
	s_bitset1_b32 s0, 10
	s_mov_b32 m0, s0
	s_sendmsg sendmsg(MSG_INTERRUPT)
	s_mov_b32 m0, ttmp2
.LBB2_4515:                             ; =>This Inner Loop Header: Depth=1
	s_sethalt 5
	s_branch .LBB2_4515
.LBB2_4516:
	s_trap 2
	s_sendmsg_rtn_b32 s0, sendmsg(MSG_RTN_GET_DOORBELL)
	s_mov_b32 ttmp2, m0
	s_waitcnt lgkmcnt(0)
	s_and_b32 s0, s0, 0x3ff
	s_delay_alu instid0(SALU_CYCLE_1) | instskip(NEXT) | instid1(SALU_CYCLE_1)
	s_bitset1_b32 s0, 10
	s_mov_b32 m0, s0
	s_sendmsg sendmsg(MSG_INTERRUPT)
	s_mov_b32 m0, ttmp2
.LBB2_4517:                             ; =>This Inner Loop Header: Depth=1
	s_sethalt 5
	s_branch .LBB2_4517
.LBB2_4518:
	s_trap 2
	s_sendmsg_rtn_b32 s0, sendmsg(MSG_RTN_GET_DOORBELL)
	s_mov_b32 ttmp2, m0
	s_waitcnt lgkmcnt(0)
	s_and_b32 s0, s0, 0x3ff
	s_delay_alu instid0(SALU_CYCLE_1) | instskip(NEXT) | instid1(SALU_CYCLE_1)
	s_bitset1_b32 s0, 10
	s_mov_b32 m0, s0
	s_sendmsg sendmsg(MSG_INTERRUPT)
	s_mov_b32 m0, ttmp2
.LBB2_4519:                             ; =>This Inner Loop Header: Depth=1
	s_sethalt 5
	s_branch .LBB2_4519
.LBB2_4520:
	s_trap 2
	s_sendmsg_rtn_b32 s0, sendmsg(MSG_RTN_GET_DOORBELL)
	s_mov_b32 ttmp2, m0
	s_waitcnt lgkmcnt(0)
	s_and_b32 s0, s0, 0x3ff
	s_delay_alu instid0(SALU_CYCLE_1) | instskip(NEXT) | instid1(SALU_CYCLE_1)
	s_bitset1_b32 s0, 10
	s_mov_b32 m0, s0
	s_sendmsg sendmsg(MSG_INTERRUPT)
	s_mov_b32 m0, ttmp2
.LBB2_4521:                             ; =>This Inner Loop Header: Depth=1
	s_sethalt 5
	s_branch .LBB2_4521
.LBB2_4522:
	s_trap 2
	s_sendmsg_rtn_b32 s0, sendmsg(MSG_RTN_GET_DOORBELL)
	s_mov_b32 ttmp2, m0
	s_waitcnt lgkmcnt(0)
	s_and_b32 s0, s0, 0x3ff
	s_delay_alu instid0(SALU_CYCLE_1) | instskip(NEXT) | instid1(SALU_CYCLE_1)
	s_bitset1_b32 s0, 10
	s_mov_b32 m0, s0
	s_sendmsg sendmsg(MSG_INTERRUPT)
	s_mov_b32 m0, ttmp2
.LBB2_4523:                             ; =>This Inner Loop Header: Depth=1
	s_sethalt 5
	s_branch .LBB2_4523
.LBB2_4524:
	s_trap 2
	s_sendmsg_rtn_b32 s0, sendmsg(MSG_RTN_GET_DOORBELL)
	s_mov_b32 ttmp2, m0
	s_waitcnt lgkmcnt(0)
	s_and_b32 s0, s0, 0x3ff
	s_delay_alu instid0(SALU_CYCLE_1) | instskip(NEXT) | instid1(SALU_CYCLE_1)
	s_bitset1_b32 s0, 10
	s_mov_b32 m0, s0
	s_sendmsg sendmsg(MSG_INTERRUPT)
	s_mov_b32 m0, ttmp2
.LBB2_4525:                             ; =>This Inner Loop Header: Depth=1
	s_sethalt 5
	s_branch .LBB2_4525
.LBB2_4526:
	s_trap 2
	s_sendmsg_rtn_b32 s0, sendmsg(MSG_RTN_GET_DOORBELL)
	s_mov_b32 ttmp2, m0
	s_waitcnt lgkmcnt(0)
	s_and_b32 s0, s0, 0x3ff
	s_delay_alu instid0(SALU_CYCLE_1) | instskip(NEXT) | instid1(SALU_CYCLE_1)
	s_bitset1_b32 s0, 10
	s_mov_b32 m0, s0
	s_sendmsg sendmsg(MSG_INTERRUPT)
	s_mov_b32 m0, ttmp2
.LBB2_4527:                             ; =>This Inner Loop Header: Depth=1
	s_sethalt 5
	s_branch .LBB2_4527
.LBB2_4528:
	s_trap 2
	s_sendmsg_rtn_b32 s0, sendmsg(MSG_RTN_GET_DOORBELL)
	s_mov_b32 ttmp2, m0
	s_waitcnt lgkmcnt(0)
	s_and_b32 s0, s0, 0x3ff
	s_delay_alu instid0(SALU_CYCLE_1) | instskip(NEXT) | instid1(SALU_CYCLE_1)
	s_bitset1_b32 s0, 10
	s_mov_b32 m0, s0
	s_sendmsg sendmsg(MSG_INTERRUPT)
	s_mov_b32 m0, ttmp2
.LBB2_4529:                             ; =>This Inner Loop Header: Depth=1
	s_sethalt 5
	s_branch .LBB2_4529
.LBB2_4530:
	s_trap 2
	s_sendmsg_rtn_b32 s0, sendmsg(MSG_RTN_GET_DOORBELL)
	s_mov_b32 ttmp2, m0
	s_waitcnt lgkmcnt(0)
	s_and_b32 s0, s0, 0x3ff
	s_delay_alu instid0(SALU_CYCLE_1) | instskip(NEXT) | instid1(SALU_CYCLE_1)
	s_bitset1_b32 s0, 10
	s_mov_b32 m0, s0
	s_sendmsg sendmsg(MSG_INTERRUPT)
	s_mov_b32 m0, ttmp2
.LBB2_4531:                             ; =>This Inner Loop Header: Depth=1
	s_sethalt 5
	s_branch .LBB2_4531
.LBB2_4532:
	s_trap 2
	s_sendmsg_rtn_b32 s0, sendmsg(MSG_RTN_GET_DOORBELL)
	s_mov_b32 ttmp2, m0
	s_waitcnt lgkmcnt(0)
	s_and_b32 s0, s0, 0x3ff
	s_delay_alu instid0(SALU_CYCLE_1) | instskip(NEXT) | instid1(SALU_CYCLE_1)
	s_bitset1_b32 s0, 10
	s_mov_b32 m0, s0
	s_sendmsg sendmsg(MSG_INTERRUPT)
	s_mov_b32 m0, ttmp2
.LBB2_4533:                             ; =>This Inner Loop Header: Depth=1
	s_sethalt 5
	s_branch .LBB2_4533
.LBB2_4534:
	s_trap 2
	s_sendmsg_rtn_b32 s0, sendmsg(MSG_RTN_GET_DOORBELL)
	s_mov_b32 ttmp2, m0
	s_waitcnt lgkmcnt(0)
	s_and_b32 s0, s0, 0x3ff
	s_delay_alu instid0(SALU_CYCLE_1) | instskip(NEXT) | instid1(SALU_CYCLE_1)
	s_bitset1_b32 s0, 10
	s_mov_b32 m0, s0
	s_sendmsg sendmsg(MSG_INTERRUPT)
	s_mov_b32 m0, ttmp2
.LBB2_4535:                             ; =>This Inner Loop Header: Depth=1
	s_sethalt 5
	s_branch .LBB2_4535
.LBB2_4536:
	s_trap 2
	s_sendmsg_rtn_b32 s0, sendmsg(MSG_RTN_GET_DOORBELL)
	s_mov_b32 ttmp2, m0
	s_waitcnt lgkmcnt(0)
	s_and_b32 s0, s0, 0x3ff
	s_delay_alu instid0(SALU_CYCLE_1) | instskip(NEXT) | instid1(SALU_CYCLE_1)
	s_bitset1_b32 s0, 10
	s_mov_b32 m0, s0
	s_sendmsg sendmsg(MSG_INTERRUPT)
	s_mov_b32 m0, ttmp2
.LBB2_4537:                             ; =>This Inner Loop Header: Depth=1
	s_sethalt 5
	s_branch .LBB2_4537
.LBB2_4538:
	s_trap 2
	s_sendmsg_rtn_b32 s0, sendmsg(MSG_RTN_GET_DOORBELL)
	s_mov_b32 ttmp2, m0
	s_waitcnt lgkmcnt(0)
	s_and_b32 s0, s0, 0x3ff
	s_delay_alu instid0(SALU_CYCLE_1) | instskip(NEXT) | instid1(SALU_CYCLE_1)
	s_bitset1_b32 s0, 10
	s_mov_b32 m0, s0
	s_sendmsg sendmsg(MSG_INTERRUPT)
	s_mov_b32 m0, ttmp2
.LBB2_4539:                             ; =>This Inner Loop Header: Depth=1
	s_sethalt 5
	s_branch .LBB2_4539
.LBB2_4540:
	s_trap 2
	s_sendmsg_rtn_b32 s0, sendmsg(MSG_RTN_GET_DOORBELL)
	s_mov_b32 ttmp2, m0
	s_waitcnt lgkmcnt(0)
	s_and_b32 s0, s0, 0x3ff
	s_delay_alu instid0(SALU_CYCLE_1) | instskip(NEXT) | instid1(SALU_CYCLE_1)
	s_bitset1_b32 s0, 10
	s_mov_b32 m0, s0
	s_sendmsg sendmsg(MSG_INTERRUPT)
	s_mov_b32 m0, ttmp2
.LBB2_4541:                             ; =>This Inner Loop Header: Depth=1
	s_sethalt 5
	s_branch .LBB2_4541
.LBB2_4542:
	s_trap 2
	s_sendmsg_rtn_b32 s0, sendmsg(MSG_RTN_GET_DOORBELL)
	s_mov_b32 ttmp2, m0
	s_waitcnt lgkmcnt(0)
	s_and_b32 s0, s0, 0x3ff
	s_delay_alu instid0(SALU_CYCLE_1) | instskip(NEXT) | instid1(SALU_CYCLE_1)
	s_bitset1_b32 s0, 10
	s_mov_b32 m0, s0
	s_sendmsg sendmsg(MSG_INTERRUPT)
	s_mov_b32 m0, ttmp2
.LBB2_4543:                             ; =>This Inner Loop Header: Depth=1
	s_sethalt 5
	s_branch .LBB2_4543
.LBB2_4544:
	s_trap 2
	s_sendmsg_rtn_b32 s0, sendmsg(MSG_RTN_GET_DOORBELL)
	s_mov_b32 ttmp2, m0
	s_waitcnt lgkmcnt(0)
	s_and_b32 s0, s0, 0x3ff
	s_delay_alu instid0(SALU_CYCLE_1) | instskip(NEXT) | instid1(SALU_CYCLE_1)
	s_bitset1_b32 s0, 10
	s_mov_b32 m0, s0
	s_sendmsg sendmsg(MSG_INTERRUPT)
	s_mov_b32 m0, ttmp2
.LBB2_4545:                             ; =>This Inner Loop Header: Depth=1
	s_sethalt 5
	s_branch .LBB2_4545
.LBB2_4546:
	s_trap 2
	s_sendmsg_rtn_b32 s0, sendmsg(MSG_RTN_GET_DOORBELL)
	s_mov_b32 ttmp2, m0
	s_waitcnt lgkmcnt(0)
	s_and_b32 s0, s0, 0x3ff
	s_delay_alu instid0(SALU_CYCLE_1) | instskip(NEXT) | instid1(SALU_CYCLE_1)
	s_bitset1_b32 s0, 10
	s_mov_b32 m0, s0
	s_sendmsg sendmsg(MSG_INTERRUPT)
	s_mov_b32 m0, ttmp2
.LBB2_4547:                             ; =>This Inner Loop Header: Depth=1
	s_sethalt 5
	s_branch .LBB2_4547
.LBB2_4548:
	s_trap 2
	s_sendmsg_rtn_b32 s0, sendmsg(MSG_RTN_GET_DOORBELL)
	s_mov_b32 ttmp2, m0
	s_waitcnt lgkmcnt(0)
	s_and_b32 s0, s0, 0x3ff
	s_delay_alu instid0(SALU_CYCLE_1) | instskip(NEXT) | instid1(SALU_CYCLE_1)
	s_bitset1_b32 s0, 10
	s_mov_b32 m0, s0
	s_sendmsg sendmsg(MSG_INTERRUPT)
	s_mov_b32 m0, ttmp2
.LBB2_4549:                             ; =>This Inner Loop Header: Depth=1
	s_sethalt 5
	s_branch .LBB2_4549
.LBB2_4550:
	s_trap 2
	s_sendmsg_rtn_b32 s0, sendmsg(MSG_RTN_GET_DOORBELL)
	s_mov_b32 ttmp2, m0
	s_waitcnt lgkmcnt(0)
	s_and_b32 s0, s0, 0x3ff
	s_delay_alu instid0(SALU_CYCLE_1) | instskip(NEXT) | instid1(SALU_CYCLE_1)
	s_bitset1_b32 s0, 10
	s_mov_b32 m0, s0
	s_sendmsg sendmsg(MSG_INTERRUPT)
	s_mov_b32 m0, ttmp2
.LBB2_4551:                             ; =>This Inner Loop Header: Depth=1
	s_sethalt 5
	s_branch .LBB2_4551
.LBB2_4552:
	s_trap 2
	s_sendmsg_rtn_b32 s0, sendmsg(MSG_RTN_GET_DOORBELL)
	s_mov_b32 ttmp2, m0
	s_waitcnt lgkmcnt(0)
	s_and_b32 s0, s0, 0x3ff
	s_delay_alu instid0(SALU_CYCLE_1) | instskip(NEXT) | instid1(SALU_CYCLE_1)
	s_bitset1_b32 s0, 10
	s_mov_b32 m0, s0
	s_sendmsg sendmsg(MSG_INTERRUPT)
	s_mov_b32 m0, ttmp2
.LBB2_4553:                             ; =>This Inner Loop Header: Depth=1
	s_sethalt 5
	s_branch .LBB2_4553
.LBB2_4554:
	s_trap 2
	s_sendmsg_rtn_b32 s0, sendmsg(MSG_RTN_GET_DOORBELL)
	s_mov_b32 ttmp2, m0
	s_waitcnt lgkmcnt(0)
	s_and_b32 s0, s0, 0x3ff
	s_delay_alu instid0(SALU_CYCLE_1) | instskip(NEXT) | instid1(SALU_CYCLE_1)
	s_bitset1_b32 s0, 10
	s_mov_b32 m0, s0
	s_sendmsg sendmsg(MSG_INTERRUPT)
	s_mov_b32 m0, ttmp2
.LBB2_4555:                             ; =>This Inner Loop Header: Depth=1
	s_sethalt 5
	s_branch .LBB2_4555
.LBB2_4556:
	s_trap 2
	s_sendmsg_rtn_b32 s0, sendmsg(MSG_RTN_GET_DOORBELL)
	s_mov_b32 ttmp2, m0
	s_waitcnt lgkmcnt(0)
	s_and_b32 s0, s0, 0x3ff
	s_delay_alu instid0(SALU_CYCLE_1) | instskip(NEXT) | instid1(SALU_CYCLE_1)
	s_bitset1_b32 s0, 10
	s_mov_b32 m0, s0
	s_sendmsg sendmsg(MSG_INTERRUPT)
	s_mov_b32 m0, ttmp2
.LBB2_4557:                             ; =>This Inner Loop Header: Depth=1
	s_sethalt 5
	s_branch .LBB2_4557
.LBB2_4558:
	s_trap 2
	s_sendmsg_rtn_b32 s0, sendmsg(MSG_RTN_GET_DOORBELL)
	s_mov_b32 ttmp2, m0
	s_waitcnt lgkmcnt(0)
	s_and_b32 s0, s0, 0x3ff
	s_delay_alu instid0(SALU_CYCLE_1) | instskip(NEXT) | instid1(SALU_CYCLE_1)
	s_bitset1_b32 s0, 10
	s_mov_b32 m0, s0
	s_sendmsg sendmsg(MSG_INTERRUPT)
	s_mov_b32 m0, ttmp2
.LBB2_4559:                             ; =>This Inner Loop Header: Depth=1
	s_sethalt 5
	s_branch .LBB2_4559
.LBB2_4560:
	s_trap 2
	s_sendmsg_rtn_b32 s0, sendmsg(MSG_RTN_GET_DOORBELL)
	s_mov_b32 ttmp2, m0
	s_waitcnt lgkmcnt(0)
	s_and_b32 s0, s0, 0x3ff
	s_delay_alu instid0(SALU_CYCLE_1) | instskip(NEXT) | instid1(SALU_CYCLE_1)
	s_bitset1_b32 s0, 10
	s_mov_b32 m0, s0
	s_sendmsg sendmsg(MSG_INTERRUPT)
	s_mov_b32 m0, ttmp2
.LBB2_4561:                             ; =>This Inner Loop Header: Depth=1
	s_sethalt 5
	s_branch .LBB2_4561
.LBB2_4562:
	s_trap 2
	s_sendmsg_rtn_b32 s0, sendmsg(MSG_RTN_GET_DOORBELL)
	s_mov_b32 ttmp2, m0
	s_waitcnt lgkmcnt(0)
	s_and_b32 s0, s0, 0x3ff
	s_delay_alu instid0(SALU_CYCLE_1) | instskip(NEXT) | instid1(SALU_CYCLE_1)
	s_bitset1_b32 s0, 10
	s_mov_b32 m0, s0
	s_sendmsg sendmsg(MSG_INTERRUPT)
	s_mov_b32 m0, ttmp2
.LBB2_4563:                             ; =>This Inner Loop Header: Depth=1
	s_sethalt 5
	s_branch .LBB2_4563
.LBB2_4564:
	s_trap 2
	s_sendmsg_rtn_b32 s0, sendmsg(MSG_RTN_GET_DOORBELL)
	s_mov_b32 ttmp2, m0
	s_waitcnt lgkmcnt(0)
	s_and_b32 s0, s0, 0x3ff
	s_delay_alu instid0(SALU_CYCLE_1) | instskip(NEXT) | instid1(SALU_CYCLE_1)
	s_bitset1_b32 s0, 10
	s_mov_b32 m0, s0
	s_sendmsg sendmsg(MSG_INTERRUPT)
	s_mov_b32 m0, ttmp2
.LBB2_4565:                             ; =>This Inner Loop Header: Depth=1
	s_sethalt 5
	s_branch .LBB2_4565
.LBB2_4566:
	s_trap 2
	s_sendmsg_rtn_b32 s0, sendmsg(MSG_RTN_GET_DOORBELL)
	s_mov_b32 ttmp2, m0
	s_waitcnt lgkmcnt(0)
	s_and_b32 s0, s0, 0x3ff
	s_delay_alu instid0(SALU_CYCLE_1) | instskip(NEXT) | instid1(SALU_CYCLE_1)
	s_bitset1_b32 s0, 10
	s_mov_b32 m0, s0
	s_sendmsg sendmsg(MSG_INTERRUPT)
	s_mov_b32 m0, ttmp2
.LBB2_4567:                             ; =>This Inner Loop Header: Depth=1
	s_sethalt 5
	s_branch .LBB2_4567
.LBB2_4568:
	s_trap 2
	s_sendmsg_rtn_b32 s0, sendmsg(MSG_RTN_GET_DOORBELL)
	s_mov_b32 ttmp2, m0
	s_waitcnt lgkmcnt(0)
	s_and_b32 s0, s0, 0x3ff
	s_delay_alu instid0(SALU_CYCLE_1) | instskip(NEXT) | instid1(SALU_CYCLE_1)
	s_bitset1_b32 s0, 10
	s_mov_b32 m0, s0
	s_sendmsg sendmsg(MSG_INTERRUPT)
	s_mov_b32 m0, ttmp2
.LBB2_4569:                             ; =>This Inner Loop Header: Depth=1
	s_sethalt 5
	s_branch .LBB2_4569
.LBB2_4570:
	s_trap 2
	s_sendmsg_rtn_b32 s0, sendmsg(MSG_RTN_GET_DOORBELL)
	s_mov_b32 ttmp2, m0
	s_waitcnt lgkmcnt(0)
	s_and_b32 s0, s0, 0x3ff
	s_delay_alu instid0(SALU_CYCLE_1) | instskip(NEXT) | instid1(SALU_CYCLE_1)
	s_bitset1_b32 s0, 10
	s_mov_b32 m0, s0
	s_sendmsg sendmsg(MSG_INTERRUPT)
	s_mov_b32 m0, ttmp2
.LBB2_4571:                             ; =>This Inner Loop Header: Depth=1
	s_sethalt 5
	s_branch .LBB2_4571
.LBB2_4572:
	s_trap 2
	s_sendmsg_rtn_b32 s0, sendmsg(MSG_RTN_GET_DOORBELL)
	s_mov_b32 ttmp2, m0
	s_waitcnt lgkmcnt(0)
	s_and_b32 s0, s0, 0x3ff
	s_delay_alu instid0(SALU_CYCLE_1) | instskip(NEXT) | instid1(SALU_CYCLE_1)
	s_bitset1_b32 s0, 10
	s_mov_b32 m0, s0
	s_sendmsg sendmsg(MSG_INTERRUPT)
	s_mov_b32 m0, ttmp2
.LBB2_4573:                             ; =>This Inner Loop Header: Depth=1
	s_sethalt 5
	s_branch .LBB2_4573
.LBB2_4574:
	s_trap 2
	s_sendmsg_rtn_b32 s0, sendmsg(MSG_RTN_GET_DOORBELL)
	s_mov_b32 ttmp2, m0
	s_waitcnt lgkmcnt(0)
	s_and_b32 s0, s0, 0x3ff
	s_delay_alu instid0(SALU_CYCLE_1) | instskip(NEXT) | instid1(SALU_CYCLE_1)
	s_bitset1_b32 s0, 10
	s_mov_b32 m0, s0
	s_sendmsg sendmsg(MSG_INTERRUPT)
	s_mov_b32 m0, ttmp2
.LBB2_4575:                             ; =>This Inner Loop Header: Depth=1
	s_sethalt 5
	s_branch .LBB2_4575
.LBB2_4576:
	s_trap 2
	s_sendmsg_rtn_b32 s0, sendmsg(MSG_RTN_GET_DOORBELL)
	s_mov_b32 ttmp2, m0
	s_waitcnt lgkmcnt(0)
	s_and_b32 s0, s0, 0x3ff
	s_delay_alu instid0(SALU_CYCLE_1) | instskip(NEXT) | instid1(SALU_CYCLE_1)
	s_bitset1_b32 s0, 10
	s_mov_b32 m0, s0
	s_sendmsg sendmsg(MSG_INTERRUPT)
	s_mov_b32 m0, ttmp2
.LBB2_4577:                             ; =>This Inner Loop Header: Depth=1
	s_sethalt 5
	s_branch .LBB2_4577
.LBB2_4578:
	s_trap 2
	s_sendmsg_rtn_b32 s0, sendmsg(MSG_RTN_GET_DOORBELL)
	s_mov_b32 ttmp2, m0
	s_waitcnt lgkmcnt(0)
	s_and_b32 s0, s0, 0x3ff
	s_delay_alu instid0(SALU_CYCLE_1) | instskip(NEXT) | instid1(SALU_CYCLE_1)
	s_bitset1_b32 s0, 10
	s_mov_b32 m0, s0
	s_sendmsg sendmsg(MSG_INTERRUPT)
	s_mov_b32 m0, ttmp2
.LBB2_4579:                             ; =>This Inner Loop Header: Depth=1
	s_sethalt 5
	s_branch .LBB2_4579
.LBB2_4580:
	s_trap 2
	s_sendmsg_rtn_b32 s0, sendmsg(MSG_RTN_GET_DOORBELL)
	s_mov_b32 ttmp2, m0
	s_waitcnt lgkmcnt(0)
	s_and_b32 s0, s0, 0x3ff
	s_delay_alu instid0(SALU_CYCLE_1) | instskip(NEXT) | instid1(SALU_CYCLE_1)
	s_bitset1_b32 s0, 10
	s_mov_b32 m0, s0
	s_sendmsg sendmsg(MSG_INTERRUPT)
	s_mov_b32 m0, ttmp2
.LBB2_4581:                             ; =>This Inner Loop Header: Depth=1
	s_sethalt 5
	s_branch .LBB2_4581
.LBB2_4582:
	s_trap 2
	s_sendmsg_rtn_b32 s0, sendmsg(MSG_RTN_GET_DOORBELL)
	s_mov_b32 ttmp2, m0
	s_waitcnt lgkmcnt(0)
	s_and_b32 s0, s0, 0x3ff
	s_delay_alu instid0(SALU_CYCLE_1) | instskip(NEXT) | instid1(SALU_CYCLE_1)
	s_bitset1_b32 s0, 10
	s_mov_b32 m0, s0
	s_sendmsg sendmsg(MSG_INTERRUPT)
	s_mov_b32 m0, ttmp2
.LBB2_4583:                             ; =>This Inner Loop Header: Depth=1
	s_sethalt 5
	s_branch .LBB2_4583
.LBB2_4584:
	s_trap 2
	s_sendmsg_rtn_b32 s0, sendmsg(MSG_RTN_GET_DOORBELL)
	s_mov_b32 ttmp2, m0
	s_waitcnt lgkmcnt(0)
	s_and_b32 s0, s0, 0x3ff
	s_delay_alu instid0(SALU_CYCLE_1) | instskip(NEXT) | instid1(SALU_CYCLE_1)
	s_bitset1_b32 s0, 10
	s_mov_b32 m0, s0
	s_sendmsg sendmsg(MSG_INTERRUPT)
	s_mov_b32 m0, ttmp2
.LBB2_4585:                             ; =>This Inner Loop Header: Depth=1
	s_sethalt 5
	s_branch .LBB2_4585
.LBB2_4586:
	s_trap 2
	s_sendmsg_rtn_b32 s0, sendmsg(MSG_RTN_GET_DOORBELL)
	s_mov_b32 ttmp2, m0
	s_waitcnt lgkmcnt(0)
	s_and_b32 s0, s0, 0x3ff
	s_delay_alu instid0(SALU_CYCLE_1) | instskip(NEXT) | instid1(SALU_CYCLE_1)
	s_bitset1_b32 s0, 10
	s_mov_b32 m0, s0
	s_sendmsg sendmsg(MSG_INTERRUPT)
	s_mov_b32 m0, ttmp2
.LBB2_4587:                             ; =>This Inner Loop Header: Depth=1
	s_sethalt 5
	s_branch .LBB2_4587
.LBB2_4588:
	s_trap 2
	s_sendmsg_rtn_b32 s0, sendmsg(MSG_RTN_GET_DOORBELL)
	s_mov_b32 ttmp2, m0
	s_waitcnt lgkmcnt(0)
	s_and_b32 s0, s0, 0x3ff
	s_delay_alu instid0(SALU_CYCLE_1) | instskip(NEXT) | instid1(SALU_CYCLE_1)
	s_bitset1_b32 s0, 10
	s_mov_b32 m0, s0
	s_sendmsg sendmsg(MSG_INTERRUPT)
	s_mov_b32 m0, ttmp2
.LBB2_4589:                             ; =>This Inner Loop Header: Depth=1
	s_sethalt 5
	s_branch .LBB2_4589
.LBB2_4590:
	s_trap 2
	s_sendmsg_rtn_b32 s0, sendmsg(MSG_RTN_GET_DOORBELL)
	s_mov_b32 ttmp2, m0
	s_waitcnt lgkmcnt(0)
	s_and_b32 s0, s0, 0x3ff
	s_delay_alu instid0(SALU_CYCLE_1) | instskip(NEXT) | instid1(SALU_CYCLE_1)
	s_bitset1_b32 s0, 10
	s_mov_b32 m0, s0
	s_sendmsg sendmsg(MSG_INTERRUPT)
	s_mov_b32 m0, ttmp2
.LBB2_4591:                             ; =>This Inner Loop Header: Depth=1
	s_sethalt 5
	s_branch .LBB2_4591
.LBB2_4592:
	s_or_b32 exec_lo, exec_lo, s4
	s_and_saveexec_b32 s4, s5
	s_delay_alu instid0(SALU_CYCLE_1)
	s_xor_b32 s4, exec_lo, s4
	s_cbranch_execz .LBB2_4594
; %bb.4593:
	v_mov_b32_e32 v0, 1
	ds_store_b32 v0, v0
	s_cbranch_execnz .LBB2_4686
.LBB2_4594:
	s_or_b32 exec_lo, exec_lo, s3
	;;#ASMSTART
	s_wakeup
	;;#ASMEND
.LBB2_4595:
	s_or_b32 exec_lo, exec_lo, s2
.LBB2_4596:
	s_and_not1_saveexec_b32 s1, s1
	s_cbranch_execz .LBB2_4598
; %bb.4597:
	s_waitcnt lgkmcnt(0)
	s_waitcnt_vscnt null, 0x0
	buffer_gl1_inv
	buffer_gl0_inv
	s_barrier
.LBB2_4598:
	s_or_b32 exec_lo, exec_lo, s0
.LBB2_4599:
	s_and_not1_saveexec_b32 s21, s18
	s_cbranch_execz .LBB2_4601
; %bb.4600:
	s_getpc_b64 s[0:1]
	s_add_u32 s0, s0, __PRETTY_FUNCTION__._ZN10PrimitivesI11rccl_float87FuncSumIS0_E12FanSymmetricILi1EELi0E11ProtoSimpleILi2ELi2ELi0ELi1ELi0ELi0EELi0ELb0ELi0ELi0ELi0EEC2EiiPKiS9_PKvPvmhhhP15ncclDevWorkCollP14ncclDevWorkP2pii@rel32@lo+4
	s_addc_u32 s1, s1, __PRETTY_FUNCTION__._ZN10PrimitivesI11rccl_float87FuncSumIS0_E12FanSymmetricILi1EELi0E11ProtoSimpleILi2ELi2ELi0ELi1ELi0ELi0EELi0ELb0ELi0ELi0ELi0EEC2EiiPKiS9_PKvPvmhhhP15ncclDevWorkCollP14ncclDevWorkP2pii@rel32@hi+12
	s_delay_alu instid0(SALU_CYCLE_1) | instskip(SKIP_3) | instid1(SALU_CYCLE_1)
	v_dual_mov_b32 v0, s0 :: v_dual_mov_b32 v1, s1
	s_getpc_b64 s[2:3]
	s_add_u32 s2, s2, __assert_fail@rel32@lo+4
	s_addc_u32 s3, s3, __assert_fail@rel32@hi+12
	s_swappc_b64 s[30:31], s[2:3]
	; divergent unreachable
.LBB2_4601:
	s_or_b32 exec_lo, exec_lo, s21
	scratch_load_b32 v40, off, s33          ; 4-byte Folded Reload
	v_readlane_b32 s30, v41, 11
	v_readlane_b32 s31, v41, 12
	;; [unrolled: 1-line block ×14, first 2 shown]
	s_or_saveexec_b32 s1, -1
	s_clause 0x1
	scratch_load_b32 v41, off, s33 offset:4
	scratch_load_b32 v42, off, s33 offset:8
	s_mov_b32 exec_lo, s1
	s_add_i32 s32, s32, -16
	s_mov_b32 s33, s0
	s_waitcnt vmcnt(0) lgkmcnt(0)
	s_setpc_b64 s[30:31]
.LBB2_4602:
	s_trap 2
	s_sendmsg_rtn_b32 s0, sendmsg(MSG_RTN_GET_DOORBELL)
	s_mov_b32 ttmp2, m0
	s_waitcnt lgkmcnt(0)
	s_and_b32 s0, s0, 0x3ff
	s_delay_alu instid0(SALU_CYCLE_1) | instskip(NEXT) | instid1(SALU_CYCLE_1)
	s_bitset1_b32 s0, 10
	s_mov_b32 m0, s0
	s_sendmsg sendmsg(MSG_INTERRUPT)
	s_mov_b32 m0, ttmp2
.LBB2_4603:                             ; =>This Inner Loop Header: Depth=1
	s_sethalt 5
	s_branch .LBB2_4603
.LBB2_4604:
	s_trap 2
	s_sendmsg_rtn_b32 s0, sendmsg(MSG_RTN_GET_DOORBELL)
	s_mov_b32 ttmp2, m0
	s_waitcnt lgkmcnt(0)
	s_and_b32 s0, s0, 0x3ff
	s_delay_alu instid0(SALU_CYCLE_1) | instskip(NEXT) | instid1(SALU_CYCLE_1)
	s_bitset1_b32 s0, 10
	s_mov_b32 m0, s0
	s_sendmsg sendmsg(MSG_INTERRUPT)
	s_mov_b32 m0, ttmp2
.LBB2_4605:                             ; =>This Inner Loop Header: Depth=1
	s_sethalt 5
	s_branch .LBB2_4605
.LBB2_4606:
	s_trap 2
	s_sendmsg_rtn_b32 s0, sendmsg(MSG_RTN_GET_DOORBELL)
	s_mov_b32 ttmp2, m0
	s_waitcnt lgkmcnt(0)
	s_and_b32 s0, s0, 0x3ff
	s_delay_alu instid0(SALU_CYCLE_1) | instskip(NEXT) | instid1(SALU_CYCLE_1)
	s_bitset1_b32 s0, 10
	s_mov_b32 m0, s0
	s_sendmsg sendmsg(MSG_INTERRUPT)
	s_mov_b32 m0, ttmp2
.LBB2_4607:                             ; =>This Inner Loop Header: Depth=1
	s_sethalt 5
	s_branch .LBB2_4607
.LBB2_4608:
	s_trap 2
	s_sendmsg_rtn_b32 s0, sendmsg(MSG_RTN_GET_DOORBELL)
	s_mov_b32 ttmp2, m0
	s_waitcnt lgkmcnt(0)
	s_and_b32 s0, s0, 0x3ff
	s_delay_alu instid0(SALU_CYCLE_1) | instskip(NEXT) | instid1(SALU_CYCLE_1)
	s_bitset1_b32 s0, 10
	s_mov_b32 m0, s0
	s_sendmsg sendmsg(MSG_INTERRUPT)
	s_mov_b32 m0, ttmp2
.LBB2_4609:                             ; =>This Inner Loop Header: Depth=1
	s_sethalt 5
	s_branch .LBB2_4609
.LBB2_4610:
	s_trap 2
	s_sendmsg_rtn_b32 s0, sendmsg(MSG_RTN_GET_DOORBELL)
	s_mov_b32 ttmp2, m0
	s_waitcnt lgkmcnt(0)
	s_and_b32 s0, s0, 0x3ff
	s_delay_alu instid0(SALU_CYCLE_1) | instskip(NEXT) | instid1(SALU_CYCLE_1)
	s_bitset1_b32 s0, 10
	s_mov_b32 m0, s0
	s_sendmsg sendmsg(MSG_INTERRUPT)
	s_mov_b32 m0, ttmp2
.LBB2_4611:                             ; =>This Inner Loop Header: Depth=1
	s_sethalt 5
	s_branch .LBB2_4611
.LBB2_4612:
	s_trap 2
	s_sendmsg_rtn_b32 s0, sendmsg(MSG_RTN_GET_DOORBELL)
	s_mov_b32 ttmp2, m0
	s_waitcnt lgkmcnt(0)
	s_and_b32 s0, s0, 0x3ff
	s_delay_alu instid0(SALU_CYCLE_1) | instskip(NEXT) | instid1(SALU_CYCLE_1)
	s_bitset1_b32 s0, 10
	s_mov_b32 m0, s0
	s_sendmsg sendmsg(MSG_INTERRUPT)
	s_mov_b32 m0, ttmp2
.LBB2_4613:                             ; =>This Inner Loop Header: Depth=1
	s_sethalt 5
	s_branch .LBB2_4613
.LBB2_4614:
	s_trap 2
	s_sendmsg_rtn_b32 s0, sendmsg(MSG_RTN_GET_DOORBELL)
	s_mov_b32 ttmp2, m0
	s_waitcnt lgkmcnt(0)
	s_and_b32 s0, s0, 0x3ff
	s_delay_alu instid0(SALU_CYCLE_1) | instskip(NEXT) | instid1(SALU_CYCLE_1)
	s_bitset1_b32 s0, 10
	s_mov_b32 m0, s0
	s_sendmsg sendmsg(MSG_INTERRUPT)
	s_mov_b32 m0, ttmp2
.LBB2_4615:                             ; =>This Inner Loop Header: Depth=1
	s_sethalt 5
	s_branch .LBB2_4615
.LBB2_4616:
	s_trap 2
	s_sendmsg_rtn_b32 s0, sendmsg(MSG_RTN_GET_DOORBELL)
	s_mov_b32 ttmp2, m0
	s_waitcnt lgkmcnt(0)
	s_and_b32 s0, s0, 0x3ff
	s_delay_alu instid0(SALU_CYCLE_1) | instskip(NEXT) | instid1(SALU_CYCLE_1)
	s_bitset1_b32 s0, 10
	s_mov_b32 m0, s0
	s_sendmsg sendmsg(MSG_INTERRUPT)
	s_mov_b32 m0, ttmp2
.LBB2_4617:                             ; =>This Inner Loop Header: Depth=1
	s_sethalt 5
	s_branch .LBB2_4617
.LBB2_4618:
	s_trap 2
	s_sendmsg_rtn_b32 s0, sendmsg(MSG_RTN_GET_DOORBELL)
	s_mov_b32 ttmp2, m0
	s_waitcnt lgkmcnt(0)
	s_and_b32 s0, s0, 0x3ff
	s_delay_alu instid0(SALU_CYCLE_1) | instskip(NEXT) | instid1(SALU_CYCLE_1)
	s_bitset1_b32 s0, 10
	s_mov_b32 m0, s0
	s_sendmsg sendmsg(MSG_INTERRUPT)
	s_mov_b32 m0, ttmp2
.LBB2_4619:                             ; =>This Inner Loop Header: Depth=1
	s_sethalt 5
	s_branch .LBB2_4619
.LBB2_4620:
	s_trap 2
	s_sendmsg_rtn_b32 s0, sendmsg(MSG_RTN_GET_DOORBELL)
	s_mov_b32 ttmp2, m0
	s_waitcnt lgkmcnt(0)
	s_and_b32 s0, s0, 0x3ff
	s_delay_alu instid0(SALU_CYCLE_1) | instskip(NEXT) | instid1(SALU_CYCLE_1)
	s_bitset1_b32 s0, 10
	s_mov_b32 m0, s0
	s_sendmsg sendmsg(MSG_INTERRUPT)
	s_mov_b32 m0, ttmp2
.LBB2_4621:                             ; =>This Inner Loop Header: Depth=1
	s_sethalt 5
	s_branch .LBB2_4621
.LBB2_4622:
	s_trap 2
	s_sendmsg_rtn_b32 s0, sendmsg(MSG_RTN_GET_DOORBELL)
	s_mov_b32 ttmp2, m0
	s_waitcnt lgkmcnt(0)
	s_and_b32 s0, s0, 0x3ff
	s_delay_alu instid0(SALU_CYCLE_1) | instskip(NEXT) | instid1(SALU_CYCLE_1)
	s_bitset1_b32 s0, 10
	s_mov_b32 m0, s0
	s_sendmsg sendmsg(MSG_INTERRUPT)
	s_mov_b32 m0, ttmp2
.LBB2_4623:                             ; =>This Inner Loop Header: Depth=1
	s_sethalt 5
	s_branch .LBB2_4623
.LBB2_4624:
	s_trap 2
	s_sendmsg_rtn_b32 s0, sendmsg(MSG_RTN_GET_DOORBELL)
	s_mov_b32 ttmp2, m0
	s_waitcnt lgkmcnt(0)
	s_and_b32 s0, s0, 0x3ff
	s_delay_alu instid0(SALU_CYCLE_1) | instskip(NEXT) | instid1(SALU_CYCLE_1)
	s_bitset1_b32 s0, 10
	s_mov_b32 m0, s0
	s_sendmsg sendmsg(MSG_INTERRUPT)
	s_mov_b32 m0, ttmp2
.LBB2_4625:                             ; =>This Inner Loop Header: Depth=1
	s_sethalt 5
	s_branch .LBB2_4625
.LBB2_4626:
	s_trap 2
	s_sendmsg_rtn_b32 s0, sendmsg(MSG_RTN_GET_DOORBELL)
	s_mov_b32 ttmp2, m0
	s_waitcnt lgkmcnt(0)
	s_and_b32 s0, s0, 0x3ff
	s_delay_alu instid0(SALU_CYCLE_1) | instskip(NEXT) | instid1(SALU_CYCLE_1)
	s_bitset1_b32 s0, 10
	s_mov_b32 m0, s0
	s_sendmsg sendmsg(MSG_INTERRUPT)
	s_mov_b32 m0, ttmp2
.LBB2_4627:                             ; =>This Inner Loop Header: Depth=1
	s_sethalt 5
	s_branch .LBB2_4627
.LBB2_4628:
	s_trap 2
	s_sendmsg_rtn_b32 s0, sendmsg(MSG_RTN_GET_DOORBELL)
	s_mov_b32 ttmp2, m0
	s_waitcnt lgkmcnt(0)
	s_and_b32 s0, s0, 0x3ff
	s_delay_alu instid0(SALU_CYCLE_1) | instskip(NEXT) | instid1(SALU_CYCLE_1)
	s_bitset1_b32 s0, 10
	s_mov_b32 m0, s0
	s_sendmsg sendmsg(MSG_INTERRUPT)
	s_mov_b32 m0, ttmp2
.LBB2_4629:                             ; =>This Inner Loop Header: Depth=1
	s_sethalt 5
	s_branch .LBB2_4629
.LBB2_4630:
	s_trap 2
	s_sendmsg_rtn_b32 s0, sendmsg(MSG_RTN_GET_DOORBELL)
	s_mov_b32 ttmp2, m0
	s_waitcnt lgkmcnt(0)
	s_and_b32 s0, s0, 0x3ff
	s_delay_alu instid0(SALU_CYCLE_1) | instskip(NEXT) | instid1(SALU_CYCLE_1)
	s_bitset1_b32 s0, 10
	s_mov_b32 m0, s0
	s_sendmsg sendmsg(MSG_INTERRUPT)
	s_mov_b32 m0, ttmp2
.LBB2_4631:                             ; =>This Inner Loop Header: Depth=1
	s_sethalt 5
	s_branch .LBB2_4631
.LBB2_4632:
	s_trap 2
	s_sendmsg_rtn_b32 s0, sendmsg(MSG_RTN_GET_DOORBELL)
	s_mov_b32 ttmp2, m0
	s_waitcnt lgkmcnt(0)
	s_and_b32 s0, s0, 0x3ff
	s_delay_alu instid0(SALU_CYCLE_1) | instskip(NEXT) | instid1(SALU_CYCLE_1)
	s_bitset1_b32 s0, 10
	s_mov_b32 m0, s0
	s_sendmsg sendmsg(MSG_INTERRUPT)
	s_mov_b32 m0, ttmp2
.LBB2_4633:                             ; =>This Inner Loop Header: Depth=1
	s_sethalt 5
	s_branch .LBB2_4633
.LBB2_4634:
	s_trap 2
	s_sendmsg_rtn_b32 s0, sendmsg(MSG_RTN_GET_DOORBELL)
	s_mov_b32 ttmp2, m0
	s_waitcnt lgkmcnt(0)
	s_and_b32 s0, s0, 0x3ff
	s_delay_alu instid0(SALU_CYCLE_1) | instskip(NEXT) | instid1(SALU_CYCLE_1)
	s_bitset1_b32 s0, 10
	s_mov_b32 m0, s0
	s_sendmsg sendmsg(MSG_INTERRUPT)
	s_mov_b32 m0, ttmp2
.LBB2_4635:                             ; =>This Inner Loop Header: Depth=1
	s_sethalt 5
	s_branch .LBB2_4635
.LBB2_4636:
	s_trap 2
	s_sendmsg_rtn_b32 s0, sendmsg(MSG_RTN_GET_DOORBELL)
	s_mov_b32 ttmp2, m0
	s_waitcnt lgkmcnt(0)
	s_and_b32 s0, s0, 0x3ff
	s_delay_alu instid0(SALU_CYCLE_1) | instskip(NEXT) | instid1(SALU_CYCLE_1)
	s_bitset1_b32 s0, 10
	s_mov_b32 m0, s0
	s_sendmsg sendmsg(MSG_INTERRUPT)
	s_mov_b32 m0, ttmp2
.LBB2_4637:                             ; =>This Inner Loop Header: Depth=1
	s_sethalt 5
	s_branch .LBB2_4637
.LBB2_4638:
	s_trap 2
	s_sendmsg_rtn_b32 s0, sendmsg(MSG_RTN_GET_DOORBELL)
	s_mov_b32 ttmp2, m0
	s_waitcnt lgkmcnt(0)
	s_and_b32 s0, s0, 0x3ff
	s_delay_alu instid0(SALU_CYCLE_1) | instskip(NEXT) | instid1(SALU_CYCLE_1)
	s_bitset1_b32 s0, 10
	s_mov_b32 m0, s0
	s_sendmsg sendmsg(MSG_INTERRUPT)
	s_mov_b32 m0, ttmp2
.LBB2_4639:                             ; =>This Inner Loop Header: Depth=1
	s_sethalt 5
	s_branch .LBB2_4639
.LBB2_4640:
	s_trap 2
	s_sendmsg_rtn_b32 s0, sendmsg(MSG_RTN_GET_DOORBELL)
	s_mov_b32 ttmp2, m0
	s_waitcnt lgkmcnt(0)
	s_and_b32 s0, s0, 0x3ff
	s_delay_alu instid0(SALU_CYCLE_1) | instskip(NEXT) | instid1(SALU_CYCLE_1)
	s_bitset1_b32 s0, 10
	s_mov_b32 m0, s0
	s_sendmsg sendmsg(MSG_INTERRUPT)
	s_mov_b32 m0, ttmp2
.LBB2_4641:                             ; =>This Inner Loop Header: Depth=1
	s_sethalt 5
	s_branch .LBB2_4641
.LBB2_4642:
	s_trap 2
	s_sendmsg_rtn_b32 s0, sendmsg(MSG_RTN_GET_DOORBELL)
	s_mov_b32 ttmp2, m0
	s_waitcnt lgkmcnt(0)
	s_and_b32 s0, s0, 0x3ff
	s_delay_alu instid0(SALU_CYCLE_1) | instskip(NEXT) | instid1(SALU_CYCLE_1)
	s_bitset1_b32 s0, 10
	s_mov_b32 m0, s0
	s_sendmsg sendmsg(MSG_INTERRUPT)
	s_mov_b32 m0, ttmp2
.LBB2_4643:                             ; =>This Inner Loop Header: Depth=1
	s_sethalt 5
	s_branch .LBB2_4643
.LBB2_4644:
	s_trap 2
	s_sendmsg_rtn_b32 s0, sendmsg(MSG_RTN_GET_DOORBELL)
	s_mov_b32 ttmp2, m0
	s_waitcnt lgkmcnt(0)
	s_and_b32 s0, s0, 0x3ff
	s_delay_alu instid0(SALU_CYCLE_1) | instskip(NEXT) | instid1(SALU_CYCLE_1)
	s_bitset1_b32 s0, 10
	s_mov_b32 m0, s0
	s_sendmsg sendmsg(MSG_INTERRUPT)
	s_mov_b32 m0, ttmp2
.LBB2_4645:                             ; =>This Inner Loop Header: Depth=1
	s_sethalt 5
	s_branch .LBB2_4645
.LBB2_4646:
	s_trap 2
	s_sendmsg_rtn_b32 s0, sendmsg(MSG_RTN_GET_DOORBELL)
	s_mov_b32 ttmp2, m0
	s_waitcnt lgkmcnt(0)
	s_and_b32 s0, s0, 0x3ff
	s_delay_alu instid0(SALU_CYCLE_1) | instskip(NEXT) | instid1(SALU_CYCLE_1)
	s_bitset1_b32 s0, 10
	s_mov_b32 m0, s0
	s_sendmsg sendmsg(MSG_INTERRUPT)
	s_mov_b32 m0, ttmp2
.LBB2_4647:                             ; =>This Inner Loop Header: Depth=1
	s_sethalt 5
	s_branch .LBB2_4647
.LBB2_4648:
	s_trap 2
	s_sendmsg_rtn_b32 s0, sendmsg(MSG_RTN_GET_DOORBELL)
	s_mov_b32 ttmp2, m0
	s_waitcnt lgkmcnt(0)
	s_and_b32 s0, s0, 0x3ff
	s_delay_alu instid0(SALU_CYCLE_1) | instskip(NEXT) | instid1(SALU_CYCLE_1)
	s_bitset1_b32 s0, 10
	s_mov_b32 m0, s0
	s_sendmsg sendmsg(MSG_INTERRUPT)
	s_mov_b32 m0, ttmp2
.LBB2_4649:                             ; =>This Inner Loop Header: Depth=1
	s_sethalt 5
	s_branch .LBB2_4649
.LBB2_4650:
	s_trap 2
	s_sendmsg_rtn_b32 s0, sendmsg(MSG_RTN_GET_DOORBELL)
	s_mov_b32 ttmp2, m0
	s_waitcnt lgkmcnt(0)
	s_and_b32 s0, s0, 0x3ff
	s_delay_alu instid0(SALU_CYCLE_1) | instskip(NEXT) | instid1(SALU_CYCLE_1)
	s_bitset1_b32 s0, 10
	s_mov_b32 m0, s0
	s_sendmsg sendmsg(MSG_INTERRUPT)
	s_mov_b32 m0, ttmp2
.LBB2_4651:                             ; =>This Inner Loop Header: Depth=1
	s_sethalt 5
	s_branch .LBB2_4651
.LBB2_4652:
	s_trap 2
	s_sendmsg_rtn_b32 s0, sendmsg(MSG_RTN_GET_DOORBELL)
	s_mov_b32 ttmp2, m0
	s_waitcnt lgkmcnt(0)
	s_and_b32 s0, s0, 0x3ff
	s_delay_alu instid0(SALU_CYCLE_1) | instskip(NEXT) | instid1(SALU_CYCLE_1)
	s_bitset1_b32 s0, 10
	s_mov_b32 m0, s0
	s_sendmsg sendmsg(MSG_INTERRUPT)
	s_mov_b32 m0, ttmp2
.LBB2_4653:                             ; =>This Inner Loop Header: Depth=1
	s_sethalt 5
	s_branch .LBB2_4653
.LBB2_4654:
	s_trap 2
	s_sendmsg_rtn_b32 s0, sendmsg(MSG_RTN_GET_DOORBELL)
	s_mov_b32 ttmp2, m0
	s_waitcnt lgkmcnt(0)
	s_and_b32 s0, s0, 0x3ff
	s_delay_alu instid0(SALU_CYCLE_1) | instskip(NEXT) | instid1(SALU_CYCLE_1)
	s_bitset1_b32 s0, 10
	s_mov_b32 m0, s0
	s_sendmsg sendmsg(MSG_INTERRUPT)
	s_mov_b32 m0, ttmp2
.LBB2_4655:                             ; =>This Inner Loop Header: Depth=1
	s_sethalt 5
	s_branch .LBB2_4655
.LBB2_4656:
	s_trap 2
	s_sendmsg_rtn_b32 s0, sendmsg(MSG_RTN_GET_DOORBELL)
	s_mov_b32 ttmp2, m0
	s_waitcnt lgkmcnt(0)
	s_and_b32 s0, s0, 0x3ff
	s_delay_alu instid0(SALU_CYCLE_1) | instskip(NEXT) | instid1(SALU_CYCLE_1)
	s_bitset1_b32 s0, 10
	s_mov_b32 m0, s0
	s_sendmsg sendmsg(MSG_INTERRUPT)
	s_mov_b32 m0, ttmp2
.LBB2_4657:                             ; =>This Inner Loop Header: Depth=1
	s_sethalt 5
	s_branch .LBB2_4657
.LBB2_4658:
	s_trap 2
	s_sendmsg_rtn_b32 s0, sendmsg(MSG_RTN_GET_DOORBELL)
	s_mov_b32 ttmp2, m0
	s_waitcnt lgkmcnt(0)
	s_and_b32 s0, s0, 0x3ff
	s_delay_alu instid0(SALU_CYCLE_1) | instskip(NEXT) | instid1(SALU_CYCLE_1)
	s_bitset1_b32 s0, 10
	s_mov_b32 m0, s0
	s_sendmsg sendmsg(MSG_INTERRUPT)
	s_mov_b32 m0, ttmp2
.LBB2_4659:                             ; =>This Inner Loop Header: Depth=1
	s_sethalt 5
	s_branch .LBB2_4659
.LBB2_4660:
	s_trap 2
	s_sendmsg_rtn_b32 s0, sendmsg(MSG_RTN_GET_DOORBELL)
	s_mov_b32 ttmp2, m0
	s_waitcnt lgkmcnt(0)
	s_and_b32 s0, s0, 0x3ff
	s_delay_alu instid0(SALU_CYCLE_1) | instskip(NEXT) | instid1(SALU_CYCLE_1)
	s_bitset1_b32 s0, 10
	s_mov_b32 m0, s0
	s_sendmsg sendmsg(MSG_INTERRUPT)
	s_mov_b32 m0, ttmp2
.LBB2_4661:                             ; =>This Inner Loop Header: Depth=1
	s_sethalt 5
	s_branch .LBB2_4661
.LBB2_4662:
	s_trap 2
	s_sendmsg_rtn_b32 s0, sendmsg(MSG_RTN_GET_DOORBELL)
	s_mov_b32 ttmp2, m0
	s_waitcnt lgkmcnt(0)
	s_and_b32 s0, s0, 0x3ff
	s_delay_alu instid0(SALU_CYCLE_1) | instskip(NEXT) | instid1(SALU_CYCLE_1)
	s_bitset1_b32 s0, 10
	s_mov_b32 m0, s0
	s_sendmsg sendmsg(MSG_INTERRUPT)
	s_mov_b32 m0, ttmp2
.LBB2_4663:                             ; =>This Inner Loop Header: Depth=1
	s_sethalt 5
	s_branch .LBB2_4663
.LBB2_4664:
	s_trap 2
	s_sendmsg_rtn_b32 s0, sendmsg(MSG_RTN_GET_DOORBELL)
	s_mov_b32 ttmp2, m0
	s_waitcnt lgkmcnt(0)
	s_and_b32 s0, s0, 0x3ff
	s_delay_alu instid0(SALU_CYCLE_1) | instskip(NEXT) | instid1(SALU_CYCLE_1)
	s_bitset1_b32 s0, 10
	s_mov_b32 m0, s0
	s_sendmsg sendmsg(MSG_INTERRUPT)
	s_mov_b32 m0, ttmp2
.LBB2_4665:                             ; =>This Inner Loop Header: Depth=1
	s_sethalt 5
	s_branch .LBB2_4665
.LBB2_4666:
	s_trap 2
	s_sendmsg_rtn_b32 s0, sendmsg(MSG_RTN_GET_DOORBELL)
	s_mov_b32 ttmp2, m0
	s_waitcnt lgkmcnt(0)
	s_and_b32 s0, s0, 0x3ff
	s_delay_alu instid0(SALU_CYCLE_1) | instskip(NEXT) | instid1(SALU_CYCLE_1)
	s_bitset1_b32 s0, 10
	s_mov_b32 m0, s0
	s_sendmsg sendmsg(MSG_INTERRUPT)
	s_mov_b32 m0, ttmp2
.LBB2_4667:                             ; =>This Inner Loop Header: Depth=1
	s_sethalt 5
	s_branch .LBB2_4667
.LBB2_4668:
	s_trap 2
	s_sendmsg_rtn_b32 s0, sendmsg(MSG_RTN_GET_DOORBELL)
	s_mov_b32 ttmp2, m0
	s_waitcnt lgkmcnt(0)
	s_and_b32 s0, s0, 0x3ff
	s_delay_alu instid0(SALU_CYCLE_1) | instskip(NEXT) | instid1(SALU_CYCLE_1)
	s_bitset1_b32 s0, 10
	s_mov_b32 m0, s0
	s_sendmsg sendmsg(MSG_INTERRUPT)
	s_mov_b32 m0, ttmp2
.LBB2_4669:                             ; =>This Inner Loop Header: Depth=1
	s_sethalt 5
	s_branch .LBB2_4669
.LBB2_4670:
	s_trap 2
	s_sendmsg_rtn_b32 s0, sendmsg(MSG_RTN_GET_DOORBELL)
	s_mov_b32 ttmp2, m0
	s_waitcnt lgkmcnt(0)
	s_and_b32 s0, s0, 0x3ff
	s_delay_alu instid0(SALU_CYCLE_1) | instskip(NEXT) | instid1(SALU_CYCLE_1)
	s_bitset1_b32 s0, 10
	s_mov_b32 m0, s0
	s_sendmsg sendmsg(MSG_INTERRUPT)
	s_mov_b32 m0, ttmp2
.LBB2_4671:                             ; =>This Inner Loop Header: Depth=1
	s_sethalt 5
	s_branch .LBB2_4671
.LBB2_4672:
	s_trap 2
	s_sendmsg_rtn_b32 s0, sendmsg(MSG_RTN_GET_DOORBELL)
	s_mov_b32 ttmp2, m0
	s_waitcnt lgkmcnt(0)
	s_and_b32 s0, s0, 0x3ff
	s_delay_alu instid0(SALU_CYCLE_1) | instskip(NEXT) | instid1(SALU_CYCLE_1)
	s_bitset1_b32 s0, 10
	s_mov_b32 m0, s0
	s_sendmsg sendmsg(MSG_INTERRUPT)
	s_mov_b32 m0, ttmp2
.LBB2_4673:                             ; =>This Inner Loop Header: Depth=1
	s_sethalt 5
	s_branch .LBB2_4673
.LBB2_4674:
	s_trap 2
	s_sendmsg_rtn_b32 s0, sendmsg(MSG_RTN_GET_DOORBELL)
	s_mov_b32 ttmp2, m0
	s_waitcnt lgkmcnt(0)
	s_and_b32 s0, s0, 0x3ff
	s_delay_alu instid0(SALU_CYCLE_1) | instskip(NEXT) | instid1(SALU_CYCLE_1)
	s_bitset1_b32 s0, 10
	s_mov_b32 m0, s0
	s_sendmsg sendmsg(MSG_INTERRUPT)
	s_mov_b32 m0, ttmp2
.LBB2_4675:                             ; =>This Inner Loop Header: Depth=1
	s_sethalt 5
	s_branch .LBB2_4675
.LBB2_4676:
	s_trap 2
	s_sendmsg_rtn_b32 s0, sendmsg(MSG_RTN_GET_DOORBELL)
	s_mov_b32 ttmp2, m0
	s_waitcnt lgkmcnt(0)
	s_and_b32 s0, s0, 0x3ff
	s_delay_alu instid0(SALU_CYCLE_1) | instskip(NEXT) | instid1(SALU_CYCLE_1)
	s_bitset1_b32 s0, 10
	s_mov_b32 m0, s0
	s_sendmsg sendmsg(MSG_INTERRUPT)
	s_mov_b32 m0, ttmp2
.LBB2_4677:                             ; =>This Inner Loop Header: Depth=1
	s_sethalt 5
	s_branch .LBB2_4677
.LBB2_4678:
	s_trap 2
	s_sendmsg_rtn_b32 s0, sendmsg(MSG_RTN_GET_DOORBELL)
	s_mov_b32 ttmp2, m0
	s_waitcnt lgkmcnt(0)
	s_and_b32 s0, s0, 0x3ff
	s_delay_alu instid0(SALU_CYCLE_1) | instskip(NEXT) | instid1(SALU_CYCLE_1)
	s_bitset1_b32 s0, 10
	s_mov_b32 m0, s0
	s_sendmsg sendmsg(MSG_INTERRUPT)
	s_mov_b32 m0, ttmp2
.LBB2_4679:                             ; =>This Inner Loop Header: Depth=1
	s_sethalt 5
	s_branch .LBB2_4679
.LBB2_4680:
	s_trap 2
	s_sendmsg_rtn_b32 s0, sendmsg(MSG_RTN_GET_DOORBELL)
	s_mov_b32 ttmp2, m0
	s_waitcnt lgkmcnt(0)
	s_and_b32 s0, s0, 0x3ff
	s_delay_alu instid0(SALU_CYCLE_1) | instskip(NEXT) | instid1(SALU_CYCLE_1)
	s_bitset1_b32 s0, 10
	s_mov_b32 m0, s0
	s_sendmsg sendmsg(MSG_INTERRUPT)
	s_mov_b32 m0, ttmp2
.LBB2_4681:                             ; =>This Inner Loop Header: Depth=1
	s_sethalt 5
	s_branch .LBB2_4681
.LBB2_4682:
	s_trap 2
	s_sendmsg_rtn_b32 s0, sendmsg(MSG_RTN_GET_DOORBELL)
	s_mov_b32 ttmp2, m0
	s_waitcnt lgkmcnt(0)
	s_and_b32 s0, s0, 0x3ff
	s_delay_alu instid0(SALU_CYCLE_1) | instskip(NEXT) | instid1(SALU_CYCLE_1)
	s_bitset1_b32 s0, 10
	s_mov_b32 m0, s0
	s_sendmsg sendmsg(MSG_INTERRUPT)
	s_mov_b32 m0, ttmp2
.LBB2_4683:                             ; =>This Inner Loop Header: Depth=1
	s_sethalt 5
	s_branch .LBB2_4683
.LBB2_4684:
	s_trap 2
	s_sendmsg_rtn_b32 s0, sendmsg(MSG_RTN_GET_DOORBELL)
	s_mov_b32 ttmp2, m0
	s_waitcnt lgkmcnt(0)
	s_and_b32 s0, s0, 0x3ff
	s_delay_alu instid0(SALU_CYCLE_1) | instskip(NEXT) | instid1(SALU_CYCLE_1)
	s_bitset1_b32 s0, 10
	s_mov_b32 m0, s0
	s_sendmsg sendmsg(MSG_INTERRUPT)
	s_mov_b32 m0, ttmp2
.LBB2_4685:                             ; =>This Inner Loop Header: Depth=1
	s_sethalt 5
	s_branch .LBB2_4685
.LBB2_4686:
	s_trap 2
	s_sendmsg_rtn_b32 s0, sendmsg(MSG_RTN_GET_DOORBELL)
	s_mov_b32 ttmp2, m0
	s_waitcnt lgkmcnt(0)
	s_and_b32 s0, s0, 0x3ff
	s_delay_alu instid0(SALU_CYCLE_1) | instskip(NEXT) | instid1(SALU_CYCLE_1)
	s_bitset1_b32 s0, 10
	s_mov_b32 m0, s0
	s_sendmsg sendmsg(MSG_INTERRUPT)
	s_mov_b32 m0, ttmp2
.LBB2_4687:                             ; =>This Inner Loop Header: Depth=1
	s_sethalt 5
	s_branch .LBB2_4687
.LBB2_4688:
	s_trap 2
	s_sendmsg_rtn_b32 s0, sendmsg(MSG_RTN_GET_DOORBELL)
	s_mov_b32 ttmp2, m0
	s_waitcnt lgkmcnt(0)
	s_and_b32 s0, s0, 0x3ff
	s_delay_alu instid0(SALU_CYCLE_1) | instskip(NEXT) | instid1(SALU_CYCLE_1)
	s_bitset1_b32 s0, 10
	s_mov_b32 m0, s0
	s_sendmsg sendmsg(MSG_INTERRUPT)
	s_mov_b32 m0, ttmp2
.LBB2_4689:                             ; =>This Inner Loop Header: Depth=1
	s_sethalt 5
	s_branch .LBB2_4689
.LBB2_4690:
	s_trap 2
	s_sendmsg_rtn_b32 s0, sendmsg(MSG_RTN_GET_DOORBELL)
	s_mov_b32 ttmp2, m0
	s_waitcnt lgkmcnt(0)
	s_and_b32 s0, s0, 0x3ff
	s_delay_alu instid0(SALU_CYCLE_1) | instskip(NEXT) | instid1(SALU_CYCLE_1)
	s_bitset1_b32 s0, 10
	s_mov_b32 m0, s0
	s_sendmsg sendmsg(MSG_INTERRUPT)
	s_mov_b32 m0, ttmp2
.LBB2_4691:                             ; =>This Inner Loop Header: Depth=1
	s_sethalt 5
	s_branch .LBB2_4691
.LBB2_4692:
	s_trap 2
	s_sendmsg_rtn_b32 s0, sendmsg(MSG_RTN_GET_DOORBELL)
	s_mov_b32 ttmp2, m0
	s_waitcnt lgkmcnt(0)
	s_and_b32 s0, s0, 0x3ff
	s_delay_alu instid0(SALU_CYCLE_1) | instskip(NEXT) | instid1(SALU_CYCLE_1)
	s_bitset1_b32 s0, 10
	s_mov_b32 m0, s0
	s_sendmsg sendmsg(MSG_INTERRUPT)
	s_mov_b32 m0, ttmp2
.LBB2_4693:                             ; =>This Inner Loop Header: Depth=1
	s_sethalt 5
	s_branch .LBB2_4693
.LBB2_4694:
	s_trap 2
	s_sendmsg_rtn_b32 s0, sendmsg(MSG_RTN_GET_DOORBELL)
	s_mov_b32 ttmp2, m0
	s_waitcnt lgkmcnt(0)
	s_and_b32 s0, s0, 0x3ff
	s_delay_alu instid0(SALU_CYCLE_1) | instskip(NEXT) | instid1(SALU_CYCLE_1)
	s_bitset1_b32 s0, 10
	s_mov_b32 m0, s0
	s_sendmsg sendmsg(MSG_INTERRUPT)
	s_mov_b32 m0, ttmp2
.LBB2_4695:                             ; =>This Inner Loop Header: Depth=1
	s_sethalt 5
	s_branch .LBB2_4695
.LBB2_4696:
	s_trap 2
	s_sendmsg_rtn_b32 s0, sendmsg(MSG_RTN_GET_DOORBELL)
	s_mov_b32 ttmp2, m0
	s_waitcnt lgkmcnt(0)
	s_and_b32 s0, s0, 0x3ff
	s_delay_alu instid0(SALU_CYCLE_1) | instskip(NEXT) | instid1(SALU_CYCLE_1)
	s_bitset1_b32 s0, 10
	s_mov_b32 m0, s0
	s_sendmsg sendmsg(MSG_INTERRUPT)
	s_mov_b32 m0, ttmp2
.LBB2_4697:                             ; =>This Inner Loop Header: Depth=1
	s_sethalt 5
	s_branch .LBB2_4697
.LBB2_4698:
	s_trap 2
	s_sendmsg_rtn_b32 s0, sendmsg(MSG_RTN_GET_DOORBELL)
	s_mov_b32 ttmp2, m0
	s_waitcnt lgkmcnt(0)
	s_and_b32 s0, s0, 0x3ff
	s_delay_alu instid0(SALU_CYCLE_1) | instskip(NEXT) | instid1(SALU_CYCLE_1)
	s_bitset1_b32 s0, 10
	s_mov_b32 m0, s0
	s_sendmsg sendmsg(MSG_INTERRUPT)
	s_mov_b32 m0, ttmp2
.LBB2_4699:                             ; =>This Inner Loop Header: Depth=1
	s_sethalt 5
	s_branch .LBB2_4699
.LBB2_4700:
	s_trap 2
	s_sendmsg_rtn_b32 s0, sendmsg(MSG_RTN_GET_DOORBELL)
	s_mov_b32 ttmp2, m0
	s_waitcnt lgkmcnt(0)
	s_and_b32 s0, s0, 0x3ff
	s_delay_alu instid0(SALU_CYCLE_1) | instskip(NEXT) | instid1(SALU_CYCLE_1)
	s_bitset1_b32 s0, 10
	s_mov_b32 m0, s0
	s_sendmsg sendmsg(MSG_INTERRUPT)
	s_mov_b32 m0, ttmp2
.LBB2_4701:                             ; =>This Inner Loop Header: Depth=1
	s_sethalt 5
	s_branch .LBB2_4701
.LBB2_4702:
	s_trap 2
	s_sendmsg_rtn_b32 s0, sendmsg(MSG_RTN_GET_DOORBELL)
	s_mov_b32 ttmp2, m0
	s_waitcnt lgkmcnt(0)
	s_and_b32 s0, s0, 0x3ff
	s_delay_alu instid0(SALU_CYCLE_1) | instskip(NEXT) | instid1(SALU_CYCLE_1)
	s_bitset1_b32 s0, 10
	s_mov_b32 m0, s0
	s_sendmsg sendmsg(MSG_INTERRUPT)
	s_mov_b32 m0, ttmp2
.LBB2_4703:                             ; =>This Inner Loop Header: Depth=1
	s_sethalt 5
	s_branch .LBB2_4703
.LBB2_4704:
	s_trap 2
	s_sendmsg_rtn_b32 s0, sendmsg(MSG_RTN_GET_DOORBELL)
	s_mov_b32 ttmp2, m0
	s_waitcnt lgkmcnt(0)
	s_and_b32 s0, s0, 0x3ff
	s_delay_alu instid0(SALU_CYCLE_1) | instskip(NEXT) | instid1(SALU_CYCLE_1)
	s_bitset1_b32 s0, 10
	s_mov_b32 m0, s0
	s_sendmsg sendmsg(MSG_INTERRUPT)
	s_mov_b32 m0, ttmp2
.LBB2_4705:                             ; =>This Inner Loop Header: Depth=1
	s_sethalt 5
	s_branch .LBB2_4705
.LBB2_4706:
	s_trap 2
	s_sendmsg_rtn_b32 s0, sendmsg(MSG_RTN_GET_DOORBELL)
	s_mov_b32 ttmp2, m0
	s_waitcnt lgkmcnt(0)
	s_and_b32 s0, s0, 0x3ff
	s_delay_alu instid0(SALU_CYCLE_1) | instskip(NEXT) | instid1(SALU_CYCLE_1)
	s_bitset1_b32 s0, 10
	s_mov_b32 m0, s0
	s_sendmsg sendmsg(MSG_INTERRUPT)
	s_mov_b32 m0, ttmp2
.LBB2_4707:                             ; =>This Inner Loop Header: Depth=1
	s_sethalt 5
	s_branch .LBB2_4707
.LBB2_4708:
	s_trap 2
	s_sendmsg_rtn_b32 s0, sendmsg(MSG_RTN_GET_DOORBELL)
	s_mov_b32 ttmp2, m0
	s_waitcnt lgkmcnt(0)
	s_and_b32 s0, s0, 0x3ff
	s_delay_alu instid0(SALU_CYCLE_1) | instskip(NEXT) | instid1(SALU_CYCLE_1)
	s_bitset1_b32 s0, 10
	s_mov_b32 m0, s0
	s_sendmsg sendmsg(MSG_INTERRUPT)
	s_mov_b32 m0, ttmp2
.LBB2_4709:                             ; =>This Inner Loop Header: Depth=1
	s_sethalt 5
	s_branch .LBB2_4709
.LBB2_4710:
	s_trap 2
	s_sendmsg_rtn_b32 s0, sendmsg(MSG_RTN_GET_DOORBELL)
	s_mov_b32 ttmp2, m0
	s_waitcnt lgkmcnt(0)
	s_and_b32 s0, s0, 0x3ff
	s_delay_alu instid0(SALU_CYCLE_1) | instskip(NEXT) | instid1(SALU_CYCLE_1)
	s_bitset1_b32 s0, 10
	s_mov_b32 m0, s0
	s_sendmsg sendmsg(MSG_INTERRUPT)
	s_mov_b32 m0, ttmp2
.LBB2_4711:                             ; =>This Inner Loop Header: Depth=1
	s_sethalt 5
	s_branch .LBB2_4711
.LBB2_4712:
	s_trap 2
	s_sendmsg_rtn_b32 s0, sendmsg(MSG_RTN_GET_DOORBELL)
	s_mov_b32 ttmp2, m0
	s_waitcnt lgkmcnt(0)
	s_and_b32 s0, s0, 0x3ff
	s_delay_alu instid0(SALU_CYCLE_1) | instskip(NEXT) | instid1(SALU_CYCLE_1)
	s_bitset1_b32 s0, 10
	s_mov_b32 m0, s0
	s_sendmsg sendmsg(MSG_INTERRUPT)
	s_mov_b32 m0, ttmp2
.LBB2_4713:                             ; =>This Inner Loop Header: Depth=1
	s_sethalt 5
	s_branch .LBB2_4713
.LBB2_4714:
	s_trap 2
	s_sendmsg_rtn_b32 s0, sendmsg(MSG_RTN_GET_DOORBELL)
	s_mov_b32 ttmp2, m0
	s_waitcnt lgkmcnt(0)
	s_and_b32 s0, s0, 0x3ff
	s_delay_alu instid0(SALU_CYCLE_1) | instskip(NEXT) | instid1(SALU_CYCLE_1)
	s_bitset1_b32 s0, 10
	s_mov_b32 m0, s0
	s_sendmsg sendmsg(MSG_INTERRUPT)
	s_mov_b32 m0, ttmp2
.LBB2_4715:                             ; =>This Inner Loop Header: Depth=1
	s_sethalt 5
	s_branch .LBB2_4715
.LBB2_4716:
	s_trap 2
	s_sendmsg_rtn_b32 s0, sendmsg(MSG_RTN_GET_DOORBELL)
	s_mov_b32 ttmp2, m0
	s_waitcnt lgkmcnt(0)
	s_and_b32 s0, s0, 0x3ff
	s_delay_alu instid0(SALU_CYCLE_1) | instskip(NEXT) | instid1(SALU_CYCLE_1)
	s_bitset1_b32 s0, 10
	s_mov_b32 m0, s0
	s_sendmsg sendmsg(MSG_INTERRUPT)
	s_mov_b32 m0, ttmp2
.LBB2_4717:                             ; =>This Inner Loop Header: Depth=1
	s_sethalt 5
	s_branch .LBB2_4717
.LBB2_4718:
	s_trap 2
	s_sendmsg_rtn_b32 s0, sendmsg(MSG_RTN_GET_DOORBELL)
	s_mov_b32 ttmp2, m0
	s_waitcnt lgkmcnt(0)
	s_and_b32 s0, s0, 0x3ff
	s_delay_alu instid0(SALU_CYCLE_1) | instskip(NEXT) | instid1(SALU_CYCLE_1)
	s_bitset1_b32 s0, 10
	s_mov_b32 m0, s0
	s_sendmsg sendmsg(MSG_INTERRUPT)
	s_mov_b32 m0, ttmp2
.LBB2_4719:                             ; =>This Inner Loop Header: Depth=1
	s_sethalt 5
	s_branch .LBB2_4719
.LBB2_4720:
	s_trap 2
	s_sendmsg_rtn_b32 s0, sendmsg(MSG_RTN_GET_DOORBELL)
	s_mov_b32 ttmp2, m0
	s_waitcnt lgkmcnt(0)
	s_and_b32 s0, s0, 0x3ff
	s_delay_alu instid0(SALU_CYCLE_1) | instskip(NEXT) | instid1(SALU_CYCLE_1)
	s_bitset1_b32 s0, 10
	s_mov_b32 m0, s0
	s_sendmsg sendmsg(MSG_INTERRUPT)
	s_mov_b32 m0, ttmp2
.LBB2_4721:                             ; =>This Inner Loop Header: Depth=1
	s_sethalt 5
	s_branch .LBB2_4721
.LBB2_4722:
	s_trap 2
	s_sendmsg_rtn_b32 s0, sendmsg(MSG_RTN_GET_DOORBELL)
	s_mov_b32 ttmp2, m0
	s_waitcnt lgkmcnt(0)
	s_and_b32 s0, s0, 0x3ff
	s_delay_alu instid0(SALU_CYCLE_1) | instskip(NEXT) | instid1(SALU_CYCLE_1)
	s_bitset1_b32 s0, 10
	s_mov_b32 m0, s0
	s_sendmsg sendmsg(MSG_INTERRUPT)
	s_mov_b32 m0, ttmp2
.LBB2_4723:                             ; =>This Inner Loop Header: Depth=1
	s_sethalt 5
	s_branch .LBB2_4723
.LBB2_4724:
	s_trap 2
	s_sendmsg_rtn_b32 s0, sendmsg(MSG_RTN_GET_DOORBELL)
	s_mov_b32 ttmp2, m0
	s_waitcnt lgkmcnt(0)
	s_and_b32 s0, s0, 0x3ff
	s_delay_alu instid0(SALU_CYCLE_1) | instskip(NEXT) | instid1(SALU_CYCLE_1)
	s_bitset1_b32 s0, 10
	s_mov_b32 m0, s0
	s_sendmsg sendmsg(MSG_INTERRUPT)
	s_mov_b32 m0, ttmp2
.LBB2_4725:                             ; =>This Inner Loop Header: Depth=1
	s_sethalt 5
	s_branch .LBB2_4725
.LBB2_4726:
	s_trap 2
	s_sendmsg_rtn_b32 s0, sendmsg(MSG_RTN_GET_DOORBELL)
	s_mov_b32 ttmp2, m0
	s_waitcnt lgkmcnt(0)
	s_and_b32 s0, s0, 0x3ff
	s_delay_alu instid0(SALU_CYCLE_1) | instskip(NEXT) | instid1(SALU_CYCLE_1)
	s_bitset1_b32 s0, 10
	s_mov_b32 m0, s0
	s_sendmsg sendmsg(MSG_INTERRUPT)
	s_mov_b32 m0, ttmp2
.LBB2_4727:                             ; =>This Inner Loop Header: Depth=1
	s_sethalt 5
	s_branch .LBB2_4727
.LBB2_4728:
	s_trap 2
	s_sendmsg_rtn_b32 s0, sendmsg(MSG_RTN_GET_DOORBELL)
	s_mov_b32 ttmp2, m0
	s_waitcnt lgkmcnt(0)
	s_and_b32 s0, s0, 0x3ff
	s_delay_alu instid0(SALU_CYCLE_1) | instskip(NEXT) | instid1(SALU_CYCLE_1)
	s_bitset1_b32 s0, 10
	s_mov_b32 m0, s0
	s_sendmsg sendmsg(MSG_INTERRUPT)
	s_mov_b32 m0, ttmp2
.LBB2_4729:                             ; =>This Inner Loop Header: Depth=1
	s_sethalt 5
	s_branch .LBB2_4729
.LBB2_4730:
	s_trap 2
	s_sendmsg_rtn_b32 s0, sendmsg(MSG_RTN_GET_DOORBELL)
	s_mov_b32 ttmp2, m0
	s_waitcnt lgkmcnt(0)
	s_and_b32 s0, s0, 0x3ff
	s_delay_alu instid0(SALU_CYCLE_1) | instskip(NEXT) | instid1(SALU_CYCLE_1)
	s_bitset1_b32 s0, 10
	s_mov_b32 m0, s0
	s_sendmsg sendmsg(MSG_INTERRUPT)
	s_mov_b32 m0, ttmp2
.LBB2_4731:                             ; =>This Inner Loop Header: Depth=1
	s_sethalt 5
	s_branch .LBB2_4731
.LBB2_4732:
	s_trap 2
	s_sendmsg_rtn_b32 s0, sendmsg(MSG_RTN_GET_DOORBELL)
	s_mov_b32 ttmp2, m0
	s_waitcnt lgkmcnt(0)
	s_and_b32 s0, s0, 0x3ff
	s_delay_alu instid0(SALU_CYCLE_1) | instskip(NEXT) | instid1(SALU_CYCLE_1)
	s_bitset1_b32 s0, 10
	s_mov_b32 m0, s0
	s_sendmsg sendmsg(MSG_INTERRUPT)
	s_mov_b32 m0, ttmp2
.LBB2_4733:                             ; =>This Inner Loop Header: Depth=1
	s_sethalt 5
	s_branch .LBB2_4733
.LBB2_4734:
	s_trap 2
	s_sendmsg_rtn_b32 s0, sendmsg(MSG_RTN_GET_DOORBELL)
	s_mov_b32 ttmp2, m0
	s_waitcnt lgkmcnt(0)
	s_and_b32 s0, s0, 0x3ff
	s_delay_alu instid0(SALU_CYCLE_1) | instskip(NEXT) | instid1(SALU_CYCLE_1)
	s_bitset1_b32 s0, 10
	s_mov_b32 m0, s0
	s_sendmsg sendmsg(MSG_INTERRUPT)
	s_mov_b32 m0, ttmp2
.LBB2_4735:                             ; =>This Inner Loop Header: Depth=1
	s_sethalt 5
	s_branch .LBB2_4735
.LBB2_4736:
	s_trap 2
	s_sendmsg_rtn_b32 s0, sendmsg(MSG_RTN_GET_DOORBELL)
	s_mov_b32 ttmp2, m0
	s_waitcnt lgkmcnt(0)
	s_and_b32 s0, s0, 0x3ff
	s_delay_alu instid0(SALU_CYCLE_1) | instskip(NEXT) | instid1(SALU_CYCLE_1)
	s_bitset1_b32 s0, 10
	s_mov_b32 m0, s0
	s_sendmsg sendmsg(MSG_INTERRUPT)
	s_mov_b32 m0, ttmp2
.LBB2_4737:                             ; =>This Inner Loop Header: Depth=1
	s_sethalt 5
	s_branch .LBB2_4737
.LBB2_4738:
	s_trap 2
	s_sendmsg_rtn_b32 s0, sendmsg(MSG_RTN_GET_DOORBELL)
	s_mov_b32 ttmp2, m0
	s_waitcnt lgkmcnt(0)
	s_and_b32 s0, s0, 0x3ff
	s_delay_alu instid0(SALU_CYCLE_1) | instskip(NEXT) | instid1(SALU_CYCLE_1)
	s_bitset1_b32 s0, 10
	s_mov_b32 m0, s0
	s_sendmsg sendmsg(MSG_INTERRUPT)
	s_mov_b32 m0, ttmp2
.LBB2_4739:                             ; =>This Inner Loop Header: Depth=1
	s_sethalt 5
	s_branch .LBB2_4739
.LBB2_4740:
	s_trap 2
	s_sendmsg_rtn_b32 s0, sendmsg(MSG_RTN_GET_DOORBELL)
	s_mov_b32 ttmp2, m0
	s_waitcnt lgkmcnt(0)
	s_and_b32 s0, s0, 0x3ff
	s_delay_alu instid0(SALU_CYCLE_1) | instskip(NEXT) | instid1(SALU_CYCLE_1)
	s_bitset1_b32 s0, 10
	s_mov_b32 m0, s0
	s_sendmsg sendmsg(MSG_INTERRUPT)
	s_mov_b32 m0, ttmp2
.LBB2_4741:                             ; =>This Inner Loop Header: Depth=1
	s_sethalt 5
	s_branch .LBB2_4741
.LBB2_4742:
	s_trap 2
	s_sendmsg_rtn_b32 s0, sendmsg(MSG_RTN_GET_DOORBELL)
	s_mov_b32 ttmp2, m0
	s_waitcnt lgkmcnt(0)
	s_and_b32 s0, s0, 0x3ff
	s_delay_alu instid0(SALU_CYCLE_1) | instskip(NEXT) | instid1(SALU_CYCLE_1)
	s_bitset1_b32 s0, 10
	s_mov_b32 m0, s0
	s_sendmsg sendmsg(MSG_INTERRUPT)
	s_mov_b32 m0, ttmp2
.LBB2_4743:                             ; =>This Inner Loop Header: Depth=1
	s_sethalt 5
	s_branch .LBB2_4743
.LBB2_4744:
	s_trap 2
	s_sendmsg_rtn_b32 s0, sendmsg(MSG_RTN_GET_DOORBELL)
	s_mov_b32 ttmp2, m0
	s_waitcnt lgkmcnt(0)
	s_and_b32 s0, s0, 0x3ff
	s_delay_alu instid0(SALU_CYCLE_1) | instskip(NEXT) | instid1(SALU_CYCLE_1)
	s_bitset1_b32 s0, 10
	s_mov_b32 m0, s0
	s_sendmsg sendmsg(MSG_INTERRUPT)
	s_mov_b32 m0, ttmp2
.LBB2_4745:                             ; =>This Inner Loop Header: Depth=1
	s_sethalt 5
	s_branch .LBB2_4745
.LBB2_4746:
	s_trap 2
	s_sendmsg_rtn_b32 s0, sendmsg(MSG_RTN_GET_DOORBELL)
	s_mov_b32 ttmp2, m0
	s_waitcnt lgkmcnt(0)
	s_and_b32 s0, s0, 0x3ff
	s_delay_alu instid0(SALU_CYCLE_1) | instskip(NEXT) | instid1(SALU_CYCLE_1)
	s_bitset1_b32 s0, 10
	s_mov_b32 m0, s0
	s_sendmsg sendmsg(MSG_INTERRUPT)
	s_mov_b32 m0, ttmp2
.LBB2_4747:                             ; =>This Inner Loop Header: Depth=1
	s_sethalt 5
	s_branch .LBB2_4747
.LBB2_4748:
	s_trap 2
	s_sendmsg_rtn_b32 s0, sendmsg(MSG_RTN_GET_DOORBELL)
	s_mov_b32 ttmp2, m0
	s_waitcnt lgkmcnt(0)
	s_and_b32 s0, s0, 0x3ff
	s_delay_alu instid0(SALU_CYCLE_1) | instskip(NEXT) | instid1(SALU_CYCLE_1)
	s_bitset1_b32 s0, 10
	s_mov_b32 m0, s0
	s_sendmsg sendmsg(MSG_INTERRUPT)
	s_mov_b32 m0, ttmp2
.LBB2_4749:                             ; =>This Inner Loop Header: Depth=1
	s_sethalt 5
	s_branch .LBB2_4749
.LBB2_4750:
	s_trap 2
	s_sendmsg_rtn_b32 s0, sendmsg(MSG_RTN_GET_DOORBELL)
	s_mov_b32 ttmp2, m0
	s_waitcnt lgkmcnt(0)
	s_and_b32 s0, s0, 0x3ff
	s_delay_alu instid0(SALU_CYCLE_1) | instskip(NEXT) | instid1(SALU_CYCLE_1)
	s_bitset1_b32 s0, 10
	s_mov_b32 m0, s0
	s_sendmsg sendmsg(MSG_INTERRUPT)
	s_mov_b32 m0, ttmp2
.LBB2_4751:                             ; =>This Inner Loop Header: Depth=1
	s_sethalt 5
	s_branch .LBB2_4751
.LBB2_4752:
	s_trap 2
	s_sendmsg_rtn_b32 s0, sendmsg(MSG_RTN_GET_DOORBELL)
	s_mov_b32 ttmp2, m0
	s_waitcnt lgkmcnt(0)
	s_and_b32 s0, s0, 0x3ff
	s_delay_alu instid0(SALU_CYCLE_1) | instskip(NEXT) | instid1(SALU_CYCLE_1)
	s_bitset1_b32 s0, 10
	s_mov_b32 m0, s0
	s_sendmsg sendmsg(MSG_INTERRUPT)
	s_mov_b32 m0, ttmp2
.LBB2_4753:                             ; =>This Inner Loop Header: Depth=1
	s_sethalt 5
	s_branch .LBB2_4753
.LBB2_4754:
	s_trap 2
	s_sendmsg_rtn_b32 s0, sendmsg(MSG_RTN_GET_DOORBELL)
	s_mov_b32 ttmp2, m0
	s_waitcnt lgkmcnt(0)
	s_and_b32 s0, s0, 0x3ff
	s_delay_alu instid0(SALU_CYCLE_1) | instskip(NEXT) | instid1(SALU_CYCLE_1)
	s_bitset1_b32 s0, 10
	s_mov_b32 m0, s0
	s_sendmsg sendmsg(MSG_INTERRUPT)
	s_mov_b32 m0, ttmp2
.LBB2_4755:                             ; =>This Inner Loop Header: Depth=1
	s_sethalt 5
	s_branch .LBB2_4755
.LBB2_4756:
	s_trap 2
	s_sendmsg_rtn_b32 s0, sendmsg(MSG_RTN_GET_DOORBELL)
	s_mov_b32 ttmp2, m0
	s_waitcnt lgkmcnt(0)
	s_and_b32 s0, s0, 0x3ff
	s_delay_alu instid0(SALU_CYCLE_1) | instskip(NEXT) | instid1(SALU_CYCLE_1)
	s_bitset1_b32 s0, 10
	s_mov_b32 m0, s0
	s_sendmsg sendmsg(MSG_INTERRUPT)
	s_mov_b32 m0, ttmp2
.LBB2_4757:                             ; =>This Inner Loop Header: Depth=1
	s_sethalt 5
	s_branch .LBB2_4757
.LBB2_4758:
	s_trap 2
	s_sendmsg_rtn_b32 s0, sendmsg(MSG_RTN_GET_DOORBELL)
	s_mov_b32 ttmp2, m0
	s_waitcnt lgkmcnt(0)
	s_and_b32 s0, s0, 0x3ff
	s_delay_alu instid0(SALU_CYCLE_1) | instskip(NEXT) | instid1(SALU_CYCLE_1)
	s_bitset1_b32 s0, 10
	s_mov_b32 m0, s0
	s_sendmsg sendmsg(MSG_INTERRUPT)
	s_mov_b32 m0, ttmp2
.LBB2_4759:                             ; =>This Inner Loop Header: Depth=1
	s_sethalt 5
	s_branch .LBB2_4759
.LBB2_4760:
	s_trap 2
	s_sendmsg_rtn_b32 s0, sendmsg(MSG_RTN_GET_DOORBELL)
	s_mov_b32 ttmp2, m0
	s_waitcnt lgkmcnt(0)
	s_and_b32 s0, s0, 0x3ff
	s_delay_alu instid0(SALU_CYCLE_1) | instskip(NEXT) | instid1(SALU_CYCLE_1)
	s_bitset1_b32 s0, 10
	s_mov_b32 m0, s0
	s_sendmsg sendmsg(MSG_INTERRUPT)
	s_mov_b32 m0, ttmp2
.LBB2_4761:                             ; =>This Inner Loop Header: Depth=1
	s_sethalt 5
	s_branch .LBB2_4761
.LBB2_4762:
	s_trap 2
	s_sendmsg_rtn_b32 s0, sendmsg(MSG_RTN_GET_DOORBELL)
	s_mov_b32 ttmp2, m0
	s_waitcnt lgkmcnt(0)
	s_and_b32 s0, s0, 0x3ff
	s_delay_alu instid0(SALU_CYCLE_1) | instskip(NEXT) | instid1(SALU_CYCLE_1)
	s_bitset1_b32 s0, 10
	s_mov_b32 m0, s0
	s_sendmsg sendmsg(MSG_INTERRUPT)
	s_mov_b32 m0, ttmp2
.LBB2_4763:                             ; =>This Inner Loop Header: Depth=1
	s_sethalt 5
	s_branch .LBB2_4763
.LBB2_4764:
	s_trap 2
	s_sendmsg_rtn_b32 s0, sendmsg(MSG_RTN_GET_DOORBELL)
	s_mov_b32 ttmp2, m0
	s_waitcnt lgkmcnt(0)
	s_and_b32 s0, s0, 0x3ff
	s_delay_alu instid0(SALU_CYCLE_1) | instskip(NEXT) | instid1(SALU_CYCLE_1)
	s_bitset1_b32 s0, 10
	s_mov_b32 m0, s0
	s_sendmsg sendmsg(MSG_INTERRUPT)
	s_mov_b32 m0, ttmp2
.LBB2_4765:                             ; =>This Inner Loop Header: Depth=1
	s_sethalt 5
	s_branch .LBB2_4765
.LBB2_4766:
	s_trap 2
	s_sendmsg_rtn_b32 s0, sendmsg(MSG_RTN_GET_DOORBELL)
	s_mov_b32 ttmp2, m0
	s_waitcnt lgkmcnt(0)
	s_and_b32 s0, s0, 0x3ff
	s_delay_alu instid0(SALU_CYCLE_1) | instskip(NEXT) | instid1(SALU_CYCLE_1)
	s_bitset1_b32 s0, 10
	s_mov_b32 m0, s0
	s_sendmsg sendmsg(MSG_INTERRUPT)
	s_mov_b32 m0, ttmp2
.LBB2_4767:                             ; =>This Inner Loop Header: Depth=1
	s_sethalt 5
	s_branch .LBB2_4767
.LBB2_4768:
	s_trap 2
	s_sendmsg_rtn_b32 s0, sendmsg(MSG_RTN_GET_DOORBELL)
	s_mov_b32 ttmp2, m0
	s_waitcnt lgkmcnt(0)
	s_and_b32 s0, s0, 0x3ff
	s_delay_alu instid0(SALU_CYCLE_1) | instskip(NEXT) | instid1(SALU_CYCLE_1)
	s_bitset1_b32 s0, 10
	s_mov_b32 m0, s0
	s_sendmsg sendmsg(MSG_INTERRUPT)
	s_mov_b32 m0, ttmp2
.LBB2_4769:                             ; =>This Inner Loop Header: Depth=1
	s_sethalt 5
	s_branch .LBB2_4769
.LBB2_4770:
	s_trap 2
	s_sendmsg_rtn_b32 s0, sendmsg(MSG_RTN_GET_DOORBELL)
	s_mov_b32 ttmp2, m0
	s_waitcnt lgkmcnt(0)
	s_and_b32 s0, s0, 0x3ff
	s_delay_alu instid0(SALU_CYCLE_1) | instskip(NEXT) | instid1(SALU_CYCLE_1)
	s_bitset1_b32 s0, 10
	s_mov_b32 m0, s0
	s_sendmsg sendmsg(MSG_INTERRUPT)
	s_mov_b32 m0, ttmp2
.LBB2_4771:                             ; =>This Inner Loop Header: Depth=1
	s_sethalt 5
	s_branch .LBB2_4771
.LBB2_4772:
	s_trap 2
	s_sendmsg_rtn_b32 s0, sendmsg(MSG_RTN_GET_DOORBELL)
	s_mov_b32 ttmp2, m0
	s_waitcnt lgkmcnt(0)
	s_and_b32 s0, s0, 0x3ff
	s_delay_alu instid0(SALU_CYCLE_1) | instskip(NEXT) | instid1(SALU_CYCLE_1)
	s_bitset1_b32 s0, 10
	s_mov_b32 m0, s0
	s_sendmsg sendmsg(MSG_INTERRUPT)
	s_mov_b32 m0, ttmp2
.LBB2_4773:                             ; =>This Inner Loop Header: Depth=1
	s_sethalt 5
	s_branch .LBB2_4773
.LBB2_4774:
	s_trap 2
	s_sendmsg_rtn_b32 s0, sendmsg(MSG_RTN_GET_DOORBELL)
	s_mov_b32 ttmp2, m0
	s_waitcnt lgkmcnt(0)
	s_and_b32 s0, s0, 0x3ff
	s_delay_alu instid0(SALU_CYCLE_1) | instskip(NEXT) | instid1(SALU_CYCLE_1)
	s_bitset1_b32 s0, 10
	s_mov_b32 m0, s0
	s_sendmsg sendmsg(MSG_INTERRUPT)
	s_mov_b32 m0, ttmp2
.LBB2_4775:                             ; =>This Inner Loop Header: Depth=1
	s_sethalt 5
	s_branch .LBB2_4775
.LBB2_4776:
	s_trap 2
	s_sendmsg_rtn_b32 s0, sendmsg(MSG_RTN_GET_DOORBELL)
	s_mov_b32 ttmp2, m0
	s_waitcnt lgkmcnt(0)
	s_and_b32 s0, s0, 0x3ff
	s_delay_alu instid0(SALU_CYCLE_1) | instskip(NEXT) | instid1(SALU_CYCLE_1)
	s_bitset1_b32 s0, 10
	s_mov_b32 m0, s0
	s_sendmsg sendmsg(MSG_INTERRUPT)
	s_mov_b32 m0, ttmp2
.LBB2_4777:                             ; =>This Inner Loop Header: Depth=1
	s_sethalt 5
	s_branch .LBB2_4777
.LBB2_4778:
	s_trap 2
	s_sendmsg_rtn_b32 s0, sendmsg(MSG_RTN_GET_DOORBELL)
	s_mov_b32 ttmp2, m0
	s_waitcnt lgkmcnt(0)
	s_and_b32 s0, s0, 0x3ff
	s_delay_alu instid0(SALU_CYCLE_1) | instskip(NEXT) | instid1(SALU_CYCLE_1)
	s_bitset1_b32 s0, 10
	s_mov_b32 m0, s0
	s_sendmsg sendmsg(MSG_INTERRUPT)
	s_mov_b32 m0, ttmp2
.LBB2_4779:                             ; =>This Inner Loop Header: Depth=1
	s_sethalt 5
	s_branch .LBB2_4779
.LBB2_4780:
	s_trap 2
	s_sendmsg_rtn_b32 s0, sendmsg(MSG_RTN_GET_DOORBELL)
	s_mov_b32 ttmp2, m0
	s_waitcnt lgkmcnt(0)
	s_and_b32 s0, s0, 0x3ff
	s_delay_alu instid0(SALU_CYCLE_1) | instskip(NEXT) | instid1(SALU_CYCLE_1)
	s_bitset1_b32 s0, 10
	s_mov_b32 m0, s0
	s_sendmsg sendmsg(MSG_INTERRUPT)
	s_mov_b32 m0, ttmp2
.LBB2_4781:                             ; =>This Inner Loop Header: Depth=1
	s_sethalt 5
	s_branch .LBB2_4781
.LBB2_4782:
	s_trap 2
	s_sendmsg_rtn_b32 s0, sendmsg(MSG_RTN_GET_DOORBELL)
	s_mov_b32 ttmp2, m0
	s_waitcnt lgkmcnt(0)
	s_and_b32 s0, s0, 0x3ff
	s_delay_alu instid0(SALU_CYCLE_1) | instskip(NEXT) | instid1(SALU_CYCLE_1)
	s_bitset1_b32 s0, 10
	s_mov_b32 m0, s0
	s_sendmsg sendmsg(MSG_INTERRUPT)
	s_mov_b32 m0, ttmp2
.LBB2_4783:                             ; =>This Inner Loop Header: Depth=1
	s_sethalt 5
	s_branch .LBB2_4783
.LBB2_4784:
	s_trap 2
	s_sendmsg_rtn_b32 s0, sendmsg(MSG_RTN_GET_DOORBELL)
	s_mov_b32 ttmp2, m0
	s_waitcnt lgkmcnt(0)
	s_and_b32 s0, s0, 0x3ff
	s_delay_alu instid0(SALU_CYCLE_1) | instskip(NEXT) | instid1(SALU_CYCLE_1)
	s_bitset1_b32 s0, 10
	s_mov_b32 m0, s0
	s_sendmsg sendmsg(MSG_INTERRUPT)
	s_mov_b32 m0, ttmp2
.LBB2_4785:                             ; =>This Inner Loop Header: Depth=1
	s_sethalt 5
	s_branch .LBB2_4785
.LBB2_4786:
	s_trap 2
	s_sendmsg_rtn_b32 s0, sendmsg(MSG_RTN_GET_DOORBELL)
	s_mov_b32 ttmp2, m0
	s_waitcnt lgkmcnt(0)
	s_and_b32 s0, s0, 0x3ff
	s_delay_alu instid0(SALU_CYCLE_1) | instskip(NEXT) | instid1(SALU_CYCLE_1)
	s_bitset1_b32 s0, 10
	s_mov_b32 m0, s0
	s_sendmsg sendmsg(MSG_INTERRUPT)
	s_mov_b32 m0, ttmp2
.LBB2_4787:                             ; =>This Inner Loop Header: Depth=1
	s_sethalt 5
	s_branch .LBB2_4787
.LBB2_4788:
	s_trap 2
	s_sendmsg_rtn_b32 s0, sendmsg(MSG_RTN_GET_DOORBELL)
	s_mov_b32 ttmp2, m0
	s_waitcnt lgkmcnt(0)
	s_and_b32 s0, s0, 0x3ff
	s_delay_alu instid0(SALU_CYCLE_1) | instskip(NEXT) | instid1(SALU_CYCLE_1)
	s_bitset1_b32 s0, 10
	s_mov_b32 m0, s0
	s_sendmsg sendmsg(MSG_INTERRUPT)
	s_mov_b32 m0, ttmp2
.LBB2_4789:                             ; =>This Inner Loop Header: Depth=1
	s_sethalt 5
	s_branch .LBB2_4789
.LBB2_4790:
	s_trap 2
	s_sendmsg_rtn_b32 s0, sendmsg(MSG_RTN_GET_DOORBELL)
	s_mov_b32 ttmp2, m0
	s_waitcnt lgkmcnt(0)
	s_and_b32 s0, s0, 0x3ff
	s_delay_alu instid0(SALU_CYCLE_1) | instskip(NEXT) | instid1(SALU_CYCLE_1)
	s_bitset1_b32 s0, 10
	s_mov_b32 m0, s0
	s_sendmsg sendmsg(MSG_INTERRUPT)
	s_mov_b32 m0, ttmp2
.LBB2_4791:                             ; =>This Inner Loop Header: Depth=1
	s_sethalt 5
	s_branch .LBB2_4791
.LBB2_4792:
	s_trap 2
	s_sendmsg_rtn_b32 s0, sendmsg(MSG_RTN_GET_DOORBELL)
	s_mov_b32 ttmp2, m0
	s_waitcnt lgkmcnt(0)
	s_and_b32 s0, s0, 0x3ff
	s_delay_alu instid0(SALU_CYCLE_1) | instskip(NEXT) | instid1(SALU_CYCLE_1)
	s_bitset1_b32 s0, 10
	s_mov_b32 m0, s0
	s_sendmsg sendmsg(MSG_INTERRUPT)
	s_mov_b32 m0, ttmp2
.LBB2_4793:                             ; =>This Inner Loop Header: Depth=1
	s_sethalt 5
	s_branch .LBB2_4793
.LBB2_4794:
	s_trap 2
	s_sendmsg_rtn_b32 s0, sendmsg(MSG_RTN_GET_DOORBELL)
	s_mov_b32 ttmp2, m0
	s_waitcnt lgkmcnt(0)
	s_and_b32 s0, s0, 0x3ff
	s_delay_alu instid0(SALU_CYCLE_1) | instskip(NEXT) | instid1(SALU_CYCLE_1)
	s_bitset1_b32 s0, 10
	s_mov_b32 m0, s0
	s_sendmsg sendmsg(MSG_INTERRUPT)
	s_mov_b32 m0, ttmp2
.LBB2_4795:                             ; =>This Inner Loop Header: Depth=1
	s_sethalt 5
	s_branch .LBB2_4795
.LBB2_4796:
	s_trap 2
	s_sendmsg_rtn_b32 s0, sendmsg(MSG_RTN_GET_DOORBELL)
	s_mov_b32 ttmp2, m0
	s_waitcnt lgkmcnt(0)
	s_and_b32 s0, s0, 0x3ff
	s_delay_alu instid0(SALU_CYCLE_1) | instskip(NEXT) | instid1(SALU_CYCLE_1)
	s_bitset1_b32 s0, 10
	s_mov_b32 m0, s0
	s_sendmsg sendmsg(MSG_INTERRUPT)
	s_mov_b32 m0, ttmp2
.LBB2_4797:                             ; =>This Inner Loop Header: Depth=1
	s_sethalt 5
	s_branch .LBB2_4797
.LBB2_4798:
	s_trap 2
	s_sendmsg_rtn_b32 s0, sendmsg(MSG_RTN_GET_DOORBELL)
	s_mov_b32 ttmp2, m0
	s_waitcnt lgkmcnt(0)
	s_and_b32 s0, s0, 0x3ff
	s_delay_alu instid0(SALU_CYCLE_1) | instskip(NEXT) | instid1(SALU_CYCLE_1)
	s_bitset1_b32 s0, 10
	s_mov_b32 m0, s0
	s_sendmsg sendmsg(MSG_INTERRUPT)
	s_mov_b32 m0, ttmp2
.LBB2_4799:                             ; =>This Inner Loop Header: Depth=1
	s_sethalt 5
	s_branch .LBB2_4799
.LBB2_4800:
	s_trap 2
	s_sendmsg_rtn_b32 s0, sendmsg(MSG_RTN_GET_DOORBELL)
	s_mov_b32 ttmp2, m0
	s_waitcnt lgkmcnt(0)
	s_and_b32 s0, s0, 0x3ff
	s_delay_alu instid0(SALU_CYCLE_1) | instskip(NEXT) | instid1(SALU_CYCLE_1)
	s_bitset1_b32 s0, 10
	s_mov_b32 m0, s0
	s_sendmsg sendmsg(MSG_INTERRUPT)
	s_mov_b32 m0, ttmp2
.LBB2_4801:                             ; =>This Inner Loop Header: Depth=1
	s_sethalt 5
	s_branch .LBB2_4801
.LBB2_4802:
	s_trap 2
	s_sendmsg_rtn_b32 s0, sendmsg(MSG_RTN_GET_DOORBELL)
	s_mov_b32 ttmp2, m0
	s_waitcnt lgkmcnt(0)
	s_and_b32 s0, s0, 0x3ff
	s_delay_alu instid0(SALU_CYCLE_1) | instskip(NEXT) | instid1(SALU_CYCLE_1)
	s_bitset1_b32 s0, 10
	s_mov_b32 m0, s0
	s_sendmsg sendmsg(MSG_INTERRUPT)
	s_mov_b32 m0, ttmp2
.LBB2_4803:                             ; =>This Inner Loop Header: Depth=1
	s_sethalt 5
	s_branch .LBB2_4803
.LBB2_4804:
	s_trap 2
	s_sendmsg_rtn_b32 s0, sendmsg(MSG_RTN_GET_DOORBELL)
	s_mov_b32 ttmp2, m0
	s_waitcnt lgkmcnt(0)
	s_and_b32 s0, s0, 0x3ff
	s_delay_alu instid0(SALU_CYCLE_1) | instskip(NEXT) | instid1(SALU_CYCLE_1)
	s_bitset1_b32 s0, 10
	s_mov_b32 m0, s0
	s_sendmsg sendmsg(MSG_INTERRUPT)
	s_mov_b32 m0, ttmp2
.LBB2_4805:                             ; =>This Inner Loop Header: Depth=1
	s_sethalt 5
	s_branch .LBB2_4805
.LBB2_4806:
	s_trap 2
	s_sendmsg_rtn_b32 s0, sendmsg(MSG_RTN_GET_DOORBELL)
	s_mov_b32 ttmp2, m0
	s_waitcnt lgkmcnt(0)
	s_and_b32 s0, s0, 0x3ff
	s_delay_alu instid0(SALU_CYCLE_1) | instskip(NEXT) | instid1(SALU_CYCLE_1)
	s_bitset1_b32 s0, 10
	s_mov_b32 m0, s0
	s_sendmsg sendmsg(MSG_INTERRUPT)
	s_mov_b32 m0, ttmp2
.LBB2_4807:                             ; =>This Inner Loop Header: Depth=1
	s_sethalt 5
	s_branch .LBB2_4807
.LBB2_4808:
	s_trap 2
	s_sendmsg_rtn_b32 s0, sendmsg(MSG_RTN_GET_DOORBELL)
	s_mov_b32 ttmp2, m0
	s_waitcnt lgkmcnt(0)
	s_and_b32 s0, s0, 0x3ff
	s_delay_alu instid0(SALU_CYCLE_1) | instskip(NEXT) | instid1(SALU_CYCLE_1)
	s_bitset1_b32 s0, 10
	s_mov_b32 m0, s0
	s_sendmsg sendmsg(MSG_INTERRUPT)
	s_mov_b32 m0, ttmp2
.LBB2_4809:                             ; =>This Inner Loop Header: Depth=1
	s_sethalt 5
	s_branch .LBB2_4809
.LBB2_4810:
	s_trap 2
	s_sendmsg_rtn_b32 s0, sendmsg(MSG_RTN_GET_DOORBELL)
	s_mov_b32 ttmp2, m0
	s_waitcnt lgkmcnt(0)
	s_and_b32 s0, s0, 0x3ff
	s_delay_alu instid0(SALU_CYCLE_1) | instskip(NEXT) | instid1(SALU_CYCLE_1)
	s_bitset1_b32 s0, 10
	s_mov_b32 m0, s0
	s_sendmsg sendmsg(MSG_INTERRUPT)
	s_mov_b32 m0, ttmp2
.LBB2_4811:                             ; =>This Inner Loop Header: Depth=1
	s_sethalt 5
	s_branch .LBB2_4811
.LBB2_4812:
	s_trap 2
	s_sendmsg_rtn_b32 s0, sendmsg(MSG_RTN_GET_DOORBELL)
	s_mov_b32 ttmp2, m0
	s_waitcnt lgkmcnt(0)
	s_and_b32 s0, s0, 0x3ff
	s_delay_alu instid0(SALU_CYCLE_1) | instskip(NEXT) | instid1(SALU_CYCLE_1)
	s_bitset1_b32 s0, 10
	s_mov_b32 m0, s0
	s_sendmsg sendmsg(MSG_INTERRUPT)
	s_mov_b32 m0, ttmp2
.LBB2_4813:                             ; =>This Inner Loop Header: Depth=1
	s_sethalt 5
	s_branch .LBB2_4813
.LBB2_4814:
	s_trap 2
	s_sendmsg_rtn_b32 s0, sendmsg(MSG_RTN_GET_DOORBELL)
	s_mov_b32 ttmp2, m0
	s_waitcnt lgkmcnt(0)
	s_and_b32 s0, s0, 0x3ff
	s_delay_alu instid0(SALU_CYCLE_1) | instskip(NEXT) | instid1(SALU_CYCLE_1)
	s_bitset1_b32 s0, 10
	s_mov_b32 m0, s0
	s_sendmsg sendmsg(MSG_INTERRUPT)
	s_mov_b32 m0, ttmp2
.LBB2_4815:                             ; =>This Inner Loop Header: Depth=1
	s_sethalt 5
	s_branch .LBB2_4815
.LBB2_4816:
	s_trap 2
	s_sendmsg_rtn_b32 s0, sendmsg(MSG_RTN_GET_DOORBELL)
	s_mov_b32 ttmp2, m0
	s_waitcnt lgkmcnt(0)
	s_and_b32 s0, s0, 0x3ff
	s_delay_alu instid0(SALU_CYCLE_1) | instskip(NEXT) | instid1(SALU_CYCLE_1)
	s_bitset1_b32 s0, 10
	s_mov_b32 m0, s0
	s_sendmsg sendmsg(MSG_INTERRUPT)
	s_mov_b32 m0, ttmp2
.LBB2_4817:                             ; =>This Inner Loop Header: Depth=1
	s_sethalt 5
	s_branch .LBB2_4817
.LBB2_4818:
	s_trap 2
	s_sendmsg_rtn_b32 s0, sendmsg(MSG_RTN_GET_DOORBELL)
	s_mov_b32 ttmp2, m0
	s_waitcnt lgkmcnt(0)
	s_and_b32 s0, s0, 0x3ff
	s_delay_alu instid0(SALU_CYCLE_1) | instskip(NEXT) | instid1(SALU_CYCLE_1)
	s_bitset1_b32 s0, 10
	s_mov_b32 m0, s0
	s_sendmsg sendmsg(MSG_INTERRUPT)
	s_mov_b32 m0, ttmp2
.LBB2_4819:                             ; =>This Inner Loop Header: Depth=1
	s_sethalt 5
	s_branch .LBB2_4819
.LBB2_4820:
	s_trap 2
	s_sendmsg_rtn_b32 s0, sendmsg(MSG_RTN_GET_DOORBELL)
	s_mov_b32 ttmp2, m0
	s_waitcnt lgkmcnt(0)
	s_and_b32 s0, s0, 0x3ff
	s_delay_alu instid0(SALU_CYCLE_1) | instskip(NEXT) | instid1(SALU_CYCLE_1)
	s_bitset1_b32 s0, 10
	s_mov_b32 m0, s0
	s_sendmsg sendmsg(MSG_INTERRUPT)
	s_mov_b32 m0, ttmp2
.LBB2_4821:                             ; =>This Inner Loop Header: Depth=1
	s_sethalt 5
	s_branch .LBB2_4821
.LBB2_4822:
	s_trap 2
	s_sendmsg_rtn_b32 s0, sendmsg(MSG_RTN_GET_DOORBELL)
	s_mov_b32 ttmp2, m0
	s_waitcnt lgkmcnt(0)
	s_and_b32 s0, s0, 0x3ff
	s_delay_alu instid0(SALU_CYCLE_1) | instskip(NEXT) | instid1(SALU_CYCLE_1)
	s_bitset1_b32 s0, 10
	s_mov_b32 m0, s0
	s_sendmsg sendmsg(MSG_INTERRUPT)
	s_mov_b32 m0, ttmp2
.LBB2_4823:                             ; =>This Inner Loop Header: Depth=1
	s_sethalt 5
	s_branch .LBB2_4823
.LBB2_4824:
	s_trap 2
	s_sendmsg_rtn_b32 s0, sendmsg(MSG_RTN_GET_DOORBELL)
	s_mov_b32 ttmp2, m0
	s_waitcnt lgkmcnt(0)
	s_and_b32 s0, s0, 0x3ff
	s_delay_alu instid0(SALU_CYCLE_1) | instskip(NEXT) | instid1(SALU_CYCLE_1)
	s_bitset1_b32 s0, 10
	s_mov_b32 m0, s0
	s_sendmsg sendmsg(MSG_INTERRUPT)
	s_mov_b32 m0, ttmp2
.LBB2_4825:                             ; =>This Inner Loop Header: Depth=1
	s_sethalt 5
	s_branch .LBB2_4825
.LBB2_4826:
	s_trap 2
	s_sendmsg_rtn_b32 s0, sendmsg(MSG_RTN_GET_DOORBELL)
	s_mov_b32 ttmp2, m0
	s_waitcnt lgkmcnt(0)
	s_and_b32 s0, s0, 0x3ff
	s_delay_alu instid0(SALU_CYCLE_1) | instskip(NEXT) | instid1(SALU_CYCLE_1)
	s_bitset1_b32 s0, 10
	s_mov_b32 m0, s0
	s_sendmsg sendmsg(MSG_INTERRUPT)
	s_mov_b32 m0, ttmp2
.LBB2_4827:                             ; =>This Inner Loop Header: Depth=1
	s_sethalt 5
	s_branch .LBB2_4827
.LBB2_4828:
	s_trap 2
	s_sendmsg_rtn_b32 s0, sendmsg(MSG_RTN_GET_DOORBELL)
	s_mov_b32 ttmp2, m0
	s_waitcnt lgkmcnt(0)
	s_and_b32 s0, s0, 0x3ff
	s_delay_alu instid0(SALU_CYCLE_1) | instskip(NEXT) | instid1(SALU_CYCLE_1)
	s_bitset1_b32 s0, 10
	s_mov_b32 m0, s0
	s_sendmsg sendmsg(MSG_INTERRUPT)
	s_mov_b32 m0, ttmp2
.LBB2_4829:                             ; =>This Inner Loop Header: Depth=1
	s_sethalt 5
	s_branch .LBB2_4829
.LBB2_4830:
	s_trap 2
	s_sendmsg_rtn_b32 s0, sendmsg(MSG_RTN_GET_DOORBELL)
	s_mov_b32 ttmp2, m0
	s_waitcnt lgkmcnt(0)
	s_and_b32 s0, s0, 0x3ff
	s_delay_alu instid0(SALU_CYCLE_1) | instskip(NEXT) | instid1(SALU_CYCLE_1)
	s_bitset1_b32 s0, 10
	s_mov_b32 m0, s0
	s_sendmsg sendmsg(MSG_INTERRUPT)
	s_mov_b32 m0, ttmp2
.LBB2_4831:                             ; =>This Inner Loop Header: Depth=1
	s_sethalt 5
	s_branch .LBB2_4831
.LBB2_4832:
	s_trap 2
	s_sendmsg_rtn_b32 s0, sendmsg(MSG_RTN_GET_DOORBELL)
	s_mov_b32 ttmp2, m0
	s_waitcnt lgkmcnt(0)
	s_and_b32 s0, s0, 0x3ff
	s_delay_alu instid0(SALU_CYCLE_1) | instskip(NEXT) | instid1(SALU_CYCLE_1)
	s_bitset1_b32 s0, 10
	s_mov_b32 m0, s0
	s_sendmsg sendmsg(MSG_INTERRUPT)
	s_mov_b32 m0, ttmp2
.LBB2_4833:                             ; =>This Inner Loop Header: Depth=1
	s_sethalt 5
	s_branch .LBB2_4833
.LBB2_4834:
	s_trap 2
	s_sendmsg_rtn_b32 s0, sendmsg(MSG_RTN_GET_DOORBELL)
	s_mov_b32 ttmp2, m0
	s_waitcnt lgkmcnt(0)
	s_and_b32 s0, s0, 0x3ff
	s_delay_alu instid0(SALU_CYCLE_1) | instskip(NEXT) | instid1(SALU_CYCLE_1)
	s_bitset1_b32 s0, 10
	s_mov_b32 m0, s0
	s_sendmsg sendmsg(MSG_INTERRUPT)
	s_mov_b32 m0, ttmp2
.LBB2_4835:                             ; =>This Inner Loop Header: Depth=1
	s_sethalt 5
	s_branch .LBB2_4835
.LBB2_4836:
	s_trap 2
	s_sendmsg_rtn_b32 s0, sendmsg(MSG_RTN_GET_DOORBELL)
	s_mov_b32 ttmp2, m0
	s_waitcnt lgkmcnt(0)
	s_and_b32 s0, s0, 0x3ff
	s_delay_alu instid0(SALU_CYCLE_1) | instskip(NEXT) | instid1(SALU_CYCLE_1)
	s_bitset1_b32 s0, 10
	s_mov_b32 m0, s0
	s_sendmsg sendmsg(MSG_INTERRUPT)
	s_mov_b32 m0, ttmp2
.LBB2_4837:                             ; =>This Inner Loop Header: Depth=1
	s_sethalt 5
	s_branch .LBB2_4837
.LBB2_4838:
	s_trap 2
	s_sendmsg_rtn_b32 s0, sendmsg(MSG_RTN_GET_DOORBELL)
	s_mov_b32 ttmp2, m0
	s_waitcnt lgkmcnt(0)
	s_and_b32 s0, s0, 0x3ff
	s_delay_alu instid0(SALU_CYCLE_1) | instskip(NEXT) | instid1(SALU_CYCLE_1)
	s_bitset1_b32 s0, 10
	s_mov_b32 m0, s0
	s_sendmsg sendmsg(MSG_INTERRUPT)
	s_mov_b32 m0, ttmp2
.LBB2_4839:                             ; =>This Inner Loop Header: Depth=1
	s_sethalt 5
	s_branch .LBB2_4839
.LBB2_4840:
	s_trap 2
	s_sendmsg_rtn_b32 s0, sendmsg(MSG_RTN_GET_DOORBELL)
	s_mov_b32 ttmp2, m0
	s_waitcnt lgkmcnt(0)
	s_and_b32 s0, s0, 0x3ff
	s_delay_alu instid0(SALU_CYCLE_1) | instskip(NEXT) | instid1(SALU_CYCLE_1)
	s_bitset1_b32 s0, 10
	s_mov_b32 m0, s0
	s_sendmsg sendmsg(MSG_INTERRUPT)
	s_mov_b32 m0, ttmp2
.LBB2_4841:                             ; =>This Inner Loop Header: Depth=1
	s_sethalt 5
	s_branch .LBB2_4841
.LBB2_4842:
	s_trap 2
	s_sendmsg_rtn_b32 s0, sendmsg(MSG_RTN_GET_DOORBELL)
	s_mov_b32 ttmp2, m0
	s_waitcnt lgkmcnt(0)
	s_and_b32 s0, s0, 0x3ff
	s_delay_alu instid0(SALU_CYCLE_1) | instskip(NEXT) | instid1(SALU_CYCLE_1)
	s_bitset1_b32 s0, 10
	s_mov_b32 m0, s0
	s_sendmsg sendmsg(MSG_INTERRUPT)
	s_mov_b32 m0, ttmp2
.LBB2_4843:                             ; =>This Inner Loop Header: Depth=1
	s_sethalt 5
	s_branch .LBB2_4843
.LBB2_4844:
	s_trap 2
	s_sendmsg_rtn_b32 s0, sendmsg(MSG_RTN_GET_DOORBELL)
	s_mov_b32 ttmp2, m0
	s_waitcnt lgkmcnt(0)
	s_and_b32 s0, s0, 0x3ff
	s_delay_alu instid0(SALU_CYCLE_1) | instskip(NEXT) | instid1(SALU_CYCLE_1)
	s_bitset1_b32 s0, 10
	s_mov_b32 m0, s0
	s_sendmsg sendmsg(MSG_INTERRUPT)
	s_mov_b32 m0, ttmp2
.LBB2_4845:                             ; =>This Inner Loop Header: Depth=1
	s_sethalt 5
	s_branch .LBB2_4845
.LBB2_4846:
	s_trap 2
	s_sendmsg_rtn_b32 s0, sendmsg(MSG_RTN_GET_DOORBELL)
	s_mov_b32 ttmp2, m0
	s_waitcnt lgkmcnt(0)
	s_and_b32 s0, s0, 0x3ff
	s_delay_alu instid0(SALU_CYCLE_1) | instskip(NEXT) | instid1(SALU_CYCLE_1)
	s_bitset1_b32 s0, 10
	s_mov_b32 m0, s0
	s_sendmsg sendmsg(MSG_INTERRUPT)
	s_mov_b32 m0, ttmp2
.LBB2_4847:                             ; =>This Inner Loop Header: Depth=1
	s_sethalt 5
	s_branch .LBB2_4847
.LBB2_4848:
	s_trap 2
	s_sendmsg_rtn_b32 s0, sendmsg(MSG_RTN_GET_DOORBELL)
	s_mov_b32 ttmp2, m0
	s_waitcnt lgkmcnt(0)
	s_and_b32 s0, s0, 0x3ff
	s_delay_alu instid0(SALU_CYCLE_1) | instskip(NEXT) | instid1(SALU_CYCLE_1)
	s_bitset1_b32 s0, 10
	s_mov_b32 m0, s0
	s_sendmsg sendmsg(MSG_INTERRUPT)
	s_mov_b32 m0, ttmp2
.LBB2_4849:                             ; =>This Inner Loop Header: Depth=1
	s_sethalt 5
	s_branch .LBB2_4849
.LBB2_4850:
	s_trap 2
	s_sendmsg_rtn_b32 s0, sendmsg(MSG_RTN_GET_DOORBELL)
	s_mov_b32 ttmp2, m0
	s_waitcnt lgkmcnt(0)
	s_and_b32 s0, s0, 0x3ff
	s_delay_alu instid0(SALU_CYCLE_1) | instskip(NEXT) | instid1(SALU_CYCLE_1)
	s_bitset1_b32 s0, 10
	s_mov_b32 m0, s0
	s_sendmsg sendmsg(MSG_INTERRUPT)
	s_mov_b32 m0, ttmp2
.LBB2_4851:                             ; =>This Inner Loop Header: Depth=1
	s_sethalt 5
	s_branch .LBB2_4851
.LBB2_4852:
	s_trap 2
	s_sendmsg_rtn_b32 s0, sendmsg(MSG_RTN_GET_DOORBELL)
	s_mov_b32 ttmp2, m0
	s_waitcnt lgkmcnt(0)
	s_and_b32 s0, s0, 0x3ff
	s_delay_alu instid0(SALU_CYCLE_1) | instskip(NEXT) | instid1(SALU_CYCLE_1)
	s_bitset1_b32 s0, 10
	s_mov_b32 m0, s0
	s_sendmsg sendmsg(MSG_INTERRUPT)
	s_mov_b32 m0, ttmp2
.LBB2_4853:                             ; =>This Inner Loop Header: Depth=1
	s_sethalt 5
	s_branch .LBB2_4853
.LBB2_4854:
	s_trap 2
	s_sendmsg_rtn_b32 s0, sendmsg(MSG_RTN_GET_DOORBELL)
	s_mov_b32 ttmp2, m0
	s_waitcnt lgkmcnt(0)
	s_and_b32 s0, s0, 0x3ff
	s_delay_alu instid0(SALU_CYCLE_1) | instskip(NEXT) | instid1(SALU_CYCLE_1)
	s_bitset1_b32 s0, 10
	s_mov_b32 m0, s0
	s_sendmsg sendmsg(MSG_INTERRUPT)
	s_mov_b32 m0, ttmp2
.LBB2_4855:                             ; =>This Inner Loop Header: Depth=1
	s_sethalt 5
	s_branch .LBB2_4855
.LBB2_4856:
	s_trap 2
	s_sendmsg_rtn_b32 s0, sendmsg(MSG_RTN_GET_DOORBELL)
	s_mov_b32 ttmp2, m0
	s_waitcnt lgkmcnt(0)
	s_and_b32 s0, s0, 0x3ff
	s_delay_alu instid0(SALU_CYCLE_1) | instskip(NEXT) | instid1(SALU_CYCLE_1)
	s_bitset1_b32 s0, 10
	s_mov_b32 m0, s0
	s_sendmsg sendmsg(MSG_INTERRUPT)
	s_mov_b32 m0, ttmp2
.LBB2_4857:                             ; =>This Inner Loop Header: Depth=1
	s_sethalt 5
	s_branch .LBB2_4857
.LBB2_4858:
	s_trap 2
	s_sendmsg_rtn_b32 s0, sendmsg(MSG_RTN_GET_DOORBELL)
	s_mov_b32 ttmp2, m0
	s_waitcnt lgkmcnt(0)
	s_and_b32 s0, s0, 0x3ff
	s_delay_alu instid0(SALU_CYCLE_1) | instskip(NEXT) | instid1(SALU_CYCLE_1)
	s_bitset1_b32 s0, 10
	s_mov_b32 m0, s0
	s_sendmsg sendmsg(MSG_INTERRUPT)
	s_mov_b32 m0, ttmp2
.LBB2_4859:                             ; =>This Inner Loop Header: Depth=1
	s_sethalt 5
	s_branch .LBB2_4859
.LBB2_4860:
	s_trap 2
	s_sendmsg_rtn_b32 s0, sendmsg(MSG_RTN_GET_DOORBELL)
	s_mov_b32 ttmp2, m0
	s_waitcnt lgkmcnt(0)
	s_and_b32 s0, s0, 0x3ff
	s_delay_alu instid0(SALU_CYCLE_1) | instskip(NEXT) | instid1(SALU_CYCLE_1)
	s_bitset1_b32 s0, 10
	s_mov_b32 m0, s0
	s_sendmsg sendmsg(MSG_INTERRUPT)
	s_mov_b32 m0, ttmp2
.LBB2_4861:                             ; =>This Inner Loop Header: Depth=1
	s_sethalt 5
	s_branch .LBB2_4861
.LBB2_4862:
	s_trap 2
	s_sendmsg_rtn_b32 s0, sendmsg(MSG_RTN_GET_DOORBELL)
	s_mov_b32 ttmp2, m0
	s_waitcnt lgkmcnt(0)
	s_and_b32 s0, s0, 0x3ff
	s_delay_alu instid0(SALU_CYCLE_1) | instskip(NEXT) | instid1(SALU_CYCLE_1)
	s_bitset1_b32 s0, 10
	s_mov_b32 m0, s0
	s_sendmsg sendmsg(MSG_INTERRUPT)
	s_mov_b32 m0, ttmp2
.LBB2_4863:                             ; =>This Inner Loop Header: Depth=1
	s_sethalt 5
	s_branch .LBB2_4863
.LBB2_4864:
	s_trap 2
	s_sendmsg_rtn_b32 s0, sendmsg(MSG_RTN_GET_DOORBELL)
	s_mov_b32 ttmp2, m0
	s_waitcnt lgkmcnt(0)
	s_and_b32 s0, s0, 0x3ff
	s_delay_alu instid0(SALU_CYCLE_1) | instskip(NEXT) | instid1(SALU_CYCLE_1)
	s_bitset1_b32 s0, 10
	s_mov_b32 m0, s0
	s_sendmsg sendmsg(MSG_INTERRUPT)
	s_mov_b32 m0, ttmp2
.LBB2_4865:                             ; =>This Inner Loop Header: Depth=1
	s_sethalt 5
	s_branch .LBB2_4865
.LBB2_4866:
	s_trap 2
	s_sendmsg_rtn_b32 s0, sendmsg(MSG_RTN_GET_DOORBELL)
	s_mov_b32 ttmp2, m0
	s_waitcnt lgkmcnt(0)
	s_and_b32 s0, s0, 0x3ff
	s_delay_alu instid0(SALU_CYCLE_1) | instskip(NEXT) | instid1(SALU_CYCLE_1)
	s_bitset1_b32 s0, 10
	s_mov_b32 m0, s0
	s_sendmsg sendmsg(MSG_INTERRUPT)
	s_mov_b32 m0, ttmp2
.LBB2_4867:                             ; =>This Inner Loop Header: Depth=1
	s_sethalt 5
	s_branch .LBB2_4867
.LBB2_4868:
	s_trap 2
	s_sendmsg_rtn_b32 s0, sendmsg(MSG_RTN_GET_DOORBELL)
	s_mov_b32 ttmp2, m0
	s_waitcnt lgkmcnt(0)
	s_and_b32 s0, s0, 0x3ff
	s_delay_alu instid0(SALU_CYCLE_1) | instskip(NEXT) | instid1(SALU_CYCLE_1)
	s_bitset1_b32 s0, 10
	s_mov_b32 m0, s0
	s_sendmsg sendmsg(MSG_INTERRUPT)
	s_mov_b32 m0, ttmp2
.LBB2_4869:                             ; =>This Inner Loop Header: Depth=1
	s_sethalt 5
	s_branch .LBB2_4869
.LBB2_4870:
	s_trap 2
	s_sendmsg_rtn_b32 s0, sendmsg(MSG_RTN_GET_DOORBELL)
	s_mov_b32 ttmp2, m0
	s_waitcnt lgkmcnt(0)
	s_and_b32 s0, s0, 0x3ff
	s_delay_alu instid0(SALU_CYCLE_1) | instskip(NEXT) | instid1(SALU_CYCLE_1)
	s_bitset1_b32 s0, 10
	s_mov_b32 m0, s0
	s_sendmsg sendmsg(MSG_INTERRUPT)
	s_mov_b32 m0, ttmp2
.LBB2_4871:                             ; =>This Inner Loop Header: Depth=1
	s_sethalt 5
	s_branch .LBB2_4871
.LBB2_4872:
	s_trap 2
	s_sendmsg_rtn_b32 s0, sendmsg(MSG_RTN_GET_DOORBELL)
	s_mov_b32 ttmp2, m0
	s_waitcnt lgkmcnt(0)
	s_and_b32 s0, s0, 0x3ff
	s_delay_alu instid0(SALU_CYCLE_1) | instskip(NEXT) | instid1(SALU_CYCLE_1)
	s_bitset1_b32 s0, 10
	s_mov_b32 m0, s0
	s_sendmsg sendmsg(MSG_INTERRUPT)
	s_mov_b32 m0, ttmp2
.LBB2_4873:                             ; =>This Inner Loop Header: Depth=1
	s_sethalt 5
	s_branch .LBB2_4873
.LBB2_4874:
	s_trap 2
	s_sendmsg_rtn_b32 s0, sendmsg(MSG_RTN_GET_DOORBELL)
	s_mov_b32 ttmp2, m0
	s_waitcnt lgkmcnt(0)
	s_and_b32 s0, s0, 0x3ff
	s_delay_alu instid0(SALU_CYCLE_1) | instskip(NEXT) | instid1(SALU_CYCLE_1)
	s_bitset1_b32 s0, 10
	s_mov_b32 m0, s0
	s_sendmsg sendmsg(MSG_INTERRUPT)
	s_mov_b32 m0, ttmp2
.LBB2_4875:                             ; =>This Inner Loop Header: Depth=1
	s_sethalt 5
	s_branch .LBB2_4875
.LBB2_4876:
	s_trap 2
	s_sendmsg_rtn_b32 s0, sendmsg(MSG_RTN_GET_DOORBELL)
	s_mov_b32 ttmp2, m0
	s_waitcnt lgkmcnt(0)
	s_and_b32 s0, s0, 0x3ff
	s_delay_alu instid0(SALU_CYCLE_1) | instskip(NEXT) | instid1(SALU_CYCLE_1)
	s_bitset1_b32 s0, 10
	s_mov_b32 m0, s0
	s_sendmsg sendmsg(MSG_INTERRUPT)
	s_mov_b32 m0, ttmp2
.LBB2_4877:                             ; =>This Inner Loop Header: Depth=1
	s_sethalt 5
	s_branch .LBB2_4877
.LBB2_4878:
	s_trap 2
	s_sendmsg_rtn_b32 s0, sendmsg(MSG_RTN_GET_DOORBELL)
	s_mov_b32 ttmp2, m0
	s_waitcnt lgkmcnt(0)
	s_and_b32 s0, s0, 0x3ff
	s_delay_alu instid0(SALU_CYCLE_1) | instskip(NEXT) | instid1(SALU_CYCLE_1)
	s_bitset1_b32 s0, 10
	s_mov_b32 m0, s0
	s_sendmsg sendmsg(MSG_INTERRUPT)
	s_mov_b32 m0, ttmp2
.LBB2_4879:                             ; =>This Inner Loop Header: Depth=1
	s_sethalt 5
	s_branch .LBB2_4879
.LBB2_4880:
	s_trap 2
	s_sendmsg_rtn_b32 s0, sendmsg(MSG_RTN_GET_DOORBELL)
	s_mov_b32 ttmp2, m0
	s_waitcnt lgkmcnt(0)
	s_and_b32 s0, s0, 0x3ff
	s_delay_alu instid0(SALU_CYCLE_1) | instskip(NEXT) | instid1(SALU_CYCLE_1)
	s_bitset1_b32 s0, 10
	s_mov_b32 m0, s0
	s_sendmsg sendmsg(MSG_INTERRUPT)
	s_mov_b32 m0, ttmp2
.LBB2_4881:                             ; =>This Inner Loop Header: Depth=1
	s_sethalt 5
	s_branch .LBB2_4881
.LBB2_4882:
	s_trap 2
	s_sendmsg_rtn_b32 s0, sendmsg(MSG_RTN_GET_DOORBELL)
	s_mov_b32 ttmp2, m0
	s_waitcnt lgkmcnt(0)
	s_and_b32 s0, s0, 0x3ff
	s_delay_alu instid0(SALU_CYCLE_1) | instskip(NEXT) | instid1(SALU_CYCLE_1)
	s_bitset1_b32 s0, 10
	s_mov_b32 m0, s0
	s_sendmsg sendmsg(MSG_INTERRUPT)
	s_mov_b32 m0, ttmp2
.LBB2_4883:                             ; =>This Inner Loop Header: Depth=1
	s_sethalt 5
	s_branch .LBB2_4883
.LBB2_4884:
	s_trap 2
	s_sendmsg_rtn_b32 s0, sendmsg(MSG_RTN_GET_DOORBELL)
	s_mov_b32 ttmp2, m0
	s_waitcnt lgkmcnt(0)
	s_and_b32 s0, s0, 0x3ff
	s_delay_alu instid0(SALU_CYCLE_1) | instskip(NEXT) | instid1(SALU_CYCLE_1)
	s_bitset1_b32 s0, 10
	s_mov_b32 m0, s0
	s_sendmsg sendmsg(MSG_INTERRUPT)
	s_mov_b32 m0, ttmp2
.LBB2_4885:                             ; =>This Inner Loop Header: Depth=1
	s_sethalt 5
	s_branch .LBB2_4885
.Lfunc_end2:
	.size	_ZN12_GLOBAL__N_17runRingI11rccl_float87FuncSumIS1_E11ProtoSimpleILi2ELi2ELi0ELi1ELi0ELi0EELi0ELi0ELi1ELi0EEEviiP15ncclDevWorkColl, .Lfunc_end2-_ZN12_GLOBAL__N_17runRingI11rccl_float87FuncSumIS1_E11ProtoSimpleILi2ELi2ELi0ELi1ELi0ELi0EELi0ELi0ELi1ELi0EEEviiP15ncclDevWorkColl
                                        ; -- End function
	.section	.AMDGPU.csdata,"",@progbits
; Function info:
; codeLenInByte = 185756
; NumSgprs: 50
; NumVgprs: 180
; ScratchSize: 80
; MemoryBound: 1
	.text
	.p2align	2                               ; -- Begin function _Z50ncclDevFunc_AllReduce_RING_SIMPLE_Sum_f8e4m3_0_0_1v
	.type	_Z50ncclDevFunc_AllReduce_RING_SIMPLE_Sum_f8e4m3_0_0_1v,@function
_Z50ncclDevFunc_AllReduce_RING_SIMPLE_Sum_f8e4m3_0_0_1v: ; @_Z50ncclDevFunc_AllReduce_RING_SIMPLE_Sum_f8e4m3_0_0_1v
; %bb.0:
	s_waitcnt vmcnt(0) expcnt(0) lgkmcnt(0)
	s_mov_b32 s0, s33
	s_mov_b32 s33, s32
	s_or_saveexec_b32 s1, -1
	scratch_store_b32 off, v40, s33 offset:8 ; 4-byte Folded Spill
	s_mov_b32 exec_lo, s1
	v_writelane_b32 v40, s0, 21
	s_add_i32 s32, s32, 16
	s_clause 0x1
	scratch_store_b32 off, v41, s33 offset:4
	; meta instruction
	scratch_store_b32 off, v42, s33
	v_writelane_b32 v40, s34, 0
	v_writelane_b32 v40, s35, 1
	;; [unrolled: 1-line block ×21, first 2 shown]
	s_cbranch_execnz .LBB3_13
; %bb.1:
	ds_load_b32 v0, v0
	s_waitcnt lgkmcnt(0)
	v_cmp_gt_i32_e32 vcc_lo, 1, v0
	s_cbranch_vccnz .LBB3_12
; %bb.2:
	v_and_b32_e32 v180, 0x3ff, v31
	s_mov_b32 s52, 0
	s_mov_b64 s[50:51], src_shared_base
.LBB3_3:                                ; =>This Inner Loop Header: Depth=1
	s_cbranch_execnz .LBB3_15
; %bb.4:                                ;   in Loop: Header=BB3_3 Depth=1
	ds_load_b32 v0, v0
	s_cmp_eq_u32 s52, 0
	s_cbranch_scc1 .LBB3_8
; %bb.5:                                ;   in Loop: Header=BB3_3 Depth=1
	s_cbranch_execnz .LBB3_19
; %bb.6:                                ;   in Loop: Header=BB3_3 Depth=1
	s_waitcnt lgkmcnt(0)
	ds_load_b32 v1, v0
	s_waitcnt lgkmcnt(0)
	v_xor_b32_e32 v1, v1, v0
	s_delay_alu instid0(VALU_DEP_1) | instskip(NEXT) | instid1(VALU_DEP_1)
	v_and_b32_e32 v1, 0xff0000, v1
	v_cmp_eq_u32_e32 vcc_lo, 0, v1
	s_cbranch_vccnz .LBB3_8
; %bb.7:                                ;   in Loop: Header=BB3_3 Depth=1
	s_waitcnt_vscnt null, 0x0
	s_barrier
	buffer_gl0_inv
	ds_load_b32 v0, v0
.LBB3_8:                                ;   in Loop: Header=BB3_3 Depth=1
	s_waitcnt lgkmcnt(0)
	v_lshrrev_b32_e32 v0, 11, v0
	s_mov_b32 s50, exec_lo
	s_delay_alu instid0(VALU_DEP_1) | instskip(NEXT) | instid1(VALU_DEP_1)
	v_and_b32_e32 v1, 0x1fe0, v0
	v_cmpx_lt_u32_e64 v180, v1
	s_cbranch_execz .LBB3_10
; %bb.9:                                ;   in Loop: Header=BB3_3 Depth=1
	v_dual_mov_b32 v181, v31 :: v_dual_mov_b32 v0, v180
	v_mov_b32_e32 v3, s51
	s_getpc_b64 s[0:1]
	s_add_u32 s0, s0, _ZN12_GLOBAL__N_17runRingI11rccl_float87FuncSumIS1_E11ProtoSimpleILi2ELi2ELi0ELi1ELi0ELi0EELi0ELi0ELi1ELi0EEEviiP15ncclDevWorkColl@rel32@lo+4
	s_addc_u32 s1, s1, _ZN12_GLOBAL__N_17runRingI11rccl_float87FuncSumIS1_E11ProtoSimpleILi2ELi2ELi0ELi1ELi0ELi0EELi0ELi0ELi1ELi0EEEviiP15ncclDevWorkColl@rel32@hi+12
	s_mov_b64 s[48:49], s[8:9]
	s_mov_b32 s45, s12
	s_swappc_b64 s[30:31], s[0:1]
	v_mov_b32_e32 v31, v181
	s_mov_b32 s12, s45
	s_mov_b64 s[8:9], s[48:49]
.LBB3_10:                               ;   in Loop: Header=BB3_3 Depth=1
	s_or_b32 exec_lo, exec_lo, s50
	s_cbranch_execnz .LBB3_17
; %bb.11:                               ;   in Loop: Header=BB3_3 Depth=1
	ds_load_b32 v0, v0
	s_add_i32 s52, s52, 1
	s_waitcnt lgkmcnt(0)
	v_cmp_lt_i32_e32 vcc_lo, s52, v0
	s_cbranch_vccnz .LBB3_3
.LBB3_12:
	s_clause 0x1
	scratch_load_b32 v42, off, s33
	scratch_load_b32 v41, off, s33 offset:4
	v_readlane_b32 s30, v40, 19
	v_readlane_b32 s31, v40, 20
	v_readlane_b32 s52, v40, 18
	v_readlane_b32 s51, v40, 17
	v_readlane_b32 s50, v40, 16
	v_readlane_b32 s49, v40, 15
	v_readlane_b32 s48, v40, 14
	v_readlane_b32 s47, v40, 13
	v_readlane_b32 s46, v40, 12
	v_readlane_b32 s45, v40, 11
	v_readlane_b32 s44, v40, 10
	v_readlane_b32 s43, v40, 9
	v_readlane_b32 s42, v40, 8
	v_readlane_b32 s41, v40, 7
	v_readlane_b32 s40, v40, 6
	v_readlane_b32 s39, v40, 5
	v_readlane_b32 s38, v40, 4
	v_readlane_b32 s37, v40, 3
	v_readlane_b32 s36, v40, 2
	v_readlane_b32 s35, v40, 1
	v_readlane_b32 s34, v40, 0
	v_readlane_b32 s0, v40, 21
	s_or_saveexec_b32 s1, -1
	scratch_load_b32 v40, off, s33 offset:8 ; 4-byte Folded Reload
	s_mov_b32 exec_lo, s1
	s_add_i32 s32, s32, -16
	s_mov_b32 s33, s0
	s_waitcnt vmcnt(0)
	s_setpc_b64 s[30:31]
.LBB3_13:
	s_trap 2
	s_sendmsg_rtn_b32 s0, sendmsg(MSG_RTN_GET_DOORBELL)
	s_mov_b32 ttmp2, m0
	s_waitcnt lgkmcnt(0)
	s_and_b32 s0, s0, 0x3ff
	s_delay_alu instid0(SALU_CYCLE_1) | instskip(NEXT) | instid1(SALU_CYCLE_1)
	s_bitset1_b32 s0, 10
	s_mov_b32 m0, s0
	s_sendmsg sendmsg(MSG_INTERRUPT)
	s_mov_b32 m0, ttmp2
.LBB3_14:                               ; =>This Inner Loop Header: Depth=1
	s_sethalt 5
	s_branch .LBB3_14
.LBB3_15:
	s_trap 2
	s_sendmsg_rtn_b32 s0, sendmsg(MSG_RTN_GET_DOORBELL)
	s_mov_b32 ttmp2, m0
	s_waitcnt lgkmcnt(0)
	s_and_b32 s0, s0, 0x3ff
	s_delay_alu instid0(SALU_CYCLE_1) | instskip(NEXT) | instid1(SALU_CYCLE_1)
	s_bitset1_b32 s0, 10
	s_mov_b32 m0, s0
	s_sendmsg sendmsg(MSG_INTERRUPT)
	s_mov_b32 m0, ttmp2
.LBB3_16:                               ; =>This Inner Loop Header: Depth=1
	s_sethalt 5
	s_branch .LBB3_16
.LBB3_17:
	s_trap 2
	s_sendmsg_rtn_b32 s0, sendmsg(MSG_RTN_GET_DOORBELL)
	s_mov_b32 ttmp2, m0
	s_waitcnt lgkmcnt(0)
	s_and_b32 s0, s0, 0x3ff
	s_delay_alu instid0(SALU_CYCLE_1) | instskip(NEXT) | instid1(SALU_CYCLE_1)
	s_bitset1_b32 s0, 10
	s_mov_b32 m0, s0
	s_sendmsg sendmsg(MSG_INTERRUPT)
	s_mov_b32 m0, ttmp2
.LBB3_18:                               ; =>This Inner Loop Header: Depth=1
	s_sethalt 5
	s_branch .LBB3_18
.LBB3_19:
	s_trap 2
	s_sendmsg_rtn_b32 s0, sendmsg(MSG_RTN_GET_DOORBELL)
	s_mov_b32 ttmp2, m0
	s_waitcnt lgkmcnt(0)
	s_and_b32 s0, s0, 0x3ff
	s_delay_alu instid0(SALU_CYCLE_1) | instskip(NEXT) | instid1(SALU_CYCLE_1)
	s_bitset1_b32 s0, 10
	s_mov_b32 m0, s0
	s_sendmsg sendmsg(MSG_INTERRUPT)
	s_mov_b32 m0, ttmp2
.LBB3_20:                               ; =>This Inner Loop Header: Depth=1
	s_sethalt 5
	s_branch .LBB3_20
.Lfunc_end3:
	.size	_Z50ncclDevFunc_AllReduce_RING_SIMPLE_Sum_f8e4m3_0_0_1v, .Lfunc_end3-_Z50ncclDevFunc_AllReduce_RING_SIMPLE_Sum_f8e4m3_0_0_1v
                                        ; -- End function
	.section	.AMDGPU.csdata,"",@progbits
; Function info:
; codeLenInByte = 916
; NumSgprs: 55
; NumVgprs: 182
; ScratchSize: 96
; MemoryBound: 0
	.text
	.p2align	2                               ; -- Begin function _ZN12_GLOBAL__N_17runRingI11rccl_float87FuncSumIS1_E11ProtoSimpleILi2ELi2ELi0ELi2ELi0ELi0EELi0ELi0ELi2ELi0EEEviiP15ncclDevWorkColl
	.type	_ZN12_GLOBAL__N_17runRingI11rccl_float87FuncSumIS1_E11ProtoSimpleILi2ELi2ELi0ELi2ELi0ELi0EELi0ELi0ELi2ELi0EEEviiP15ncclDevWorkColl,@function
_ZN12_GLOBAL__N_17runRingI11rccl_float87FuncSumIS1_E11ProtoSimpleILi2ELi2ELi0ELi2ELi0ELi0EELi0ELi0ELi2ELi0EEEviiP15ncclDevWorkColl: ; @_ZN12_GLOBAL__N_17runRingI11rccl_float87FuncSumIS1_E11ProtoSimpleILi2ELi2ELi0ELi2ELi0ELi0EELi0ELi0ELi2ELi0EEEviiP15ncclDevWorkColl
; %bb.0:
	s_waitcnt vmcnt(0) expcnt(0) lgkmcnt(0)
	s_mov_b32 s0, s33
	s_mov_b32 s33, s32
	s_or_saveexec_b32 s1, -1
	s_clause 0x1
	scratch_store_b32 off, v47, s33 offset:28
	; meta instruction
	scratch_store_b32 off, v56, s33 offset:32
	s_mov_b32 exec_lo, s1
	v_writelane_b32 v47, s0, 13
	s_add_i32 s32, s32, 48
	s_clause 0x6
	scratch_store_b32 off, v40, s33 offset:24
	; meta instruction
	scratch_store_b32 off, v41, s33 offset:20
	; meta instruction
	;; [unrolled: 2-line block ×6, first 2 shown]
	scratch_store_b32 off, v46, s33
	v_writelane_b32 v47, s34, 0
	v_writelane_b32 v47, s35, 1
	;; [unrolled: 1-line block ×13, first 2 shown]
	s_cbranch_execz .LBB4_1
; %bb.6613:
	s_getpc_b64 s[46:47]
.Lpost_getpc80:
	s_add_u32 s46, s46, (.LBB4_6075-.Lpost_getpc80)&4294967295
	s_addc_u32 s47, s47, (.LBB4_6075-.Lpost_getpc80)>>32
	s_setpc_b64 s[46:47]
.LBB4_1:
	flat_load_b32 v7, v[2:3]
	ds_load_b32 v6, v0
	s_mov_b32 s0, exec_lo
                                        ; implicit-def: $vgpr14_vgpr15
                                        ; implicit-def: $vgpr24_vgpr25
                                        ; implicit-def: $vgpr4_vgpr5
	s_waitcnt lgkmcnt(0)
	v_readfirstlane_b32 s19, v6
	s_waitcnt vmcnt(0)
	v_and_b32_e32 v8, 0xff, v7
	s_delay_alu instid0(VALU_DEP_1)
	v_cmpx_ne_u32_e64 v8, v6
	s_xor_b32 s0, exec_lo, s0
	s_cbranch_execz .LBB4_2
; %bb.6615:
	s_getpc_b64 s[46:47]
.Lpost_getpc81:
	s_add_u32 s46, s46, (.LBB4_6077-.Lpost_getpc81)&4294967295
	s_addc_u32 s47, s47, (.LBB4_6077-.Lpost_getpc81)>>32
	s_setpc_b64 s[46:47]
.LBB4_2:
	s_and_not1_saveexec_b32 s0, s0
	s_cbranch_execz .LBB4_3
; %bb.6617:
	s_getpc_b64 s[46:47]
.Lpost_getpc82:
	s_add_u32 s46, s46, (.LBB4_6082-.Lpost_getpc82)&4294967295
	s_addc_u32 s47, s47, (.LBB4_6082-.Lpost_getpc82)>>32
	s_setpc_b64 s[46:47]
.LBB4_3:
	s_or_b32 exec_lo, exec_lo, s0
	s_cbranch_execz .LBB4_4
; %bb.6619:
	s_getpc_b64 s[46:47]
.Lpost_getpc83:
	s_add_u32 s46, s46, (.LBB4_6083-.Lpost_getpc83)&4294967295
	s_addc_u32 s47, s47, (.LBB4_6083-.Lpost_getpc83)>>32
	s_setpc_b64 s[46:47]
.LBB4_4:
	ds_load_b64 v[6:7], v0
	s_mov_b32 s1, exec_lo
	s_waitcnt lgkmcnt(0)
	v_cmp_ne_u32_e32 vcc_lo, -1, v6
	v_cndmask_b32_e64 v17, 0, 1, vcc_lo
	v_cmp_ne_u32_e32 vcc_lo, -1, v7
	s_delay_alu instid0(VALU_DEP_2) | instskip(NEXT) | instid1(VALU_DEP_1)
	v_add_co_ci_u32_e64 v8, s0, 0, v17, vcc_lo
	v_lshlrev_b32_e32 v6, 1, v8
	s_delay_alu instid0(VALU_DEP_1)
	v_cmpx_le_i32_e64 v6, v1
	s_xor_b32 s18, exec_lo, s1
	s_cbranch_execnz .LBB4_5
; %bb.6621:
	s_getpc_b64 s[46:47]
.Lpost_getpc84:
	s_add_u32 s46, s46, (.LBB4_6326-.Lpost_getpc84)&4294967295
	s_addc_u32 s47, s47, (.LBB4_6326-.Lpost_getpc84)>>32
	s_setpc_b64 s[46:47]
.LBB4_5:
	s_clause 0x3
	flat_load_b64 v[15:16], v[2:3] offset:104
	flat_load_b128 v[10:13], v[2:3] offset:16
	flat_load_u16 v7, v[2:3] offset:8
	flat_load_b32 v6, v[2:3] offset:4
	s_cbranch_execz .LBB4_6
; %bb.6623:
	s_getpc_b64 s[46:47]
.Lpost_getpc85:
	s_add_u32 s46, s46, (.LBB4_6085-.Lpost_getpc85)&4294967295
	s_addc_u32 s47, s47, (.LBB4_6085-.Lpost_getpc85)>>32
	s_setpc_b64 s[46:47]
.LBB4_6:
	s_load_b32 s0, s[8:9], 0x0
	v_dual_mov_b32 v9, 0 :: v_dual_mov_b32 v30, 4
	s_waitcnt lgkmcnt(0)
	s_cmp_lt_u32 s12, s0
	s_cselect_b32 s0, 12, 18
	s_delay_alu instid0(SALU_CYCLE_1)
	s_add_u32 s0, s8, s0
	s_addc_u32 s1, s9, 0
	global_load_u16 v18, v9, s[0:1]
	ds_load_b32 v9, v0
	s_mov_b32 s1, exec_lo
	s_waitcnt lgkmcnt(0)
	v_readfirstlane_b32 s5, v9
	v_cmpx_ge_i32_e64 v0, v17
	s_cbranch_execz .LBB4_16
; %bb.7:
	v_cmp_le_u32_e64 s0, v8, v0
                                        ; implicit-def: $vgpr30
	s_delay_alu instid0(VALU_DEP_1) | instskip(NEXT) | instid1(SALU_CYCLE_1)
	s_and_saveexec_b32 s2, s0
	s_xor_b32 s0, exec_lo, s2
	s_cbranch_execz .LBB4_13
; %bb.8:
	v_cndmask_b32_e64 v9, 0, 1, vcc_lo
	s_mov_b32 s2, exec_lo
                                        ; implicit-def: $sgpr3
	s_delay_alu instid0(VALU_DEP_1) | instskip(NEXT) | instid1(VALU_DEP_1)
	v_sub_nc_u32_e32 v9, v1, v9
	v_cmpx_ge_u32_e64 v0, v9
	s_xor_b32 s2, exec_lo, s2
; %bb.9:
	s_mov_b32 s3, 16
                                        ; implicit-def: $vgpr8
; %bb.10:
	s_or_saveexec_b32 s2, s2
	v_mov_b32_e32 v30, s3
	s_xor_b32 exec_lo, exec_lo, s2
; %bb.11:
	v_sub_nc_u32_e32 v8, v1, v8
	s_delay_alu instid0(VALU_DEP_1) | instskip(SKIP_1) | instid1(VALU_DEP_1)
	v_cmp_ge_i32_e32 vcc_lo, v0, v8
	v_cndmask_b32_e64 v8, 0, 1, vcc_lo
	v_lshlrev_b32_e32 v30, 5, v8
; %bb.12:
	s_or_b32 exec_lo, exec_lo, s2
.LBB4_13:
	s_and_not1_saveexec_b32 s0, s0
; %bb.14:
	v_mov_b32_e32 v30, 8
; %bb.15:
	s_or_b32 exec_lo, exec_lo, s0
.LBB4_16:
	s_delay_alu instid0(SALU_CYCLE_1) | instskip(NEXT) | instid1(VALU_DEP_1)
	s_or_b32 exec_lo, exec_lo, s1
	v_and_b32_e32 v8, 36, v30
	s_delay_alu instid0(VALU_DEP_1)
	v_cmp_ne_u32_e32 vcc_lo, 0, v8
	v_mov_b32_e32 v8, -1
	s_and_saveexec_b32 s0, vcc_lo
	s_cbranch_execz .LBB4_19
; %bb.17:
	s_cbranch_execz .LBB4_18
; %bb.6625:
	s_getpc_b64 s[46:47]
.Lpost_getpc86:
	s_add_u32 s46, s46, (.LBB4_6087-.Lpost_getpc86)&4294967295
	s_addc_u32 s47, s47, (.LBB4_6087-.Lpost_getpc86)>>32
	s_setpc_b64 s[46:47]
.LBB4_18:
	ds_load_b32 v8, v0
.LBB4_19:
	s_or_b32 exec_lo, exec_lo, s0
	v_and_b32_e32 v9, 24, v30
	s_mov_b32 s1, exec_lo
	s_delay_alu instid0(VALU_DEP_1)
	v_cmpx_ne_u32_e32 0, v9
	s_cbranch_execz .LBB4_22
; %bb.20:
	s_cbranch_execz .LBB4_21
; %bb.6627:
	s_getpc_b64 s[46:47]
.Lpost_getpc87:
	s_add_u32 s46, s46, (.LBB4_6089-.Lpost_getpc87)&4294967295
	s_addc_u32 s47, s47, (.LBB4_6089-.Lpost_getpc87)>>32
	s_setpc_b64 s[46:47]
.LBB4_21:
	s_waitcnt lgkmcnt(0)
	ds_load_b32 v8, v0
.LBB4_22:
	s_or_b32 exec_lo, exec_lo, s1
	s_waitcnt vmcnt(1)
	v_lshrrev_b64 v[6:7], 31, v[6:7]
	v_mov_b32_e32 v28, 0
	v_mov_b32_e32 v29, 0
                                        ; implicit-def: $vgpr26_vgpr27
                                        ; implicit-def: $vgpr86
                                        ; implicit-def: $vgpr34_vgpr35
                                        ; implicit-def: $vgpr36_vgpr37
                                        ; implicit-def: $vgpr50_vgpr51
                                        ; implicit-def: $vgpr32_vgpr33
	s_delay_alu instid0(VALU_DEP_2) | instskip(NEXT) | instid1(VALU_DEP_2)
	v_dual_mov_b32 v6, v28 :: v_dual_and_b32 v19, 3, v6
	v_mov_b32_e32 v7, v29
	s_and_saveexec_b32 s0, vcc_lo
	s_cbranch_execz .LBB4_35
; %bb.23:
	s_cbranch_execz .LBB4_24
; %bb.6629:
	s_getpc_b64 s[46:47]
.Lpost_getpc88:
	s_add_u32 s46, s46, (.LBB4_6091-.Lpost_getpc88)&4294967295
	s_addc_u32 s47, s47, (.LBB4_6091-.Lpost_getpc88)>>32
	s_setpc_b64 s[46:47]
.LBB4_24:
	ds_load_b64 v[6:7], v0
	s_waitcnt lgkmcnt(1)
	v_ashrrev_i32_e32 v9, 31, v8
	s_mov_b32 s1, exec_lo
                                        ; implicit-def: $vgpr26_vgpr27
	s_delay_alu instid0(VALU_DEP_1) | instskip(SKIP_2) | instid1(VALU_DEP_2)
	v_lshlrev_b64 v[20:21], 3, v[8:9]
	v_and_b32_e32 v9, 0xffff, v19
	s_waitcnt lgkmcnt(0)
	v_add_co_u32 v6, vcc_lo, v6, v20
	s_delay_alu instid0(VALU_DEP_3)
	v_add_co_ci_u32_e32 v7, vcc_lo, v7, v21, vcc_lo
	flat_load_b64 v[6:7], v[6:7]
	s_waitcnt vmcnt(0) lgkmcnt(0)
	v_mad_u64_u32 v[20:21], null, 0xa8, v9, v[6:7]
	flat_load_b32 v6, v[20:21] offset:640
	v_add_co_u32 v28, vcc_lo, 0x1f8, v20
	v_add_co_ci_u32_e32 v29, vcc_lo, 0, v21, vcc_lo
	s_waitcnt vmcnt(0) lgkmcnt(0)
	v_cmpx_eq_u32_e32 1, v6
	s_cbranch_execz .LBB4_27
; %bb.25:
	flat_load_b64 v[26:27], v[28:29] offset:144
	s_waitcnt vmcnt(0) lgkmcnt(0)
	flat_load_b64 v[6:7], v[26:27]
	s_cbranch_execz .LBB4_26
; %bb.6631:
	s_getpc_b64 s[46:47]
.Lpost_getpc89:
	s_add_u32 s46, s46, (.LBB4_6099-.Lpost_getpc89)&4294967295
	s_addc_u32 s47, s47, (.LBB4_6099-.Lpost_getpc89)>>32
	s_setpc_b64 s[46:47]
.LBB4_26:
	s_waitcnt vmcnt(0) lgkmcnt(0)
	ds_store_b64 v0, v[6:7]
	flat_load_b64 v[6:7], v[26:27] offset:8
	v_or_b32_e32 v30, 0x2000, v30
	s_waitcnt vmcnt(0) lgkmcnt(0)
	ds_store_b64 v0, v[6:7]
	flat_load_b64 v[6:7], v[26:27] offset:16
	s_waitcnt vmcnt(0) lgkmcnt(0)
	ds_store_b64 v0, v[6:7]
.LBB4_27:
	s_or_b32 exec_lo, exec_lo, s1
	flat_load_b64 v[6:7], v[28:29] offset:104
	v_and_b32_e32 v9, 32, v30
	s_mov_b32 s1, exec_lo
                                        ; implicit-def: $vgpr32_vgpr33
	s_waitcnt vmcnt(0) lgkmcnt(0)
	v_add_co_u32 v6, vcc_lo, v6, 3
	v_add_co_ci_u32_e32 v35, vcc_lo, 0, v7, vcc_lo
	s_delay_alu instid0(VALU_DEP_2)
	v_and_b32_e32 v34, -4, v6
	v_cmpx_ne_u32_e32 0, v9
	s_cbranch_execz .LBB4_29
; %bb.28:
	flat_load_b64 v[32:33], v[28:29] offset:56
	s_waitcnt vmcnt(0) lgkmcnt(0)
	s_waitcnt_vscnt null, 0x0
	flat_store_b64 v[32:33], v[34:35]
.LBB4_29:
	s_or_b32 exec_lo, exec_lo, s1
	v_dual_mov_b32 v6, 0 :: v_dual_and_b32 v9, 4, v30
	v_mov_b32_e32 v7, 0
	s_mov_b32 s1, exec_lo
                                        ; implicit-def: $vgpr86
                                        ; implicit-def: $vgpr36_vgpr37
                                        ; implicit-def: $vgpr50_vgpr51
	s_delay_alu instid0(VALU_DEP_2)
	v_cmpx_ne_u32_e32 0, v9
	s_cbranch_execz .LBB4_34
; %bb.30:
	v_and_b32_e32 v6, 0x800, v30
	s_mov_b32 s2, exec_lo
	s_delay_alu instid0(VALU_DEP_1)
	v_cmpx_eq_u32_e32 0, v6
	s_cbranch_execz .LBB4_33
; %bb.31:
	s_cbranch_execz .LBB4_32
; %bb.6633:
	s_getpc_b64 s[46:47]
.Lpost_getpc90:
	s_add_u32 s46, s46, (.LBB4_6101-.Lpost_getpc90)&4294967295
	s_addc_u32 s47, s47, (.LBB4_6101-.Lpost_getpc90)>>32
	s_setpc_b64 s[46:47]
.LBB4_32:
	ds_store_b64 v0, v[28:29]
.LBB4_33:
	s_or_b32 exec_lo, exec_lo, s2
	flat_load_b64 v[32:33], v[28:29] offset:48
	v_or_b32_e32 v9, 0x100, v30
	s_waitcnt vmcnt(0) lgkmcnt(0)
	flat_load_b64 v[50:51], v[32:33] glc
	s_clause 0x2
	flat_load_b64 v[6:7], v[28:29] offset:96
	flat_load_b32 v86, v[28:29] offset:72
	flat_load_b64 v[36:37], v[28:29] offset:16
	s_waitcnt vmcnt(2) lgkmcnt(2)
	v_cmp_eq_u64_e32 vcc_lo, 0, v[6:7]
	v_cndmask_b32_e32 v30, v9, v30, vcc_lo
.LBB4_34:
	s_or_b32 exec_lo, exec_lo, s1
.LBB4_35:
	s_delay_alu instid0(SALU_CYCLE_1) | instskip(NEXT) | instid1(VALU_DEP_1)
	s_or_b32 exec_lo, exec_lo, s0
	v_and_b32_e32 v9, 24, v30
	s_mov_b32 s0, exec_lo
                                        ; implicit-def: $vgpr38_vgpr39
	s_delay_alu instid0(VALU_DEP_1)
	v_cmpx_ne_u32_e32 0, v9
	s_cbranch_execz .LBB4_45
; %bb.36:
	s_cbranch_execz .LBB4_37
; %bb.6635:
	s_getpc_b64 s[46:47]
.Lpost_getpc91:
	s_add_u32 s46, s46, (.LBB4_6093-.Lpost_getpc91)&4294967295
	s_addc_u32 s47, s47, (.LBB4_6093-.Lpost_getpc91)>>32
	s_setpc_b64 s[46:47]
.LBB4_37:
	ds_load_b64 v[6:7], v0
	s_waitcnt lgkmcnt(1)
	v_ashrrev_i32_e32 v9, 31, v8
	s_mov_b32 s1, exec_lo
                                        ; implicit-def: $vgpr38_vgpr39
	s_delay_alu instid0(VALU_DEP_1) | instskip(SKIP_1) | instid1(VALU_DEP_1)
	v_lshlrev_b64 v[8:9], 3, v[8:9]
	s_waitcnt lgkmcnt(0)
	v_add_co_u32 v6, vcc_lo, v6, v8
	s_delay_alu instid0(VALU_DEP_2)
	v_add_co_ci_u32_e32 v7, vcc_lo, v7, v9, vcc_lo
	v_and_b32_e32 v8, 0xffff, v19
	v_or_b32_e32 v19, 0x100, v30
	flat_load_b64 v[6:7], v[6:7]
	s_waitcnt vmcnt(0) lgkmcnt(0)
	v_mad_u64_u32 v[28:29], null, 0xa8, v8, v[6:7]
	flat_load_b128 v[6:9], v[28:29] offset:96
	s_waitcnt vmcnt(0) lgkmcnt(0)
	v_cmp_eq_u64_e32 vcc_lo, 0, v[6:7]
	v_cndmask_b32_e32 v30, v19, v30, vcc_lo
	s_delay_alu instid0(VALU_DEP_1) | instskip(NEXT) | instid1(VALU_DEP_1)
	v_and_b32_e32 v19, 16, v30
	v_cmpx_ne_u32_e32 0, v19
; %bb.38:
	s_clause 0x2
	flat_load_b64 v[38:39], v[28:29] offset:120
	flat_load_b64 v[32:33], v[28:29] offset:48
	flat_load_b64 v[36:37], v[28:29] offset:16
; %bb.39:
	s_or_b32 exec_lo, exec_lo, s1
	v_and_b32_e32 v19, 8, v30
	s_mov_b32 s1, exec_lo
	s_delay_alu instid0(VALU_DEP_1)
	v_cmpx_ne_u32_e32 0, v19
	s_cbranch_execz .LBB4_44
; %bb.40:
	v_and_b32_e32 v19, 0x800, v30
	s_mov_b32 s2, exec_lo
	s_delay_alu instid0(VALU_DEP_1)
	v_cmpx_eq_u32_e32 0, v19
	s_cbranch_execz .LBB4_43
; %bb.41:
	s_cbranch_execz .LBB4_42
; %bb.6637:
	s_getpc_b64 s[46:47]
.Lpost_getpc92:
	s_add_u32 s46, s46, (.LBB4_6103-.Lpost_getpc92)&4294967295
	s_addc_u32 s47, s47, (.LBB4_6103-.Lpost_getpc92)>>32
	s_setpc_b64 s[46:47]
.LBB4_42:
	ds_store_b64 v0, v[28:29]
.LBB4_43:
	s_or_b32 exec_lo, exec_lo, s2
	s_waitcnt vmcnt(1) lgkmcnt(1)
	flat_load_b64 v[32:33], v[28:29] offset:56
	s_waitcnt vmcnt(0) lgkmcnt(0)
	flat_load_b64 v[50:51], v[32:33] glc
	s_clause 0x1
	flat_load_b32 v86, v[28:29] offset:72
	flat_load_b64 v[36:37], v[28:29] offset:16
.LBB4_44:
	s_or_b32 exec_lo, exec_lo, s1
	v_add_co_u32 v8, vcc_lo, v8, 3
	v_add_co_ci_u32_e32 v35, vcc_lo, 0, v9, vcc_lo
	s_delay_alu instid0(VALU_DEP_2)
	v_and_b32_e32 v34, -4, v8
.LBB4_45:
	s_or_b32 exec_lo, exec_lo, s0
	v_cmp_eq_u32_e64 s0, 0, v0
	s_delay_alu instid0(VALU_DEP_1)
	s_and_saveexec_b32 s1, s0
	s_cbranch_execz .LBB4_48
; %bb.46:
	s_waitcnt lgkmcnt(0)
	flat_load_b64 v[8:9], v[2:3] offset:32
	ds_store_2addr_b64 v0, v[12:13], v[10:11] offset1:1
	s_cbranch_execz .LBB4_47
; %bb.6639:
	s_getpc_b64 s[46:47]
.Lpost_getpc93:
	s_add_u32 s46, s46, (.LBB4_6095-.Lpost_getpc93)&4294967295
	s_addc_u32 s47, s47, (.LBB4_6095-.Lpost_getpc93)>>32
	s_setpc_b64 s[46:47]
.LBB4_47:
	s_waitcnt vmcnt(0) lgkmcnt(1)
	ds_store_b64 v0, v[8:9]
	ds_store_b64 v0, v[15:16]
.LBB4_48:
	s_or_b32 exec_lo, exec_lo, s1
	s_waitcnt vmcnt(0)
	v_dual_mov_b32 v48, 0 :: v_dual_and_b32 v87, 0xffff, v18
	v_mov_b32_e32 v49, 0
	s_mov_b32 s20, exec_lo
	v_cmpx_lt_i64_e32 0, v[4:5]
	s_cbranch_execnz .LBB4_49
; %bb.6641:
	s_getpc_b64 s[46:47]
.Lpost_getpc94:
	s_add_u32 s46, s46, (.LBB4_6069-.Lpost_getpc94)&4294967295
	s_addc_u32 s47, s47, (.LBB4_6069-.Lpost_getpc94)>>32
	s_setpc_b64 s[46:47]
.LBB4_49:
	s_waitcnt lgkmcnt(0)
	flat_load_b32 v8, v[2:3] offset:4
	v_dual_mov_b32 v3, 0 :: v_dual_and_b32 v2, 31, v31
	s_ashr_i32 s21, s19, 31
	s_add_u32 s22, s19, -1
	s_addc_u32 s23, s21, -1
	s_not_b32 s2, s19
	v_cmp_ge_i32_e32 vcc_lo, v0, v1
	v_cmp_eq_u32_e64 s1, 0, v2
	s_cmp_gt_i32 s19, 0
	s_mov_b32 s24, 0
	s_cselect_b32 s26, s2, -1
	s_cbranch_execz .LBB4_50
; %bb.6643:
	s_getpc_b64 s[46:47]
.Lpost_getpc95:
	s_add_u32 s46, s46, (.LBB4_6097-.Lpost_getpc95)&4294967295
	s_addc_u32 s47, s47, (.LBB4_6097-.Lpost_getpc95)>>32
	s_setpc_b64 s[46:47]
.LBB4_50:
	v_ashrrev_i32_e32 v9, 31, v0
	v_lshrrev_b32_e32 v97, 5, v1
	v_and_b32_e32 v2, 0x3ffffe00, v14
	s_waitcnt vmcnt(0) lgkmcnt(0)
	v_and_b32_e32 v8, 1, v8
	s_ashr_i32 s2, s5, 31
	v_lshrrev_b32_e32 v9, 27, v9
	v_dual_mov_b32 v134, 1 :: v_dual_lshlrev_b32 v101, 9, v97
	s_add_i32 s25, s19, s19
	s_lshr_b32 s2, s2, 25
	s_delay_alu instid0(VALU_DEP_2) | instskip(SKIP_1) | instid1(VALU_DEP_2)
	v_dual_mov_b32 v54, 0 :: v_dual_add_nc_u32 v9, v0, v9
	v_mov_b32_e32 v55, 0
	v_mov_b32_e32 v48, v54
	v_dual_mov_b32 v65, v3 :: v_dual_and_b32 v98, 0xffffffe0, v1
	s_delay_alu instid0(VALU_DEP_3) | instskip(SKIP_3) | instid1(VALU_DEP_4)
	v_dual_mov_b32 v49, v55 :: v_dual_and_b32 v10, 0xffffffe0, v9
	v_ashrrev_i32_e32 v99, 5, v9
	v_lshl_add_u32 v9, v97, 11, 0xfffff800
	v_dual_mov_b32 v64, v2 :: v_dual_add_nc_u32 v103, 0xfffffe00, v101
	v_sub_nc_u32_e32 v100, v0, v10
	s_delay_alu instid0(VALU_DEP_4) | instskip(SKIP_3) | instid1(VALU_DEP_4)
	v_lshlrev_b32_e32 v10, 11, v99
	v_subrev_nc_u32_e32 v116, 32, v98
	v_add_co_u32 v113, s7, 0x800, v9
	v_ashrrev_i32_e32 v115, 31, v103
	v_lshl_add_u32 v102, v100, 4, v10
	v_ashrrev_i32_e32 v10, 31, v9
	v_ashrrev_i32_e32 v119, 31, v116
	s_add_i32 s26, s26, s25
	s_add_i32 s5, s5, s2
	s_ashr_i32 s27, s26, 31
	v_add_co_ci_u32_e64 v114, s7, 0, v10, s7
	v_add_co_u32 v117, s7, 0x200, v103
	s_delay_alu instid0(VALU_DEP_1) | instskip(SKIP_1) | instid1(VALU_DEP_1)
	v_add_co_ci_u32_e64 v118, s7, 0, v115, s7
	v_add_co_u32 v128, s7, v116, 32
	v_add_co_ci_u32_e64 v129, s7, 0, v119, s7
	v_cmp_eq_u32_e64 s7, 1, v8
	v_lshlrev_b32_e32 v8, 10, v99
	s_ashr_i32 s28, s5, 7
	s_cmp_gt_i32 s19, 2
	v_mad_i64_i32 v[52:53], null, v2, s19, 0
	s_delay_alu instid0(VALU_DEP_2)
	v_sub_nc_u32_e32 v130, v102, v8
	v_lshl_add_u32 v8, v97, 10, 0xfffffc00
	s_cselect_b32 s17, -1, 0
	s_add_i32 s2, s19, 1
	s_xor_b32 vcc_hi, s7, -1
	s_cmp_le_i32 s19, s2
	v_ashrrev_i32_e32 v9, 31, v8
	s_cselect_b32 s13, s19, 0
	v_cmp_eq_u64_e64 s10, 0, v[38:39]
	s_sub_i32 s14, s2, s13
	v_add_co_u32 v132, s13, 0x400, v8
	v_cmp_ne_u64_e64 s11, 0, v[38:39]
	v_ashrrev_i32_e32 v96, 31, v86
	v_cmp_eq_u32_e64 s29, 32, v1
	v_cmp_ne_u32_e64 s3, 32, v1
	v_cmp_ne_u32_e64 s4, v87, v1
	v_cmp_gt_i32_e64 s5, 1, v100
	v_cmp_lt_i32_e64 s6, v100, v17
	v_ashrrev_i32_e32 v112, 31, v102
	v_cmp_le_i32_e64 s12, v100, v17
	v_ashrrev_i32_e32 v131, 31, v130
	v_add_co_ci_u32_e64 v133, s13, 0, v9, s13
	s_ashr_i32 s31, s14, 31
	s_add_i32 s34, s19, -2
	s_xor_b32 s30, vcc_lo, -1
	s_sub_i32 s35, 0, s19
                                        ; implicit-def: $vgpr56 : SGPR spill to VGPR lane
	v_writelane_b32 v56, s17, 0
.LBB4_51:                               ; =>This Loop Header: Depth=1
                                        ;     Child Loop BB4_59 Depth 2
                                        ;       Child Loop BB4_68 Depth 3
                                        ;       Child Loop BB4_95 Depth 3
	;; [unrolled: 1-line block ×9, first 2 shown]
                                        ;     Child Loop BB4_222 Depth 2
                                        ;       Child Loop BB4_228 Depth 3
                                        ;       Child Loop BB4_255 Depth 3
	;; [unrolled: 1-line block ×3, first 2 shown]
                                        ;     Child Loop BB4_303 Depth 2
                                        ;       Child Loop BB4_305 Depth 3
                                        ;         Child Loop BB4_314 Depth 4
                                        ;         Child Loop BB4_344 Depth 4
	;; [unrolled: 1-line block ×9, first 2 shown]
                                        ;       Child Loop BB4_2031 Depth 3
                                        ;         Child Loop BB4_2037 Depth 4
                                        ;         Child Loop BB4_2069 Depth 4
	;; [unrolled: 1-line block ×3, first 2 shown]
                                        ;     Child Loop BB4_2119 Depth 2
                                        ;       Child Loop BB4_2128 Depth 3
                                        ;       Child Loop BB4_2158 Depth 3
	;; [unrolled: 1-line block ×5, first 2 shown]
                                        ;         Child Loop BB4_3238 Depth 4
                                        ;       Child Loop BB4_3380 Depth 3
                                        ;       Child Loop BB4_3767 Depth 3
                                        ;         Child Loop BB4_3784 Depth 4
                                        ;       Child Loop BB4_3808 Depth 3
                                        ;       Child Loop BB4_4582 Depth 3
	;; [unrolled: 1-line block ×6, first 2 shown]
                                        ;     Child Loop BB4_5446 Depth 2
                                        ;       Child Loop BB4_5452 Depth 3
                                        ;       Child Loop BB4_5484 Depth 3
	;; [unrolled: 1-line block ×3, first 2 shown]
                                        ;     Child Loop BB4_5532 Depth 2
                                        ;       Child Loop BB4_5534 Depth 3
                                        ;         Child Loop BB4_5543 Depth 4
                                        ;         Child Loop BB4_5573 Depth 4
	;; [unrolled: 1-line block ×5, first 2 shown]
                                        ;           Child Loop BB4_5628 Depth 5
                                        ;         Child Loop BB4_5639 Depth 4
                                        ;         Child Loop BB4_5645 Depth 4
                                        ;           Child Loop BB4_5646 Depth 5
                                        ;         Child Loop BB4_5660 Depth 4
                                        ;         Child Loop BB4_5666 Depth 4
	;; [unrolled: 1-line block ×6, first 2 shown]
                                        ;       Child Loop BB4_5741 Depth 3
                                        ;         Child Loop BB4_5747 Depth 4
                                        ;         Child Loop BB4_5779 Depth 4
	;; [unrolled: 1-line block ×3, first 2 shown]
                                        ;     Child Loop BB4_5829 Depth 2
                                        ;       Child Loop BB4_5838 Depth 3
                                        ;       Child Loop BB4_5865 Depth 3
                                        ;       Child Loop BB4_5888 Depth 3
                                        ;       Child Loop BB4_5911 Depth 3
                                        ;       Child Loop BB4_5917 Depth 3
                                        ;       Child Loop BB4_5927 Depth 3
                                        ;       Child Loop BB4_5933 Depth 3
                                        ;       Child Loop BB4_5945 Depth 3
                                        ;       Child Loop BB4_5971 Depth 3
                                        ;     Child Loop BB4_5990 Depth 2
                                        ;       Child Loop BB4_5996 Depth 3
                                        ;       Child Loop BB4_6023 Depth 3
	;; [unrolled: 1-line block ×3, first 2 shown]
	v_sub_co_u32 v66, vcc_lo, v4, v54
	v_sub_co_ci_u32_e32 v67, vcc_lo, v5, v55, vcc_lo
	s_mov_b32 s36, exec_lo
	s_delay_alu instid0(VALU_DEP_1)
	v_cmpx_lt_i64_e64 v[66:67], v[52:53]
	s_cbranch_execz .LBB4_57
; %bb.52:                               ;   in Loop: Header=BB4_51 Depth=1
	v_add_co_u32 v2, vcc_lo, s22, v66
	v_add_co_ci_u32_e32 v10, vcc_lo, s23, v67, vcc_lo
	v_mov_b32_e32 v8, v3
	s_delay_alu instid0(VALU_DEP_2) | instskip(NEXT) | instid1(VALU_DEP_1)
	v_or_b32_e32 v9, s21, v10
	v_cmp_ne_u64_e32 vcc_lo, 0, v[8:9]
                                        ; implicit-def: $vgpr8_vgpr9
	s_and_saveexec_b32 s2, vcc_lo
	s_delay_alu instid0(SALU_CYCLE_1)
	s_xor_b32 s37, exec_lo, s2
	s_cbranch_execz .LBB4_54
; %bb.53:                               ;   in Loop: Header=BB4_51 Depth=1
	s_add_u32 s16, s19, s21
	s_mov_b32 s2, s5
	s_mov_b32 s5, s12
	;; [unrolled: 1-line block ×5, first 2 shown]
	s_addc_u32 s17, s21, s21
	s_delay_alu instid0(SALU_CYCLE_1) | instskip(NEXT) | instid1(SALU_CYCLE_1)
	s_xor_b64 s[16:17], s[16:17], s[14:15]
	v_cvt_f32_u32_e32 v8, s16
	v_cvt_f32_u32_e32 v9, s17
	s_sub_u32 s13, 0, s16
	s_subb_u32 s38, 0, s17
	s_delay_alu instid0(VALU_DEP_1) | instskip(NEXT) | instid1(VALU_DEP_1)
	v_fmac_f32_e32 v8, 0x4f800000, v9
	v_rcp_f32_e32 v8, v8
	s_waitcnt_depctr 0xfff
	v_mul_f32_e32 v8, 0x5f7ffffc, v8
	s_delay_alu instid0(VALU_DEP_1) | instskip(NEXT) | instid1(VALU_DEP_1)
	v_mul_f32_e32 v9, 0x2f800000, v8
	v_trunc_f32_e32 v9, v9
	s_delay_alu instid0(VALU_DEP_1) | instskip(SKIP_1) | instid1(VALU_DEP_2)
	v_fmac_f32_e32 v8, 0xcf800000, v9
	v_cvt_u32_f32_e32 v9, v9
	v_cvt_u32_f32_e32 v8, v8
	s_delay_alu instid0(VALU_DEP_2) | instskip(NEXT) | instid1(VALU_DEP_2)
	v_mul_lo_u32 v11, s13, v9
	v_mul_hi_u32 v12, s13, v8
	v_mul_lo_u32 v13, s38, v8
	s_delay_alu instid0(VALU_DEP_2) | instskip(SKIP_1) | instid1(VALU_DEP_2)
	v_add_nc_u32_e32 v11, v12, v11
	v_mul_lo_u32 v12, s13, v8
	v_add_nc_u32_e32 v11, v11, v13
	s_delay_alu instid0(VALU_DEP_2) | instskip(NEXT) | instid1(VALU_DEP_2)
	v_mul_hi_u32 v13, v8, v12
	v_mul_lo_u32 v14, v8, v11
	v_mul_hi_u32 v15, v8, v11
	v_mul_hi_u32 v16, v9, v12
	v_mul_lo_u32 v12, v9, v12
	v_mul_hi_u32 v17, v9, v11
	v_mul_lo_u32 v11, v9, v11
	v_add_co_u32 v13, vcc_lo, v13, v14
	v_add_co_ci_u32_e32 v14, vcc_lo, 0, v15, vcc_lo
	s_delay_alu instid0(VALU_DEP_2) | instskip(NEXT) | instid1(VALU_DEP_2)
	v_add_co_u32 v12, vcc_lo, v13, v12
	v_add_co_ci_u32_e32 v12, vcc_lo, v14, v16, vcc_lo
	v_add_co_ci_u32_e32 v13, vcc_lo, 0, v17, vcc_lo
	v_ashrrev_i32_e32 v16, 31, v10
	s_delay_alu instid0(VALU_DEP_3) | instskip(NEXT) | instid1(VALU_DEP_3)
	v_add_co_u32 v11, vcc_lo, v12, v11
	v_add_co_ci_u32_e32 v12, vcc_lo, 0, v13, vcc_lo
	s_delay_alu instid0(VALU_DEP_2) | instskip(NEXT) | instid1(VALU_DEP_2)
	v_add_co_u32 v8, vcc_lo, v8, v11
	v_add_co_ci_u32_e32 v9, vcc_lo, v9, v12, vcc_lo
	s_delay_alu instid0(VALU_DEP_2) | instskip(SKIP_1) | instid1(VALU_DEP_3)
	v_mul_hi_u32 v11, s13, v8
	v_mul_lo_u32 v13, s38, v8
	v_mul_lo_u32 v12, s13, v9
	s_delay_alu instid0(VALU_DEP_1) | instskip(SKIP_1) | instid1(VALU_DEP_2)
	v_add_nc_u32_e32 v11, v11, v12
	v_mul_lo_u32 v12, s13, v8
	v_add_nc_u32_e32 v11, v11, v13
	s_delay_alu instid0(VALU_DEP_2) | instskip(NEXT) | instid1(VALU_DEP_2)
	v_mul_hi_u32 v13, v8, v12
	v_mul_lo_u32 v14, v8, v11
	v_mul_hi_u32 v15, v8, v11
	v_mul_hi_u32 v17, v9, v12
	v_mul_lo_u32 v12, v9, v12
	v_mul_hi_u32 v18, v9, v11
	v_mul_lo_u32 v11, v9, v11
	v_add_co_u32 v13, vcc_lo, v13, v14
	v_add_co_ci_u32_e32 v14, vcc_lo, 0, v15, vcc_lo
	s_delay_alu instid0(VALU_DEP_2) | instskip(NEXT) | instid1(VALU_DEP_2)
	v_add_co_u32 v12, vcc_lo, v13, v12
	v_add_co_ci_u32_e32 v12, vcc_lo, v14, v17, vcc_lo
	v_add_co_ci_u32_e32 v13, vcc_lo, 0, v18, vcc_lo
	v_add_co_u32 v2, vcc_lo, v2, v16
	v_add_co_ci_u32_e32 v10, vcc_lo, v10, v16, vcc_lo
	s_delay_alu instid0(VALU_DEP_4) | instskip(NEXT) | instid1(VALU_DEP_4)
	v_add_co_u32 v11, vcc_lo, v12, v11
	v_add_co_ci_u32_e32 v12, vcc_lo, 0, v13, vcc_lo
	s_delay_alu instid0(VALU_DEP_4) | instskip(NEXT) | instid1(VALU_DEP_3)
	v_xor_b32_e32 v2, v2, v16
	v_add_co_u32 v13, vcc_lo, v8, v11
	s_delay_alu instid0(VALU_DEP_3) | instskip(SKIP_1) | instid1(VALU_DEP_3)
	v_add_co_ci_u32_e32 v14, vcc_lo, v9, v12, vcc_lo
	v_xor_b32_e32 v15, v10, v16
	v_mul_hi_u32 v17, v2, v13
	s_delay_alu instid0(VALU_DEP_3) | instskip(NEXT) | instid1(VALU_DEP_3)
	v_mad_u64_u32 v[8:9], null, v2, v14, 0
	v_mad_u64_u32 v[10:11], null, v15, v13, 0
	v_mad_u64_u32 v[12:13], null, v15, v14, 0
	s_delay_alu instid0(VALU_DEP_3) | instskip(NEXT) | instid1(VALU_DEP_4)
	v_add_co_u32 v8, vcc_lo, v17, v8
	v_add_co_ci_u32_e32 v9, vcc_lo, 0, v9, vcc_lo
	s_delay_alu instid0(VALU_DEP_2) | instskip(NEXT) | instid1(VALU_DEP_2)
	v_add_co_u32 v8, vcc_lo, v8, v10
	v_add_co_ci_u32_e32 v8, vcc_lo, v9, v11, vcc_lo
	v_add_co_ci_u32_e32 v9, vcc_lo, 0, v13, vcc_lo
	s_delay_alu instid0(VALU_DEP_2) | instskip(NEXT) | instid1(VALU_DEP_2)
	v_add_co_u32 v10, vcc_lo, v8, v12
	v_add_co_ci_u32_e32 v11, vcc_lo, 0, v9, vcc_lo
	s_delay_alu instid0(VALU_DEP_2) | instskip(SKIP_1) | instid1(VALU_DEP_3)
	v_mul_lo_u32 v12, s17, v10
	v_mad_u64_u32 v[8:9], null, s16, v10, 0
	v_mul_lo_u32 v13, s16, v11
	s_delay_alu instid0(VALU_DEP_2) | instskip(NEXT) | instid1(VALU_DEP_2)
	v_sub_co_u32 v2, vcc_lo, v2, v8
	v_add3_u32 v9, v9, v13, v12
	s_delay_alu instid0(VALU_DEP_1) | instskip(NEXT) | instid1(VALU_DEP_1)
	v_sub_nc_u32_e32 v12, v15, v9
	v_subrev_co_ci_u32_e64 v8, s13, s17, v12, vcc_lo
	v_add_co_u32 v12, s13, v10, 2
	s_delay_alu instid0(VALU_DEP_1) | instskip(SKIP_3) | instid1(VALU_DEP_3)
	v_add_co_ci_u32_e64 v13, s13, 0, v11, s13
	v_sub_co_u32 v14, s13, v2, s16
	v_sub_co_ci_u32_e32 v9, vcc_lo, v15, v9, vcc_lo
	v_subrev_co_ci_u32_e64 v8, s13, 0, v8, s13
	v_cmp_le_u32_e32 vcc_lo, s16, v14
	s_delay_alu instid0(VALU_DEP_3) | instskip(SKIP_1) | instid1(VALU_DEP_4)
	v_cmp_eq_u32_e64 s13, s17, v9
	v_cndmask_b32_e64 v14, 0, -1, vcc_lo
	v_cmp_le_u32_e32 vcc_lo, s17, v8
	v_cndmask_b32_e64 v15, 0, -1, vcc_lo
	v_cmp_le_u32_e32 vcc_lo, s16, v2
	;; [unrolled: 2-line block ×3, first 2 shown]
	v_cndmask_b32_e64 v17, 0, -1, vcc_lo
	v_cmp_eq_u32_e32 vcc_lo, s17, v8
	v_readlane_b32 s17, v56, 0
	s_delay_alu instid0(VALU_DEP_3) | instskip(SKIP_3) | instid1(VALU_DEP_3)
	v_cndmask_b32_e64 v2, v17, v2, s13
	v_cndmask_b32_e32 v8, v15, v14, vcc_lo
	v_add_co_u32 v14, vcc_lo, v10, 1
	v_add_co_ci_u32_e32 v15, vcc_lo, 0, v11, vcc_lo
	v_cmp_ne_u32_e32 vcc_lo, 0, v8
	s_delay_alu instid0(VALU_DEP_2)
	v_dual_cndmask_b32 v8, v15, v13 :: v_dual_cndmask_b32 v9, v14, v12
	v_cmp_ne_u32_e32 vcc_lo, 0, v2
	v_xor_b32_e32 v2, s14, v16
	s_mov_b32 s14, s12
	s_mov_b32 s12, s5
	;; [unrolled: 1-line block ×3, first 2 shown]
	v_dual_cndmask_b32 v8, v11, v8 :: v_dual_cndmask_b32 v9, v10, v9
	v_xor_b32_e32 v10, s15, v16
	s_delay_alu instid0(VALU_DEP_2) | instskip(NEXT) | instid1(VALU_DEP_2)
	v_xor_b32_e32 v9, v9, v2
	v_xor_b32_e32 v11, v8, v10
	s_delay_alu instid0(VALU_DEP_2) | instskip(NEXT) | instid1(VALU_DEP_2)
	v_sub_co_u32 v8, vcc_lo, v9, v2
	v_sub_co_ci_u32_e32 v9, vcc_lo, v11, v10, vcc_lo
                                        ; implicit-def: $vgpr2
.LBB4_54:                               ;   in Loop: Header=BB4_51 Depth=1
	s_and_not1_saveexec_b32 s2, s37
	s_cbranch_execz .LBB4_56
; %bb.55:                               ;   in Loop: Header=BB4_51 Depth=1
	v_cvt_f32_u32_e32 v8, s19
	s_delay_alu instid0(VALU_DEP_1) | instskip(SKIP_2) | instid1(VALU_DEP_1)
	v_rcp_iflag_f32_e32 v8, v8
	s_waitcnt_depctr 0xfff
	v_mul_f32_e32 v8, 0x4f7ffffe, v8
	v_cvt_u32_f32_e32 v8, v8
	s_delay_alu instid0(VALU_DEP_1) | instskip(NEXT) | instid1(VALU_DEP_1)
	v_mul_lo_u32 v9, s35, v8
	v_mul_hi_u32 v9, v8, v9
	s_delay_alu instid0(VALU_DEP_1) | instskip(NEXT) | instid1(VALU_DEP_1)
	v_add_nc_u32_e32 v8, v8, v9
	v_mul_hi_u32 v8, v2, v8
	s_delay_alu instid0(VALU_DEP_1) | instskip(NEXT) | instid1(VALU_DEP_1)
	v_mul_lo_u32 v9, v8, s19
	v_sub_nc_u32_e32 v2, v2, v9
	s_delay_alu instid0(VALU_DEP_1) | instskip(SKIP_1) | instid1(VALU_DEP_2)
	v_subrev_nc_u32_e32 v10, s19, v2
	v_cmp_le_u32_e32 vcc_lo, s19, v2
	v_dual_cndmask_b32 v2, v2, v10 :: v_dual_add_nc_u32 v9, 1, v8
	s_delay_alu instid0(VALU_DEP_1) | instskip(NEXT) | instid1(VALU_DEP_2)
	v_cndmask_b32_e32 v8, v8, v9, vcc_lo
	v_cmp_le_u32_e32 vcc_lo, s19, v2
	s_delay_alu instid0(VALU_DEP_2) | instskip(NEXT) | instid1(VALU_DEP_1)
	v_add_nc_u32_e32 v9, 1, v8
	v_cndmask_b32_e32 v2, v8, v9, vcc_lo
	s_delay_alu instid0(VALU_DEP_1)
	v_dual_mov_b32 v9, v3 :: v_dual_mov_b32 v8, v2
.LBB4_56:                               ;   in Loop: Header=BB4_51 Depth=1
	s_or_b32 exec_lo, exec_lo, s2
	s_delay_alu instid0(VALU_DEP_1) | instskip(NEXT) | instid1(VALU_DEP_2)
	v_add_co_u32 v2, vcc_lo, v8, 15
	v_add_co_ci_u32_e32 v65, vcc_lo, 0, v9, vcc_lo
	s_delay_alu instid0(VALU_DEP_2)
	v_and_b32_e32 v64, -16, v2
.LBB4_57:                               ;   in Loop: Header=BB4_51 Depth=1
	s_or_b32 exec_lo, exec_lo, s36
	s_delay_alu instid0(VALU_DEP_2) | instskip(NEXT) | instid1(VALU_DEP_2)
	v_mul_lo_u32 v2, v65, s26
	v_mul_lo_u32 v8, v64, s27
	v_mad_u64_u32 v[10:11], null, v64, s26, 0
	s_mov_b32 s16, 0
	v_mov_b32_e32 v17, 0
	s_delay_alu instid0(VALU_DEP_2) | instskip(NEXT) | instid1(VALU_DEP_3)
	v_add3_u32 v11, v11, v8, v2
	v_sub_co_u32 v8, vcc_lo, v66, v10
	s_delay_alu instid0(VALU_DEP_2) | instskip(NEXT) | instid1(VALU_DEP_1)
	v_sub_co_ci_u32_e32 v9, vcc_lo, v67, v11, vcc_lo
	v_cmp_lt_i64_e32 vcc_lo, v[64:65], v[8:9]
	v_cndmask_b32_e32 v8, v8, v64, vcc_lo
	v_add_co_u32 v135, vcc_lo, v54, v24
	v_add_co_ci_u32_e32 v144, vcc_lo, v55, v25, vcc_lo
	s_delay_alu instid0(VALU_DEP_3) | instskip(NEXT) | instid1(VALU_DEP_1)
	v_max_i32_e32 v16, 0, v8
	v_add_nc_u32_e32 v2, 31, v16
	s_delay_alu instid0(VALU_DEP_1) | instskip(NEXT) | instid1(VALU_DEP_1)
	v_lshrrev_b32_e32 v2, 1, v2
	v_and_b32_e32 v9, 0x3ffffff0, v2
	v_cmp_lt_i32_e32 vcc_lo, 0, v8
	v_mov_b32_e32 v2, 0
	s_delay_alu instid0(VALU_DEP_3) | instskip(SKIP_1) | instid1(SALU_CYCLE_1)
	v_max_i32_e32 v8, s28, v9
	s_and_b32 s2, s30, vcc_lo
	s_and_saveexec_b32 s15, s2
	s_cbranch_execz .LBB4_220
; %bb.58:                               ;   in Loop: Header=BB4_51 Depth=1
	v_mov_b32_e32 v17, 0
	s_mov_b32 s2, s11
	s_mov_b32 s11, s10
	;; [unrolled: 1-line block ×3, first 2 shown]
	s_mov_b32 s6, vcc_hi
	s_mov_b32 s36, 1
	s_mov_b32 s17, -1
.LBB4_59:                               ;   Parent Loop BB4_51 Depth=1
                                        ; =>  This Loop Header: Depth=2
                                        ;       Child Loop BB4_68 Depth 3
                                        ;       Child Loop BB4_95 Depth 3
	;; [unrolled: 1-line block ×9, first 2 shown]
	s_and_saveexec_b32 s13, s0
	s_cbranch_execz .LBB4_62
; %bb.60:                               ;   in Loop: Header=BB4_59 Depth=2
	s_cbranch_execz .LBB4_61
; %bb.6645:
	s_getpc_b64 s[46:47]
.Lpost_getpc96:
	s_add_u32 s46, s46, (.LBB4_6120-.Lpost_getpc96)&4294967295
	s_addc_u32 s47, s47, (.LBB4_6120-.Lpost_getpc96)>>32
	s_setpc_b64 s[46:47]
.LBB4_61:                               ;   in Loop: Header=BB4_59 Depth=2
	ds_load_b64 v[12:13], v0
	s_waitcnt lgkmcnt(0)
	v_add_co_u32 v2, vcc_lo, v12, v135
	v_add_co_ci_u32_e32 v9, vcc_lo, v13, v144, vcc_lo
	v_ashrrev_i32_e32 v13, 31, v17
	s_delay_alu instid0(VALU_DEP_3) | instskip(NEXT) | instid1(VALU_DEP_3)
	v_add_co_u32 v2, vcc_lo, v2, v10
	v_add_co_ci_u32_e32 v9, vcc_lo, v9, v11, vcc_lo
	s_delay_alu instid0(VALU_DEP_2) | instskip(NEXT) | instid1(VALU_DEP_2)
	v_add_co_u32 v12, vcc_lo, v2, v17
	v_add_co_ci_u32_e32 v13, vcc_lo, v9, v13, vcc_lo
	v_mov_b32_e32 v2, v3
	ds_store_b64 v0, v[12:13]
	ds_store_b64 v0, v[2:3]
.LBB4_62:                               ;   in Loop: Header=BB4_59 Depth=2
	s_or_b32 exec_lo, exec_lo, s13
	v_and_b32_e32 v2, 8, v30
	s_mov_b32 vcc_hi, -1
	s_mov_b32 s13, exec_lo
	s_delay_alu instid0(VALU_DEP_1)
	v_cmpx_ne_u32_e32 0, v2
	s_cbranch_execz .LBB4_76
; %bb.63:                               ;   in Loop: Header=BB4_59 Depth=2
	v_add_co_u32 v14, vcc_lo, v50, 8
	v_add_co_ci_u32_e32 v15, vcc_lo, 0, v51, vcc_lo
	v_add_co_u32 v12, vcc_lo, v34, 2
	v_add_co_ci_u32_e32 v13, vcc_lo, 0, v35, vcc_lo
	v_mov_b32_e32 v2, 1
	s_mov_b32 vcc_hi, exec_lo
	s_delay_alu instid0(VALU_DEP_2)
	v_cmpx_lt_u64_e64 v[14:15], v[12:13]
	s_cbranch_execz .LBB4_75
; %bb.64:                               ;   in Loop: Header=BB4_59 Depth=2
	v_mov_b32_e32 v2, 0
	s_mov_b32 s37, 0
                                        ; implicit-def: $sgpr38
	s_branch .LBB4_68
.LBB4_65:                               ;   in Loop: Header=BB4_68 Depth=3
	s_or_b32 exec_lo, exec_lo, s42
	v_mov_b32_e32 v9, 0
	s_or_not1_b32 s41, s41, exec_lo
.LBB4_66:                               ;   in Loop: Header=BB4_68 Depth=3
	s_or_b32 exec_lo, exec_lo, s40
	s_delay_alu instid0(VALU_DEP_1) | instskip(SKIP_2) | instid1(SALU_CYCLE_1)
	v_mov_b32_e32 v2, v9
	s_and_not1_b32 vcc_lo, s38, exec_lo
	s_and_b32 s38, s41, exec_lo
	s_or_b32 s38, vcc_lo, s38
.LBB4_67:                               ;   in Loop: Header=BB4_68 Depth=3
	s_or_b32 exec_lo, exec_lo, s39
	s_waitcnt vmcnt(0) lgkmcnt(0)
	v_add_co_u32 v14, vcc_lo, v50, 8
	v_add_co_ci_u32_e32 v15, vcc_lo, 0, v51, vcc_lo
	s_xor_b32 s39, s38, -1
	s_delay_alu instid0(VALU_DEP_1) | instskip(SKIP_1) | instid1(SALU_CYCLE_1)
	v_cmp_ge_u64_e32 vcc_lo, v[14:15], v[12:13]
	s_or_b32 vcc_lo, s39, vcc_lo
	s_and_b32 vcc_lo, exec_lo, vcc_lo
	s_delay_alu instid0(SALU_CYCLE_1) | instskip(NEXT) | instid1(SALU_CYCLE_1)
	s_or_b32 s37, vcc_lo, s37
	s_and_not1_b32 exec_lo, exec_lo, s37
	s_cbranch_execz .LBB4_74
.LBB4_68:                               ;   Parent Loop BB4_51 Depth=1
                                        ;     Parent Loop BB4_59 Depth=2
                                        ; =>    This Inner Loop Header: Depth=3
	s_sleep 1
	flat_load_b64 v[50:51], v[32:33] glc
	v_and_b32_e32 v9, 64, v30
	s_and_not1_b32 s38, s38, exec_lo
	s_mov_b32 s39, exec_lo
	s_delay_alu instid0(VALU_DEP_1)
	v_cmpx_eq_u32_e32 0, v9
	s_cbranch_execz .LBB4_67
; %bb.69:                               ;   in Loop: Header=BB4_68 Depth=3
	v_add_nc_u32_e32 v9, 1, v2
	s_mov_b32 s41, -1
	s_mov_b32 s40, exec_lo
	v_cmpx_lt_i32_e32 0x270e, v2
	s_cbranch_execz .LBB4_66
; %bb.70:                               ;   in Loop: Header=BB4_68 Depth=3
	s_cbranch_execz .LBB4_71
; %bb.6647:
	s_getpc_b64 s[46:47]
.Lpost_getpc97:
	s_add_u32 s46, s46, (.LBB4_6142-.Lpost_getpc97)&4294967295
	s_addc_u32 s47, s47, (.LBB4_6142-.Lpost_getpc97)>>32
	s_setpc_b64 s[46:47]
.LBB4_71:                               ;   in Loop: Header=BB4_68 Depth=3
	ds_load_b64 v[14:15], v0
	s_mov_b32 s42, exec_lo
	s_waitcnt vmcnt(0) lgkmcnt(0)
	s_waitcnt_vscnt null, 0x0
	flat_load_b32 v2, v[14:15] glc
	s_waitcnt vmcnt(0) lgkmcnt(0)
	buffer_gl1_inv
	buffer_gl0_inv
	v_cmpx_ne_u32_e32 0, v2
	s_cbranch_execz .LBB4_65
; %bb.72:                               ;   in Loop: Header=BB4_68 Depth=3
	ds_store_b32 v0, v2
	s_cbranch_execz .LBB4_73
; %bb.6649:
	s_getpc_b64 s[46:47]
.Lpost_getpc98:
	s_add_u32 s46, s46, (.LBB4_6161-.Lpost_getpc98)&4294967295
	s_addc_u32 s47, s47, (.LBB4_6161-.Lpost_getpc98)>>32
	s_setpc_b64 s[46:47]
.LBB4_73:                               ;   in Loop: Header=BB4_68 Depth=3
	v_or_b32_e32 v30, 64, v30
	s_xor_b32 s41, exec_lo, -1
	s_branch .LBB4_65
.LBB4_74:                               ;   in Loop: Header=BB4_59 Depth=2
	s_or_b32 exec_lo, exec_lo, s37
	v_and_b32_e32 v2, 8, v30
.LBB4_75:                               ;   in Loop: Header=BB4_59 Depth=2
	s_or_b32 exec_lo, exec_lo, vcc_hi
	s_delay_alu instid0(VALU_DEP_1)
	v_cmp_eq_u32_e32 vcc_lo, 0, v2
	;;#ASMSTART
	s_wakeup
	;;#ASMEND
	s_or_not1_b32 vcc_hi, vcc_lo, exec_lo
.LBB4_76:                               ;   in Loop: Header=BB4_59 Depth=2
	s_or_b32 exec_lo, exec_lo, s13
	v_sub_nc_u32_e32 v2, v16, v17
	s_xor_b32 s13, vcc_hi, -1
	s_delay_alu instid0(VALU_DEP_1)
	v_min_i32_e32 v8, v8, v2
	s_and_saveexec_b32 vcc_hi, s13
	s_cbranch_execz .LBB4_86
; %bb.77:                               ;   in Loop: Header=BB4_59 Depth=2
	v_and_b32_e32 v2, 0x100, v30
	s_mov_b32 s13, -1
                                        ; implicit-def: $vgpr12_vgpr13
	s_delay_alu instid0(VALU_DEP_1)
	v_cmp_ne_u32_e32 vcc_lo, 0, v2
	v_and_b32_e32 v2, 7, v34
	s_and_saveexec_b32 s37, vcc_lo
	s_cbranch_execz .LBB4_81
; %bb.78:                               ;   in Loop: Header=BB4_59 Depth=2
	s_delay_alu instid0(VALU_DEP_1)
	v_mad_u64_u32 v[14:15], null, v2, 24, v[6:7]
	v_ashrrev_i32_e32 v9, 31, v8
	flat_load_b32 v12, v[14:15]
	flat_store_b64 v[14:15], v[8:9] offset:8
	s_waitcnt vmcnt(0) lgkmcnt(1)
	v_cmp_ne_u32_e32 vcc_lo, 1, v12
	v_cmp_eq_u32_e64 s13, 1, v12
                                        ; implicit-def: $vgpr12_vgpr13
	s_delay_alu instid0(VALU_DEP_1)
	s_and_saveexec_b32 s38, s13
	s_cbranch_execz .LBB4_80
; %bb.79:                               ;   in Loop: Header=BB4_59 Depth=2
	flat_load_b32 v12, v[14:15] offset:4 glc
	s_waitcnt vmcnt(0) lgkmcnt(0)
	v_ashrrev_i32_e32 v13, 31, v12
.LBB4_80:                               ;   in Loop: Header=BB4_59 Depth=2
	s_or_b32 exec_lo, exec_lo, s38
	s_delay_alu instid0(SALU_CYCLE_1)
	s_or_not1_b32 s13, vcc_lo, exec_lo
.LBB4_81:                               ;   in Loop: Header=BB4_59 Depth=2
	s_or_b32 exec_lo, exec_lo, s37
	s_and_saveexec_b32 vcc_lo, s13
; %bb.82:                               ;   in Loop: Header=BB4_59 Depth=2
	v_mad_i64_i32 v[12:13], null, v2, v86, 0
; %bb.83:                               ;   in Loop: Header=BB4_59 Depth=2
	s_or_b32 exec_lo, exec_lo, vcc_lo
	s_delay_alu instid0(VALU_DEP_1) | instskip(SKIP_1) | instid1(VALU_DEP_3)
	v_add_co_u32 v12, vcc_lo, v36, v12
	v_and_b32_e32 v2, 0x2000, v30
	v_add_co_ci_u32_e32 v13, vcc_lo, v37, v13, vcc_lo
	s_mov_b32 s13, exec_lo
	ds_store_b64 v0, v[12:13] offset:784
	v_cmpx_ne_u32_e32 0, v2
	s_cbranch_execz .LBB4_85
; %bb.84:                               ;   in Loop: Header=BB4_59 Depth=2
	ds_load_b64 v[12:13], v0 offset:584
	s_waitcnt lgkmcnt(0)
	v_add_co_u32 v12, vcc_lo, v12, 1
	v_add_co_ci_u32_e32 v13, vcc_lo, 0, v13, vcc_lo
	ds_store_b64 v0, v[12:13] offset:584
.LBB4_85:                               ;   in Loop: Header=BB4_59 Depth=2
	s_or_b32 exec_lo, exec_lo, s13
	v_add_co_u32 v34, vcc_lo, v34, 2
	v_add_co_ci_u32_e32 v35, vcc_lo, 0, v35, vcc_lo
.LBB4_86:                               ;   in Loop: Header=BB4_59 Depth=2
	s_or_b32 exec_lo, exec_lo, vcc_hi
	s_and_saveexec_b32 s13, s3
	s_cbranch_execz .LBB4_108
; %bb.87:                               ;   in Loop: Header=BB4_59 Depth=2
	s_and_saveexec_b32 vcc_lo, s4
	s_delay_alu instid0(SALU_CYCLE_1)
	s_xor_b32 vcc_hi, exec_lo, vcc_lo
	s_cbranch_execz .LBB4_105
; %bb.88:                               ;   in Loop: Header=BB4_59 Depth=2
	s_and_saveexec_b32 s37, s1
	s_cbranch_execz .LBB4_104
; %bb.89:                               ;   in Loop: Header=BB4_59 Depth=2
	s_mov_b32 s39, exec_lo
	s_mov_b32 s38, exec_lo
	v_mbcnt_lo_u32_b32 v2, s39, 0
	s_waitcnt lgkmcnt(0)
	s_waitcnt_vscnt null, 0x0
	buffer_gl1_inv
	buffer_gl0_inv
	v_cmpx_eq_u32_e32 0, v2
	s_cbranch_execz .LBB4_91
; %bb.90:                               ;   in Loop: Header=BB4_59 Depth=2
	s_bcnt1_i32_b32 vcc_lo, s39
	s_delay_alu instid0(SALU_CYCLE_1)
	v_mov_b32_e32 v2, vcc_lo
	ds_add_u64 v0, v[2:3]
	s_cbranch_execz .LBB4_91
; %bb.6651:
	s_getpc_b64 s[46:47]
.Lpost_getpc99:
	s_add_u32 s46, s46, (.LBB4_6187-.Lpost_getpc99)&4294967295
	s_addc_u32 s47, s47, (.LBB4_6187-.Lpost_getpc99)>>32
	s_setpc_b64 s[46:47]
.LBB4_91:                               ;   in Loop: Header=BB4_59 Depth=2
	s_or_b32 exec_lo, exec_lo, s38
	s_cbranch_execz .LBB4_92
; %bb.6653:
	s_getpc_b64 s[46:47]
.Lpost_getpc100:
	s_add_u32 s46, s46, (.LBB4_6167-.Lpost_getpc100)&4294967295
	s_addc_u32 s47, s47, (.LBB4_6167-.Lpost_getpc100)>>32
	s_setpc_b64 s[46:47]
.LBB4_92:                               ;   in Loop: Header=BB4_59 Depth=2
	ds_load_b64 v[12:13], v0
	v_add_co_u32 v48, vcc_lo, v48, v97
	v_add_co_ci_u32_e32 v49, vcc_lo, 0, v49, vcc_lo
	s_mov_b32 s38, exec_lo
	s_waitcnt lgkmcnt(0)
	s_delay_alu instid0(VALU_DEP_1)
	v_cmpx_lt_u64_e64 v[12:13], v[48:49]
	s_cbranch_execz .LBB4_103
; %bb.93:                               ;   in Loop: Header=BB4_59 Depth=2
	s_mov_b32 s39, 0
	s_mov_b32 s42, 0
                                        ; implicit-def: $sgpr40
                                        ; implicit-def: $sgpr41
	s_branch .LBB4_95
.LBB4_94:                               ;   in Loop: Header=BB4_95 Depth=3
	s_or_b32 exec_lo, exec_lo, s44
	s_delay_alu instid0(SALU_CYCLE_1) | instskip(NEXT) | instid1(SALU_CYCLE_1)
	s_and_b32 vcc_lo, exec_lo, vcc_lo
	s_or_b32 s39, vcc_lo, s39
	s_and_not1_b32 vcc_lo, s40, exec_lo
	s_and_b32 s40, s41, exec_lo
	s_delay_alu instid0(SALU_CYCLE_1)
	s_or_b32 s40, vcc_lo, s40
	s_and_not1_b32 exec_lo, exec_lo, s39
	s_cbranch_execz .LBB4_101
.LBB4_95:                               ;   Parent Loop BB4_51 Depth=1
                                        ;     Parent Loop BB4_59 Depth=2
                                        ; =>    This Inner Loop Header: Depth=3
	s_add_i32 s42, s42, 1
                                        ; implicit-def: $sgpr44
	s_delay_alu instid0(SALU_CYCLE_1) | instskip(SKIP_1) | instid1(SALU_CYCLE_1)
	s_cmpk_lg_i32 s42, 0x2710
	s_cselect_b32 s43, -1, 0
	s_and_b32 vcc_lo, exec_lo, s43
	s_cbranch_vccz .LBB4_99
.LBB4_96:                               ;   in Loop: Header=BB4_95 Depth=3
	s_and_not1_b32 s41, s41, exec_lo
	s_and_b32 s44, s44, exec_lo
	s_mov_b32 vcc_lo, -1
	s_or_b32 s41, s41, s44
	s_and_saveexec_b32 s44, s43
	s_cbranch_execz .LBB4_94
; %bb.97:                               ;   in Loop: Header=BB4_95 Depth=3
	s_sleep 1
	s_cbranch_execz .LBB4_98
; %bb.6655:
	s_getpc_b64 s[46:47]
.Lpost_getpc101:
	s_add_u32 s46, s46, (.LBB4_6215-.Lpost_getpc101)&4294967295
	s_addc_u32 s47, s47, (.LBB4_6215-.Lpost_getpc101)>>32
	s_setpc_b64 s[46:47]
.LBB4_98:                               ;   in Loop: Header=BB4_95 Depth=3
	ds_load_b64 v[12:13], v0
	s_and_not1_b32 s41, s41, exec_lo
	s_waitcnt lgkmcnt(0)
	v_cmp_ge_u64_e32 vcc_lo, v[12:13], v[48:49]
	s_or_not1_b32 vcc_lo, vcc_lo, exec_lo
	s_branch .LBB4_94
.LBB4_99:                               ;   in Loop: Header=BB4_95 Depth=3
	s_cbranch_execz .LBB4_100
; %bb.6657:
	s_getpc_b64 s[46:47]
.Lpost_getpc102:
	s_add_u32 s46, s46, (.LBB4_6221-.Lpost_getpc102)&4294967295
	s_addc_u32 s47, s47, (.LBB4_6221-.Lpost_getpc102)>>32
	s_setpc_b64 s[46:47]
.LBB4_100:                              ;   in Loop: Header=BB4_95 Depth=3
	ds_load_b64 v[12:13], v0
	s_and_not1_b32 s43, s43, exec_lo
	s_mov_b32 s42, 0
	s_mov_b32 s44, -1
	s_waitcnt lgkmcnt(0)
	flat_load_b32 v2, v[12:13] glc
	s_waitcnt vmcnt(0) lgkmcnt(0)
	buffer_gl1_inv
	buffer_gl0_inv
	v_cmp_eq_u32_e32 vcc_lo, 0, v2
	s_and_b32 vcc_lo, vcc_lo, exec_lo
	s_delay_alu instid0(SALU_CYCLE_1)
	s_or_b32 s43, s43, vcc_lo
	s_branch .LBB4_96
.LBB4_101:                              ;   in Loop: Header=BB4_59 Depth=2
	s_or_b32 exec_lo, exec_lo, s39
	s_and_saveexec_b32 vcc_lo, s40
	s_delay_alu instid0(SALU_CYCLE_1)
	s_xor_b32 vcc_lo, exec_lo, vcc_lo
	s_cbranch_execz .LBB4_103
; %bb.102:                              ;   in Loop: Header=BB4_59 Depth=2
	ds_store_b32 v0, v134
	s_cbranch_execz .LBB4_103
; %bb.6659:
	s_getpc_b64 s[46:47]
.Lpost_getpc103:
	s_add_u32 s46, s46, (.LBB4_6433-.Lpost_getpc103)&4294967295
	s_addc_u32 s47, s47, (.LBB4_6433-.Lpost_getpc103)>>32
	s_setpc_b64 s[46:47]
.LBB4_103:                              ;   in Loop: Header=BB4_59 Depth=2
	s_or_b32 exec_lo, exec_lo, s38
	;;#ASMSTART
	s_wakeup
	;;#ASMEND
.LBB4_104:                              ;   in Loop: Header=BB4_59 Depth=2
	s_or_b32 exec_lo, exec_lo, s37
.LBB4_105:                              ;   in Loop: Header=BB4_59 Depth=2
	s_and_not1_saveexec_b32 vcc_lo, vcc_hi
	s_cbranch_execz .LBB4_107
; %bb.106:                              ;   in Loop: Header=BB4_59 Depth=2
	s_waitcnt lgkmcnt(0)
	s_waitcnt_vscnt null, 0x0
	buffer_gl1_inv
	buffer_gl0_inv
	s_barrier
.LBB4_107:                              ;   in Loop: Header=BB4_59 Depth=2
	s_or_b32 exec_lo, exec_lo, vcc_lo
.LBB4_108:                              ;   in Loop: Header=BB4_59 Depth=2
	s_delay_alu instid0(SALU_CYCLE_1)
	s_or_b32 exec_lo, exec_lo, s13
	s_cbranch_execz .LBB4_109
; %bb.6661:
	s_getpc_b64 s[46:47]
.Lpost_getpc104:
	s_add_u32 s46, s46, (.LBB4_6118-.Lpost_getpc104)&4294967295
	s_addc_u32 s47, s47, (.LBB4_6118-.Lpost_getpc104)>>32
	s_setpc_b64 s[46:47]
.LBB4_109:                              ;   in Loop: Header=BB4_59 Depth=2
	ds_load_b32 v12, v0
	v_and_b32_e32 v2, 0x4000, v30
	s_xor_b32 s13, s29, -1
	s_delay_alu instid0(VALU_DEP_1) | instskip(SKIP_1) | instid1(SALU_CYCLE_1)
	v_cmp_ne_u32_e32 vcc_lo, 0, v2
	s_and_b32 vcc_lo, s13, vcc_lo
	s_and_saveexec_b32 s13, vcc_lo
	s_cbranch_execz .LBB4_131
; %bb.110:                              ;   in Loop: Header=BB4_59 Depth=2
	s_and_saveexec_b32 vcc_lo, s4
	s_delay_alu instid0(SALU_CYCLE_1)
	s_xor_b32 vcc_hi, exec_lo, vcc_lo
	s_cbranch_execz .LBB4_128
; %bb.111:                              ;   in Loop: Header=BB4_59 Depth=2
	s_and_saveexec_b32 s37, s1
	s_cbranch_execz .LBB4_127
; %bb.112:                              ;   in Loop: Header=BB4_59 Depth=2
	s_mov_b32 s39, exec_lo
	s_mov_b32 s38, exec_lo
	v_mbcnt_lo_u32_b32 v2, s39, 0
	s_waitcnt lgkmcnt(0)
	s_waitcnt_vscnt null, 0x0
	buffer_gl1_inv
	buffer_gl0_inv
	v_cmpx_eq_u32_e32 0, v2
	s_cbranch_execz .LBB4_114
; %bb.113:                              ;   in Loop: Header=BB4_59 Depth=2
	s_bcnt1_i32_b32 vcc_lo, s39
	s_delay_alu instid0(SALU_CYCLE_1)
	v_mov_b32_e32 v2, vcc_lo
	ds_add_u64 v0, v[2:3]
	s_cbranch_execz .LBB4_114
; %bb.6663:
	s_getpc_b64 s[46:47]
.Lpost_getpc105:
	s_add_u32 s46, s46, (.LBB4_6213-.Lpost_getpc105)&4294967295
	s_addc_u32 s47, s47, (.LBB4_6213-.Lpost_getpc105)>>32
	s_setpc_b64 s[46:47]
.LBB4_114:                              ;   in Loop: Header=BB4_59 Depth=2
	s_or_b32 exec_lo, exec_lo, s38
	s_cbranch_execz .LBB4_115
; %bb.6665:
	s_getpc_b64 s[46:47]
.Lpost_getpc106:
	s_add_u32 s46, s46, (.LBB4_6201-.Lpost_getpc106)&4294967295
	s_addc_u32 s47, s47, (.LBB4_6201-.Lpost_getpc106)>>32
	s_setpc_b64 s[46:47]
.LBB4_115:                              ;   in Loop: Header=BB4_59 Depth=2
	ds_load_b64 v[13:14], v0
	v_add_co_u32 v48, vcc_lo, v48, v97
	v_add_co_ci_u32_e32 v49, vcc_lo, 0, v49, vcc_lo
	s_mov_b32 s38, exec_lo
	s_waitcnt lgkmcnt(0)
	s_delay_alu instid0(VALU_DEP_1)
	v_cmpx_lt_u64_e64 v[13:14], v[48:49]
	s_cbranch_execz .LBB4_126
; %bb.116:                              ;   in Loop: Header=BB4_59 Depth=2
	s_mov_b32 s39, 0
	s_mov_b32 s42, 0
                                        ; implicit-def: $sgpr40
                                        ; implicit-def: $sgpr41
	s_branch .LBB4_118
.LBB4_117:                              ;   in Loop: Header=BB4_118 Depth=3
	s_or_b32 exec_lo, exec_lo, s44
	s_delay_alu instid0(SALU_CYCLE_1) | instskip(NEXT) | instid1(SALU_CYCLE_1)
	s_and_b32 vcc_lo, exec_lo, vcc_lo
	s_or_b32 s39, vcc_lo, s39
	s_and_not1_b32 vcc_lo, s40, exec_lo
	s_and_b32 s40, s41, exec_lo
	s_delay_alu instid0(SALU_CYCLE_1)
	s_or_b32 s40, vcc_lo, s40
	s_and_not1_b32 exec_lo, exec_lo, s39
	s_cbranch_execz .LBB4_124
.LBB4_118:                              ;   Parent Loop BB4_51 Depth=1
                                        ;     Parent Loop BB4_59 Depth=2
                                        ; =>    This Inner Loop Header: Depth=3
	s_add_i32 s42, s42, 1
                                        ; implicit-def: $sgpr44
	s_delay_alu instid0(SALU_CYCLE_1) | instskip(SKIP_1) | instid1(SALU_CYCLE_1)
	s_cmpk_lg_i32 s42, 0x2710
	s_cselect_b32 s43, -1, 0
	s_and_b32 vcc_lo, exec_lo, s43
	s_cbranch_vccz .LBB4_122
.LBB4_119:                              ;   in Loop: Header=BB4_118 Depth=3
	s_and_not1_b32 s41, s41, exec_lo
	s_and_b32 s44, s44, exec_lo
	s_mov_b32 vcc_lo, -1
	s_or_b32 s41, s41, s44
	s_and_saveexec_b32 s44, s43
	s_cbranch_execz .LBB4_117
; %bb.120:                              ;   in Loop: Header=BB4_118 Depth=3
	s_sleep 1
	s_cbranch_execz .LBB4_121
; %bb.6667:
	s_getpc_b64 s[46:47]
.Lpost_getpc107:
	s_add_u32 s46, s46, (.LBB4_6253-.Lpost_getpc107)&4294967295
	s_addc_u32 s47, s47, (.LBB4_6253-.Lpost_getpc107)>>32
	s_setpc_b64 s[46:47]
.LBB4_121:                              ;   in Loop: Header=BB4_118 Depth=3
	ds_load_b64 v[13:14], v0
	s_and_not1_b32 s41, s41, exec_lo
	s_waitcnt lgkmcnt(0)
	v_cmp_ge_u64_e32 vcc_lo, v[13:14], v[48:49]
	s_or_not1_b32 vcc_lo, vcc_lo, exec_lo
	s_branch .LBB4_117
.LBB4_122:                              ;   in Loop: Header=BB4_118 Depth=3
	s_cbranch_execz .LBB4_123
; %bb.6669:
	s_getpc_b64 s[46:47]
.Lpost_getpc108:
	s_add_u32 s46, s46, (.LBB4_6271-.Lpost_getpc108)&4294967295
	s_addc_u32 s47, s47, (.LBB4_6271-.Lpost_getpc108)>>32
	s_setpc_b64 s[46:47]
.LBB4_123:                              ;   in Loop: Header=BB4_118 Depth=3
	ds_load_b64 v[13:14], v0
	s_and_not1_b32 s43, s43, exec_lo
	s_mov_b32 s42, 0
	s_mov_b32 s44, -1
	s_waitcnt lgkmcnt(0)
	flat_load_b32 v2, v[13:14] glc
	s_waitcnt vmcnt(0) lgkmcnt(0)
	buffer_gl1_inv
	buffer_gl0_inv
	v_cmp_eq_u32_e32 vcc_lo, 0, v2
	s_and_b32 vcc_lo, vcc_lo, exec_lo
	s_delay_alu instid0(SALU_CYCLE_1)
	s_or_b32 s43, s43, vcc_lo
	s_branch .LBB4_119
.LBB4_124:                              ;   in Loop: Header=BB4_59 Depth=2
	s_or_b32 exec_lo, exec_lo, s39
	s_and_saveexec_b32 vcc_lo, s40
	s_delay_alu instid0(SALU_CYCLE_1)
	s_xor_b32 vcc_lo, exec_lo, vcc_lo
	s_cbranch_execz .LBB4_126
; %bb.125:                              ;   in Loop: Header=BB4_59 Depth=2
	ds_store_b32 v0, v134
	s_cbranch_execz .LBB4_126
; %bb.6671:
	s_getpc_b64 s[46:47]
.Lpost_getpc109:
	s_add_u32 s46, s46, (.LBB4_6483-.Lpost_getpc109)&4294967295
	s_addc_u32 s47, s47, (.LBB4_6483-.Lpost_getpc109)>>32
	s_setpc_b64 s[46:47]
.LBB4_126:                              ;   in Loop: Header=BB4_59 Depth=2
	s_or_b32 exec_lo, exec_lo, s38
	;;#ASMSTART
	s_wakeup
	;;#ASMEND
.LBB4_127:                              ;   in Loop: Header=BB4_59 Depth=2
	s_or_b32 exec_lo, exec_lo, s37
.LBB4_128:                              ;   in Loop: Header=BB4_59 Depth=2
	s_and_not1_saveexec_b32 vcc_lo, vcc_hi
	s_cbranch_execz .LBB4_130
; %bb.129:                              ;   in Loop: Header=BB4_59 Depth=2
	s_waitcnt lgkmcnt(0)
	s_waitcnt_vscnt null, 0x0
	buffer_gl1_inv
	buffer_gl0_inv
	s_barrier
.LBB4_130:                              ;   in Loop: Header=BB4_59 Depth=2
	s_or_b32 exec_lo, exec_lo, vcc_lo
.LBB4_131:                              ;   in Loop: Header=BB4_59 Depth=2
	s_delay_alu instid0(SALU_CYCLE_1)
	s_or_b32 exec_lo, exec_lo, s13
	s_cbranch_execz .LBB4_132
; %bb.6673:
	s_getpc_b64 s[46:47]
.Lpost_getpc110:
	s_add_u32 s46, s46, (.LBB4_6144-.Lpost_getpc110)&4294967295
	s_addc_u32 s47, s47, (.LBB4_6144-.Lpost_getpc110)>>32
	s_setpc_b64 s[46:47]
.LBB4_132:                              ;   in Loop: Header=BB4_59 Depth=2
	ds_load_b64 v[13:14], v0
	v_mov_b32_e32 v9, 0
	s_waitcnt lgkmcnt(0)
	v_cmp_eq_u64_e32 vcc_lo, 0, v[13:14]
	s_or_b32 s13, vcc_lo, vcc_lo
	s_delay_alu instid0(SALU_CYCLE_1)
	s_and_b32 vcc_lo, exec_lo, s13
	s_cbranch_vccnz .LBB4_166
; %bb.133:                              ;   in Loop: Header=BB4_59 Depth=2
	s_mov_b32 s37, s14
	s_mov_b32 s13, -1
	s_mov_b32 vcc_hi, s5
	s_and_saveexec_b32 s14, s5
	s_cbranch_execz .LBB4_135
; %bb.134:                              ;   in Loop: Header=BB4_59 Depth=2
	ds_load_b32 v2, v0 offset:720
	s_waitcnt lgkmcnt(0)
	v_and_b32_e32 v2, 15, v2
	s_delay_alu instid0(VALU_DEP_1)
	v_cmp_eq_u32_e32 vcc_lo, 0, v2
	s_or_not1_b32 s13, vcc_lo, exec_lo
.LBB4_135:                              ;   in Loop: Header=BB4_59 Depth=2
	s_or_b32 exec_lo, exec_lo, s14
	s_and_saveexec_b32 s5, s10
	s_cbranch_execz .LBB4_137
; %bb.136:                              ;   in Loop: Header=BB4_59 Depth=2
	ds_load_b32 v2, v0 offset:784
	s_waitcnt lgkmcnt(0)
	v_and_b32_e32 v2, 15, v2
	s_delay_alu instid0(VALU_DEP_1) | instskip(SKIP_3) | instid1(SALU_CYCLE_1)
	v_cmp_eq_u32_e32 vcc_lo, 0, v2
	s_and_b32 s14, s13, vcc_lo
	s_and_not1_b32 s13, s13, exec_lo
	s_and_b32 s14, s14, exec_lo
	s_or_b32 s13, s13, s14
.LBB4_137:                              ;   in Loop: Header=BB4_59 Depth=2
	s_or_b32 exec_lo, exec_lo, s5
	v_cmp_eq_u32_e32 vcc_lo, 0, v12
	s_xor_b32 s5, s13, -1
	v_mov_b32_e32 v22, v99
	v_cndmask_b32_e64 v2, 0, 1, s5
	;;#ASMSTART
	;;#ASMEND
	v_cndmask_b32_e32 v9, 0, v8, vcc_lo
	s_delay_alu instid0(VALU_DEP_2) | instskip(SKIP_2) | instid1(VALU_DEP_3)
	v_cmp_ne_u32_e32 vcc_lo, 0, v2
	v_mov_b32_e32 v2, 0
	s_mov_b32 s13, -1
	v_dual_mov_b32 v19, v0 :: v_dual_mov_b32 v18, v9
	s_cbranch_vccnz .LBB4_153
; %bb.138:                              ;   in Loop: Header=BB4_59 Depth=2
	v_ashrrev_i32_e32 v2, 31, v9
	s_mov_b32 s5, exec_lo
	s_delay_alu instid0(VALU_DEP_1) | instskip(NEXT) | instid1(VALU_DEP_1)
	v_lshrrev_b32_e32 v2, 21, v2
	v_add_nc_u32_e32 v2, v9, v2
	s_delay_alu instid0(VALU_DEP_1) | instskip(NEXT) | instid1(VALU_DEP_1)
	v_ashrrev_i32_e32 v2, 11, v2
	v_sub_nc_u32_e32 v20, v2, v99
	s_delay_alu instid0(VALU_DEP_1)
	v_cmpx_lt_i32_e32 0, v20
	s_cbranch_execz .LBB4_143
; %bb.139:                              ;   in Loop: Header=BB4_59 Depth=2
	s_cbranch_execz .LBB4_140
; %bb.6675:
	s_getpc_b64 s[46:47]
.Lpost_getpc111:
	s_add_u32 s46, s46, (.LBB4_6225-.Lpost_getpc111)&4294967295
	s_addc_u32 s47, s47, (.LBB4_6225-.Lpost_getpc111)>>32
	s_setpc_b64 s[46:47]
.LBB4_140:                              ;   in Loop: Header=BB4_59 Depth=2
	ds_load_b64 v[12:13], v0
	s_mov_b32 s14, 0
	s_waitcnt lgkmcnt(0)
	v_dual_mov_b32 v15, v13 :: v_dual_mov_b32 v14, v12
	s_set_inst_prefetch_distance 0x1
.LBB4_141:                              ;   Parent Loop BB4_51 Depth=1
                                        ;     Parent Loop BB4_59 Depth=2
                                        ; =>    This Inner Loop Header: Depth=3
	s_delay_alu instid0(VALU_DEP_1) | instskip(NEXT) | instid1(VALU_DEP_2)
	v_add_co_u32 v18, vcc_lo, v102, v14
	v_add_co_ci_u32_e32 v19, vcc_lo, v112, v15, vcc_lo
	v_sub_nc_u32_e32 v20, v20, v97
	s_clause 0x3
	global_load_b128 v[68:71], v[18:19], off slc dlc
	global_load_b128 v[80:83], v[18:19], off offset:512 slc dlc
	global_load_b128 v[145:148], v[18:19], off offset:1024 slc dlc
	;; [unrolled: 1-line block ×3, first 2 shown]
	v_add_co_u32 v18, vcc_lo, v102, v12
	v_add_co_ci_u32_e32 v19, vcc_lo, v112, v13, vcc_lo
	v_add_co_u32 v14, vcc_lo, v14, v113
	v_add_co_ci_u32_e32 v15, vcc_lo, v15, v114, vcc_lo
	v_add_co_u32 v12, vcc_lo, v12, v113
	v_cmp_gt_i32_e64 s13, 1, v20
	v_add_co_ci_u32_e32 v13, vcc_lo, v13, v114, vcc_lo
	s_waitcnt vmcnt(3)
	global_store_b128 v[18:19], v[68:71], off glc slc dlc
	s_waitcnt vmcnt(2)
	global_store_b128 v[18:19], v[80:83], off offset:512 glc slc dlc
	s_waitcnt vmcnt(1)
	global_store_b128 v[18:19], v[145:148], off offset:1024 glc slc dlc
	;; [unrolled: 2-line block ×3, first 2 shown]
	s_or_b32 s14, s13, s14
	s_delay_alu instid0(SALU_CYCLE_1)
	s_and_not1_b32 exec_lo, exec_lo, s14
	s_cbranch_execnz .LBB4_141
; %bb.142:                              ;   in Loop: Header=BB4_59 Depth=2
	s_set_inst_prefetch_distance 0x2
	s_or_b32 exec_lo, exec_lo, s14
.LBB4_143:                              ;   in Loop: Header=BB4_59 Depth=2
	s_delay_alu instid0(SALU_CYCLE_1) | instskip(SKIP_4) | instid1(VALU_DEP_2)
	s_or_b32 exec_lo, exec_lo, s5
	v_lshlrev_b32_e32 v14, 11, v2
	v_mov_b32_e32 v2, 0
	s_mov_b32 s13, 0
	s_mov_b32 s5, exec_lo
                                        ; implicit-def: $vgpr18
                                        ; implicit-def: $vgpr19
                                        ; implicit-def: $vgpr22
	v_cmpx_ne_u32_e64 v9, v14
	s_cbranch_execz .LBB4_152
; %bb.144:                              ;   in Loop: Header=BB4_59 Depth=2
	v_lshlrev_b32_e32 v2, 5, v20
	v_sub_nc_u32_e32 v13, v9, v14
	s_mov_b32 s38, exec_lo
	s_delay_alu instid0(VALU_DEP_2) | instskip(NEXT) | instid1(VALU_DEP_2)
	v_sub_nc_u32_e32 v2, v100, v2
	v_ashrrev_i32_e32 v15, 31, v13
	s_delay_alu instid0(VALU_DEP_2) | instskip(NEXT) | instid1(VALU_DEP_2)
	v_ashrrev_i32_e32 v12, 31, v2
	v_lshrrev_b32_e32 v15, 23, v15
	s_delay_alu instid0(VALU_DEP_2) | instskip(NEXT) | instid1(VALU_DEP_2)
	v_lshrrev_b32_e32 v12, 27, v12
	v_add_nc_u32_e32 v19, v13, v15
	s_delay_alu instid0(VALU_DEP_2) | instskip(NEXT) | instid1(VALU_DEP_2)
	v_add_nc_u32_e32 v12, v2, v12
	v_and_b32_e32 v15, 0xfffffe00, v19
	v_ashrrev_i32_e32 v19, 9, v19
	s_delay_alu instid0(VALU_DEP_3) | instskip(NEXT) | instid1(VALU_DEP_3)
	v_and_b32_e32 v18, 0xffffffe0, v12
	v_sub_nc_u32_e32 v21, v13, v15
	v_ashrrev_i32_e32 v12, 5, v12
	s_delay_alu instid0(VALU_DEP_3) | instskip(NEXT) | instid1(VALU_DEP_3)
	v_sub_nc_u32_e32 v20, v2, v18
	v_cmp_lt_i32_e32 vcc_lo, 15, v21
	s_delay_alu instid0(VALU_DEP_2) | instskip(SKIP_1) | instid1(VALU_DEP_2)
	v_lshlrev_b32_e32 v2, 4, v20
	v_add_co_ci_u32_e64 v19, s13, 0, v19, vcc_lo
	v_lshl_add_u32 v18, v12, 9, v2
	s_delay_alu instid0(VALU_DEP_2) | instskip(NEXT) | instid1(VALU_DEP_2)
	v_sub_nc_u32_e32 v23, v19, v12
	v_sub_nc_u32_e32 v2, v13, v18
	s_delay_alu instid0(VALU_DEP_1)
	v_cmpx_lt_i32_e32 15, v2
	s_cbranch_execz .LBB4_149
; %bb.145:                              ;   in Loop: Header=BB4_59 Depth=2
	s_cbranch_execz .LBB4_146
; %bb.6677:
	s_getpc_b64 s[46:47]
.Lpost_getpc112:
	s_add_u32 s46, s46, (.LBB4_6289-.Lpost_getpc112)&4294967295
	s_addc_u32 s47, s47, (.LBB4_6289-.Lpost_getpc112)>>32
	s_setpc_b64 s[46:47]
.LBB4_146:                              ;   in Loop: Header=BB4_59 Depth=2
	ds_load_b64 v[12:13], v0
	v_add_nc_u32_e32 v18, v18, v14
	s_mov_b32 s39, 0
	s_delay_alu instid0(VALU_DEP_1)
	v_ashrrev_i32_e32 v19, 31, v18
.LBB4_147:                              ;   Parent Loop BB4_51 Depth=1
                                        ;     Parent Loop BB4_59 Depth=2
                                        ; =>    This Inner Loop Header: Depth=3
	s_waitcnt lgkmcnt(0)
	v_add_co_u32 v80, s13, v12, v18
	s_delay_alu instid0(VALU_DEP_1)
	v_add_co_ci_u32_e64 v81, s13, v13, v19, s13
	v_sub_nc_u32_e32 v2, v2, v101
	v_add_co_u32 v18, s14, v18, v117
	global_load_b128 v[68:71], v[80:81], off slc dlc
	v_sub_nc_u32_e32 v23, v23, v97
	v_cmp_gt_i32_e64 s13, 16, v2
	v_add_co_ci_u32_e64 v19, s14, v19, v118, s14
	s_delay_alu instid0(VALU_DEP_2)
	s_or_b32 s39, s13, s39
	s_waitcnt vmcnt(0)
	global_store_b128 v[80:81], v[68:71], off glc slc dlc
	s_and_not1_b32 exec_lo, exec_lo, s39
	s_cbranch_execnz .LBB4_147
; %bb.148:                              ;   in Loop: Header=BB4_59 Depth=2
	s_or_b32 exec_lo, exec_lo, s39
.LBB4_149:                              ;   in Loop: Header=BB4_59 Depth=2
	s_delay_alu instid0(SALU_CYCLE_1) | instskip(SKIP_4) | instid1(VALU_DEP_2)
	s_or_b32 exec_lo, exec_lo, s38
	v_and_b32_e32 v12, 15, v9
	v_mov_b32_e32 v2, 0
	s_mov_b32 s14, 0
	s_mov_b32 s38, exec_lo
                                        ; implicit-def: $vgpr19
                                        ; implicit-def: $vgpr22
	v_cndmask_b32_e32 v18, v21, v12, vcc_lo
	s_delay_alu instid0(VALU_DEP_1)
	v_cmpx_ne_u32_e32 0, v18
; %bb.150:                              ;   in Loop: Header=BB4_59 Depth=2
	v_cmp_lt_i32_e64 s13, 0, v23
	v_sub_nc_u32_e32 v12, v21, v12
	s_mov_b32 s14, exec_lo
	s_delay_alu instid0(VALU_DEP_2) | instskip(NEXT) | instid1(VALU_DEP_1)
	v_cndmask_b32_e64 v2, 0, v97, s13
	v_sub_nc_u32_e32 v2, v2, v23
	s_delay_alu instid0(VALU_DEP_1) | instskip(NEXT) | instid1(VALU_DEP_1)
	v_lshl_add_u32 v19, v2, 5, v20
	v_ashrrev_i32_e32 v2, 31, v19
	s_delay_alu instid0(VALU_DEP_1) | instskip(NEXT) | instid1(VALU_DEP_1)
	v_lshrrev_b32_e32 v2, 27, v2
	v_dual_cndmask_b32 v12, 0, v12 :: v_dual_add_nc_u32 v13, v19, v2
	s_delay_alu instid0(VALU_DEP_1) | instskip(NEXT) | instid1(VALU_DEP_2)
	v_add3_u32 v2, v15, v14, v12
	v_ashrrev_i32_e32 v22, 5, v13
; %bb.151:                              ;   in Loop: Header=BB4_59 Depth=2
	s_or_b32 exec_lo, exec_lo, s38
	s_delay_alu instid0(SALU_CYCLE_1)
	s_and_b32 s13, s14, exec_lo
.LBB4_152:                              ;   in Loop: Header=BB4_59 Depth=2
	s_or_b32 exec_lo, exec_lo, s5
.LBB4_153:                              ;   in Loop: Header=BB4_59 Depth=2
	s_and_saveexec_b32 s14, s13
	s_cbranch_execz .LBB4_165
; %bb.154:                              ;   in Loop: Header=BB4_59 Depth=2
	s_delay_alu instid0(VALU_DEP_1) | instskip(SKIP_1) | instid1(VALU_DEP_1)
	v_ashrrev_i32_e32 v12, 31, v18
	s_mov_b32 s5, exec_lo
	v_lshrrev_b32_e32 v12, 23, v12
	s_delay_alu instid0(VALU_DEP_1) | instskip(NEXT) | instid1(VALU_DEP_1)
	v_add_nc_u32_e32 v12, v18, v12
	v_ashrrev_i32_e32 v21, 9, v12
	s_delay_alu instid0(VALU_DEP_1) | instskip(NEXT) | instid1(VALU_DEP_1)
	v_sub_nc_u32_e32 v20, v21, v22
	v_cmpx_lt_i32_e32 0, v20
	s_cbranch_execz .LBB4_159
; %bb.155:                              ;   in Loop: Header=BB4_59 Depth=2
	s_cbranch_execz .LBB4_156
; %bb.6679:
	s_getpc_b64 s[46:47]
.Lpost_getpc113:
	s_add_u32 s46, s46, (.LBB4_6219-.Lpost_getpc113)&4294967295
	s_addc_u32 s47, s47, (.LBB4_6219-.Lpost_getpc113)>>32
	s_setpc_b64 s[46:47]
.LBB4_156:                              ;   in Loop: Header=BB4_59 Depth=2
	v_ashrrev_i32_e32 v12, 31, v19
	s_mov_b32 s13, 0
	s_delay_alu instid0(VALU_DEP_1) | instskip(NEXT) | instid1(VALU_DEP_1)
	v_lshrrev_b32_e32 v12, 27, v12
	v_add_nc_u32_e32 v14, v19, v12
	ds_load_b64 v[12:13], v0
	v_lshlrev_b32_e32 v15, 9, v22
	v_and_b32_e32 v14, 0xffffffe0, v14
	s_delay_alu instid0(VALU_DEP_1) | instskip(NEXT) | instid1(VALU_DEP_1)
	v_sub_nc_u32_e32 v14, v19, v14
	v_add3_u32 v22, v2, v14, v15
	s_delay_alu instid0(VALU_DEP_1)
	v_ashrrev_i32_e32 v23, 31, v22
	s_waitcnt lgkmcnt(0)
	v_dual_mov_b32 v15, v13 :: v_dual_mov_b32 v14, v12
.LBB4_157:                              ;   Parent Loop BB4_51 Depth=1
                                        ;     Parent Loop BB4_59 Depth=2
                                        ; =>    This Inner Loop Header: Depth=3
	s_delay_alu instid0(VALU_DEP_1) | instskip(NEXT) | instid1(VALU_DEP_2)
	v_add_co_u32 v68, vcc_lo, v22, v14
	v_add_co_ci_u32_e32 v69, vcc_lo, v23, v15, vcc_lo
	v_sub_nc_u32_e32 v20, v20, v97
	s_clause 0xf
	flat_load_u8 v70, v[68:69] slc dlc
	flat_load_u8 v71, v[68:69] offset:32 slc dlc
	flat_load_u8 v80, v[68:69] offset:64 slc dlc
	;; [unrolled: 1-line block ×15, first 2 shown]
	v_add_co_u32 v68, vcc_lo, v22, v12
	v_add_co_ci_u32_e32 v69, vcc_lo, v23, v13, vcc_lo
	v_add_co_u32 v14, vcc_lo, v14, v117
	v_add_co_ci_u32_e32 v15, vcc_lo, v15, v118, vcc_lo
	;; [unrolled: 2-line block ×3, first 2 shown]
	v_cmp_gt_i32_e32 vcc_lo, 1, v20
	s_waitcnt vmcnt(15) lgkmcnt(15)
	flat_store_b8 v[68:69], v70 glc slc dlc
	s_waitcnt vmcnt(14) lgkmcnt(15)
	flat_store_b8 v[68:69], v71 offset:32 glc slc dlc
	s_waitcnt vmcnt(13) lgkmcnt(15)
	flat_store_b8 v[68:69], v80 offset:64 glc slc dlc
	;; [unrolled: 2-line block ×15, first 2 shown]
	s_or_b32 s13, vcc_lo, s13
	s_delay_alu instid0(SALU_CYCLE_1)
	s_and_not1_b32 exec_lo, exec_lo, s13
	s_cbranch_execnz .LBB4_157
; %bb.158:                              ;   in Loop: Header=BB4_59 Depth=2
	s_or_b32 exec_lo, exec_lo, s13
.LBB4_159:                              ;   in Loop: Header=BB4_59 Depth=2
	s_delay_alu instid0(SALU_CYCLE_1) | instskip(SKIP_2) | instid1(VALU_DEP_1)
	s_or_b32 exec_lo, exec_lo, s5
	v_lshlrev_b32_e32 v12, 9, v21
	s_mov_b32 s5, exec_lo
	v_cmpx_ne_u32_e64 v18, v12
	s_cbranch_execz .LBB4_164
; %bb.160:                              ;   in Loop: Header=BB4_59 Depth=2
	v_ashrrev_i32_e32 v13, 31, v19
	v_lshlrev_b32_e32 v14, 5, v20
	s_delay_alu instid0(VALU_DEP_2) | instskip(NEXT) | instid1(VALU_DEP_1)
	v_lshrrev_b32_e32 v13, 27, v13
	v_add_nc_u32_e32 v13, v19, v13
	s_delay_alu instid0(VALU_DEP_1) | instskip(NEXT) | instid1(VALU_DEP_1)
	v_and_b32_e32 v13, 0xffffffe0, v13
	v_sub_nc_u32_e32 v13, v19, v13
	s_delay_alu instid0(VALU_DEP_1) | instskip(NEXT) | instid1(VALU_DEP_1)
	v_sub_nc_u32_e32 v13, v13, v14
	v_add_nc_u32_e32 v15, v12, v13
	s_delay_alu instid0(VALU_DEP_1) | instskip(NEXT) | instid1(VALU_DEP_1)
	v_sub_nc_u32_e32 v14, v18, v15
	v_cmp_lt_i32_e32 vcc_lo, 0, v14
	s_and_b32 exec_lo, exec_lo, vcc_lo
	s_cbranch_execz .LBB4_164
; %bb.161:                              ;   in Loop: Header=BB4_59 Depth=2
	s_cbranch_execz .LBB4_162
; %bb.6681:
	s_getpc_b64 s[46:47]
.Lpost_getpc114:
	s_add_u32 s46, s46, (.LBB4_6281-.Lpost_getpc114)&4294967295
	s_addc_u32 s47, s47, (.LBB4_6281-.Lpost_getpc114)>>32
	s_setpc_b64 s[46:47]
.LBB4_162:                              ;   in Loop: Header=BB4_59 Depth=2
	ds_load_b64 v[12:13], v0
	v_add_nc_u32_e32 v2, v15, v2
	s_mov_b32 s38, 0
	s_delay_alu instid0(VALU_DEP_1)
	v_ashrrev_i32_e32 v15, 31, v2
.LBB4_163:                              ;   Parent Loop BB4_51 Depth=1
                                        ;     Parent Loop BB4_59 Depth=2
                                        ; =>    This Inner Loop Header: Depth=3
	s_waitcnt lgkmcnt(0)
	v_add_co_u32 v18, vcc_lo, v12, v2
	s_delay_alu instid0(VALU_DEP_2)
	v_add_co_ci_u32_e32 v19, vcc_lo, v13, v15, vcc_lo
	v_sub_nc_u32_e32 v14, v14, v98
	v_add_co_u32 v2, s13, v2, v128
	flat_load_u8 v20, v[18:19] slc dlc
	v_add_co_ci_u32_e64 v15, s13, v15, v129, s13
	v_cmp_gt_i32_e32 vcc_lo, 1, v14
	s_or_b32 s38, vcc_lo, s38
	s_waitcnt vmcnt(0) lgkmcnt(0)
	flat_store_b8 v[18:19], v20 glc slc dlc
	s_and_not1_b32 exec_lo, exec_lo, s38
	s_cbranch_execnz .LBB4_163
.LBB4_164:                              ;   in Loop: Header=BB4_59 Depth=2
	s_or_b32 exec_lo, exec_lo, s5
.LBB4_165:                              ;   in Loop: Header=BB4_59 Depth=2
	s_delay_alu instid0(SALU_CYCLE_1)
	s_or_b32 exec_lo, exec_lo, s14
	s_mov_b32 s14, s37
	s_mov_b32 s5, vcc_hi
.LBB4_166:                              ;   in Loop: Header=BB4_59 Depth=2
	s_and_saveexec_b32 s13, s3
	s_cbranch_execz .LBB4_188
; %bb.167:                              ;   in Loop: Header=BB4_59 Depth=2
	s_and_saveexec_b32 vcc_lo, s4
	s_delay_alu instid0(SALU_CYCLE_1)
	s_xor_b32 vcc_hi, exec_lo, vcc_lo
	s_cbranch_execz .LBB4_185
; %bb.168:                              ;   in Loop: Header=BB4_59 Depth=2
	s_and_saveexec_b32 s37, s1
	s_cbranch_execz .LBB4_184
; %bb.169:                              ;   in Loop: Header=BB4_59 Depth=2
	s_mov_b32 s39, exec_lo
	s_mov_b32 s38, exec_lo
	v_mbcnt_lo_u32_b32 v2, s39, 0
	s_waitcnt lgkmcnt(0)
	s_waitcnt_vscnt null, 0x0
	buffer_gl1_inv
	buffer_gl0_inv
	v_cmpx_eq_u32_e32 0, v2
	s_cbranch_execz .LBB4_171
; %bb.170:                              ;   in Loop: Header=BB4_59 Depth=2
	s_bcnt1_i32_b32 vcc_lo, s39
	s_delay_alu instid0(SALU_CYCLE_1)
	v_mov_b32_e32 v2, vcc_lo
	ds_add_u64 v0, v[2:3]
	s_cbranch_execz .LBB4_171
; %bb.6683:
	s_getpc_b64 s[46:47]
.Lpost_getpc115:
	s_add_u32 s46, s46, (.LBB4_6255-.Lpost_getpc115)&4294967295
	s_addc_u32 s47, s47, (.LBB4_6255-.Lpost_getpc115)>>32
	s_setpc_b64 s[46:47]
.LBB4_171:                              ;   in Loop: Header=BB4_59 Depth=2
	s_or_b32 exec_lo, exec_lo, s38
	s_cbranch_execz .LBB4_172
; %bb.6685:
	s_getpc_b64 s[46:47]
.Lpost_getpc116:
	s_add_u32 s46, s46, (.LBB4_6233-.Lpost_getpc116)&4294967295
	s_addc_u32 s47, s47, (.LBB4_6233-.Lpost_getpc116)>>32
	s_setpc_b64 s[46:47]
.LBB4_172:                              ;   in Loop: Header=BB4_59 Depth=2
	ds_load_b64 v[12:13], v0
	v_add_co_u32 v48, vcc_lo, v48, v97
	v_add_co_ci_u32_e32 v49, vcc_lo, 0, v49, vcc_lo
	s_mov_b32 s38, exec_lo
	s_waitcnt lgkmcnt(0)
	s_delay_alu instid0(VALU_DEP_1)
	v_cmpx_lt_u64_e64 v[12:13], v[48:49]
	s_cbranch_execz .LBB4_183
; %bb.173:                              ;   in Loop: Header=BB4_59 Depth=2
	s_mov_b32 s39, 0
	s_mov_b32 s42, 0
                                        ; implicit-def: $sgpr40
                                        ; implicit-def: $sgpr41
	s_branch .LBB4_175
.LBB4_174:                              ;   in Loop: Header=BB4_175 Depth=3
	s_or_b32 exec_lo, exec_lo, s44
	s_delay_alu instid0(SALU_CYCLE_1) | instskip(NEXT) | instid1(SALU_CYCLE_1)
	s_and_b32 vcc_lo, exec_lo, vcc_lo
	s_or_b32 s39, vcc_lo, s39
	s_and_not1_b32 vcc_lo, s40, exec_lo
	s_and_b32 s40, s41, exec_lo
	s_delay_alu instid0(SALU_CYCLE_1)
	s_or_b32 s40, vcc_lo, s40
	s_and_not1_b32 exec_lo, exec_lo, s39
	s_cbranch_execz .LBB4_181
.LBB4_175:                              ;   Parent Loop BB4_51 Depth=1
                                        ;     Parent Loop BB4_59 Depth=2
                                        ; =>    This Inner Loop Header: Depth=3
	s_add_i32 s42, s42, 1
                                        ; implicit-def: $sgpr44
	s_delay_alu instid0(SALU_CYCLE_1) | instskip(SKIP_1) | instid1(SALU_CYCLE_1)
	s_cmpk_lg_i32 s42, 0x2710
	s_cselect_b32 s43, -1, 0
	s_and_b32 vcc_lo, exec_lo, s43
	s_cbranch_vccz .LBB4_179
.LBB4_176:                              ;   in Loop: Header=BB4_175 Depth=3
	s_and_not1_b32 s41, s41, exec_lo
	s_and_b32 s44, s44, exec_lo
	s_mov_b32 vcc_lo, -1
	s_or_b32 s41, s41, s44
	s_and_saveexec_b32 s44, s43
	s_cbranch_execz .LBB4_174
; %bb.177:                              ;   in Loop: Header=BB4_175 Depth=3
	s_sleep 1
	s_cbranch_execz .LBB4_178
; %bb.6687:
	s_getpc_b64 s[46:47]
.Lpost_getpc117:
	s_add_u32 s46, s46, (.LBB4_6307-.Lpost_getpc117)&4294967295
	s_addc_u32 s47, s47, (.LBB4_6307-.Lpost_getpc117)>>32
	s_setpc_b64 s[46:47]
.LBB4_178:                              ;   in Loop: Header=BB4_175 Depth=3
	ds_load_b64 v[12:13], v0
	s_and_not1_b32 s41, s41, exec_lo
	s_waitcnt lgkmcnt(0)
	v_cmp_ge_u64_e32 vcc_lo, v[12:13], v[48:49]
	s_or_not1_b32 vcc_lo, vcc_lo, exec_lo
	s_branch .LBB4_174
.LBB4_179:                              ;   in Loop: Header=BB4_175 Depth=3
	s_cbranch_execz .LBB4_180
; %bb.6689:
	s_getpc_b64 s[46:47]
.Lpost_getpc118:
	s_add_u32 s46, s46, (.LBB4_6317-.Lpost_getpc118)&4294967295
	s_addc_u32 s47, s47, (.LBB4_6317-.Lpost_getpc118)>>32
	s_setpc_b64 s[46:47]
.LBB4_180:                              ;   in Loop: Header=BB4_175 Depth=3
	ds_load_b64 v[12:13], v0
	s_and_not1_b32 s43, s43, exec_lo
	s_mov_b32 s42, 0
	s_mov_b32 s44, -1
	s_waitcnt lgkmcnt(0)
	flat_load_b32 v2, v[12:13] glc
	s_waitcnt vmcnt(0) lgkmcnt(0)
	buffer_gl1_inv
	buffer_gl0_inv
	v_cmp_eq_u32_e32 vcc_lo, 0, v2
	s_and_b32 vcc_lo, vcc_lo, exec_lo
	s_delay_alu instid0(SALU_CYCLE_1)
	s_or_b32 s43, s43, vcc_lo
	s_branch .LBB4_176
.LBB4_181:                              ;   in Loop: Header=BB4_59 Depth=2
	s_or_b32 exec_lo, exec_lo, s39
	s_and_saveexec_b32 vcc_lo, s40
	s_delay_alu instid0(SALU_CYCLE_1)
	s_xor_b32 vcc_lo, exec_lo, vcc_lo
	s_cbranch_execz .LBB4_183
; %bb.182:                              ;   in Loop: Header=BB4_59 Depth=2
	ds_store_b32 v0, v134
	s_cbranch_execz .LBB4_183
; %bb.6691:
	s_getpc_b64 s[46:47]
.Lpost_getpc119:
	s_add_u32 s46, s46, (.LBB4_6531-.Lpost_getpc119)&4294967295
	s_addc_u32 s47, s47, (.LBB4_6531-.Lpost_getpc119)>>32
	s_setpc_b64 s[46:47]
.LBB4_183:                              ;   in Loop: Header=BB4_59 Depth=2
	s_or_b32 exec_lo, exec_lo, s38
	;;#ASMSTART
	s_wakeup
	;;#ASMEND
.LBB4_184:                              ;   in Loop: Header=BB4_59 Depth=2
	s_or_b32 exec_lo, exec_lo, s37
.LBB4_185:                              ;   in Loop: Header=BB4_59 Depth=2
	s_and_not1_saveexec_b32 vcc_lo, vcc_hi
	s_cbranch_execz .LBB4_187
; %bb.186:                              ;   in Loop: Header=BB4_59 Depth=2
	s_waitcnt lgkmcnt(0)
	s_waitcnt_vscnt null, 0x0
	buffer_gl1_inv
	buffer_gl0_inv
	s_barrier
.LBB4_187:                              ;   in Loop: Header=BB4_59 Depth=2
	s_or_b32 exec_lo, exec_lo, vcc_lo
.LBB4_188:                              ;   in Loop: Header=BB4_59 Depth=2
	s_delay_alu instid0(SALU_CYCLE_1) | instskip(SKIP_1) | instid1(SALU_CYCLE_1)
	s_or_b32 exec_lo, exec_lo, s13
                                        ; implicit-def: $vgpr2
	s_and_saveexec_b32 s13, s7
	s_xor_b32 vcc_hi, exec_lo, s13
	s_cbranch_execz .LBB4_192
; %bb.189:                              ;   in Loop: Header=BB4_59 Depth=2
	v_and_b32_e32 v2, 16, v30
	v_cmp_lt_i32_e32 vcc_lo, 0, v9
	s_delay_alu instid0(VALU_DEP_2) | instskip(SKIP_1) | instid1(VALU_DEP_2)
	v_cmp_ne_u32_e64 s13, 0, v2
	v_and_b32_e32 v2, 16, v30
	s_and_b32 vcc_lo, s13, vcc_lo
	s_delay_alu instid0(SALU_CYCLE_1)
	s_and_saveexec_b32 s13, vcc_lo
	s_cbranch_execz .LBB4_191
; %bb.190:                              ;   in Loop: Header=BB4_59 Depth=2
	v_mov_b32_e32 v2, 1
	s_waitcnt lgkmcnt(0)
	s_waitcnt_vscnt null, 0x0
	buffer_gl1_inv
	buffer_gl0_inv
.LBB4_191:                              ;   in Loop: Header=BB4_59 Depth=2
	s_or_b32 exec_lo, exec_lo, s13
.LBB4_192:                              ;   in Loop: Header=BB4_59 Depth=2
	s_and_not1_saveexec_b32 s13, vcc_hi
	s_cbranch_execz .LBB4_214
; %bb.193:                              ;   in Loop: Header=BB4_59 Depth=2
	s_and_saveexec_b32 vcc_lo, s4
	s_delay_alu instid0(SALU_CYCLE_1)
	s_xor_b32 vcc_hi, exec_lo, vcc_lo
	s_cbranch_execz .LBB4_211
; %bb.194:                              ;   in Loop: Header=BB4_59 Depth=2
	s_and_saveexec_b32 s37, s1
	s_cbranch_execz .LBB4_210
; %bb.195:                              ;   in Loop: Header=BB4_59 Depth=2
	s_mov_b32 s39, exec_lo
	s_mov_b32 s38, exec_lo
	v_mbcnt_lo_u32_b32 v2, s39, 0
	;;#ASMSTART
	s_waitcnt lgkmcnt(0) vmcnt(0)
	;;#ASMEND
	s_delay_alu instid0(VALU_DEP_1)
	v_cmpx_eq_u32_e32 0, v2
	s_cbranch_execz .LBB4_197
; %bb.196:                              ;   in Loop: Header=BB4_59 Depth=2
	s_bcnt1_i32_b32 vcc_lo, s39
	s_delay_alu instid0(SALU_CYCLE_1)
	v_mov_b32_e32 v2, vcc_lo
	ds_add_u64 v0, v[2:3]
	s_cbranch_execz .LBB4_197
; %bb.6693:
	s_getpc_b64 s[46:47]
.Lpost_getpc120:
	s_add_u32 s46, s46, (.LBB4_6263-.Lpost_getpc120)&4294967295
	s_addc_u32 s47, s47, (.LBB4_6263-.Lpost_getpc120)>>32
	s_setpc_b64 s[46:47]
.LBB4_197:                              ;   in Loop: Header=BB4_59 Depth=2
	s_or_b32 exec_lo, exec_lo, s38
	s_cbranch_execz .LBB4_198
; %bb.6695:
	s_getpc_b64 s[46:47]
.Lpost_getpc121:
	s_add_u32 s46, s46, (.LBB4_6239-.Lpost_getpc121)&4294967295
	s_addc_u32 s47, s47, (.LBB4_6239-.Lpost_getpc121)>>32
	s_setpc_b64 s[46:47]
.LBB4_198:                              ;   in Loop: Header=BB4_59 Depth=2
	ds_load_b64 v[12:13], v0
	v_add_co_u32 v48, vcc_lo, v48, v97
	v_add_co_ci_u32_e32 v49, vcc_lo, 0, v49, vcc_lo
	s_mov_b32 s38, exec_lo
	s_waitcnt lgkmcnt(0)
	s_delay_alu instid0(VALU_DEP_1)
	v_cmpx_lt_u64_e64 v[12:13], v[48:49]
	s_cbranch_execz .LBB4_209
; %bb.199:                              ;   in Loop: Header=BB4_59 Depth=2
	s_mov_b32 s39, 0
	s_mov_b32 s42, 0
                                        ; implicit-def: $sgpr40
                                        ; implicit-def: $sgpr41
	s_branch .LBB4_201
.LBB4_200:                              ;   in Loop: Header=BB4_201 Depth=3
	s_or_b32 exec_lo, exec_lo, s44
	s_delay_alu instid0(SALU_CYCLE_1) | instskip(NEXT) | instid1(SALU_CYCLE_1)
	s_and_b32 vcc_lo, exec_lo, vcc_lo
	s_or_b32 s39, vcc_lo, s39
	s_and_not1_b32 vcc_lo, s40, exec_lo
	s_and_b32 s40, s41, exec_lo
	s_delay_alu instid0(SALU_CYCLE_1)
	s_or_b32 s40, vcc_lo, s40
	s_and_not1_b32 exec_lo, exec_lo, s39
	s_cbranch_execz .LBB4_207
.LBB4_201:                              ;   Parent Loop BB4_51 Depth=1
                                        ;     Parent Loop BB4_59 Depth=2
                                        ; =>    This Inner Loop Header: Depth=3
	s_add_i32 s42, s42, 1
                                        ; implicit-def: $sgpr44
	s_delay_alu instid0(SALU_CYCLE_1) | instskip(SKIP_1) | instid1(SALU_CYCLE_1)
	s_cmpk_lg_i32 s42, 0x2710
	s_cselect_b32 s43, -1, 0
	s_and_b32 vcc_lo, exec_lo, s43
	s_cbranch_vccz .LBB4_205
.LBB4_202:                              ;   in Loop: Header=BB4_201 Depth=3
	s_and_not1_b32 s41, s41, exec_lo
	s_and_b32 s44, s44, exec_lo
	s_mov_b32 vcc_lo, -1
	s_or_b32 s41, s41, s44
	s_and_saveexec_b32 s44, s43
	s_cbranch_execz .LBB4_200
; %bb.203:                              ;   in Loop: Header=BB4_201 Depth=3
	s_sleep 1
	s_cbranch_execz .LBB4_204
; %bb.6697:
	s_getpc_b64 s[46:47]
.Lpost_getpc122:
	s_add_u32 s46, s46, (.LBB4_6311-.Lpost_getpc122)&4294967295
	s_addc_u32 s47, s47, (.LBB4_6311-.Lpost_getpc122)>>32
	s_setpc_b64 s[46:47]
.LBB4_204:                              ;   in Loop: Header=BB4_201 Depth=3
	ds_load_b64 v[12:13], v0
	s_and_not1_b32 s41, s41, exec_lo
	s_waitcnt lgkmcnt(0)
	v_cmp_ge_u64_e32 vcc_lo, v[12:13], v[48:49]
	s_or_not1_b32 vcc_lo, vcc_lo, exec_lo
	s_branch .LBB4_200
.LBB4_205:                              ;   in Loop: Header=BB4_201 Depth=3
	s_cbranch_execz .LBB4_206
; %bb.6699:
	s_getpc_b64 s[46:47]
.Lpost_getpc123:
	s_add_u32 s46, s46, (.LBB4_6331-.Lpost_getpc123)&4294967295
	s_addc_u32 s47, s47, (.LBB4_6331-.Lpost_getpc123)>>32
	s_setpc_b64 s[46:47]
.LBB4_206:                              ;   in Loop: Header=BB4_201 Depth=3
	ds_load_b64 v[12:13], v0
	s_and_not1_b32 s43, s43, exec_lo
	s_mov_b32 s42, 0
	s_mov_b32 s44, -1
	s_waitcnt lgkmcnt(0)
	s_waitcnt_vscnt null, 0x0
	flat_load_b32 v2, v[12:13] glc
	s_waitcnt vmcnt(0) lgkmcnt(0)
	buffer_gl1_inv
	buffer_gl0_inv
	v_cmp_eq_u32_e32 vcc_lo, 0, v2
	s_and_b32 vcc_lo, vcc_lo, exec_lo
	s_delay_alu instid0(SALU_CYCLE_1)
	s_or_b32 s43, s43, vcc_lo
	s_branch .LBB4_202
.LBB4_207:                              ;   in Loop: Header=BB4_59 Depth=2
	s_or_b32 exec_lo, exec_lo, s39
	s_and_saveexec_b32 vcc_lo, s40
	s_delay_alu instid0(SALU_CYCLE_1)
	s_xor_b32 vcc_lo, exec_lo, vcc_lo
	s_cbranch_execz .LBB4_209
; %bb.208:                              ;   in Loop: Header=BB4_59 Depth=2
	ds_store_b32 v0, v134
	s_cbranch_execz .LBB4_209
; %bb.6701:
	s_getpc_b64 s[46:47]
.Lpost_getpc124:
	s_add_u32 s46, s46, (.LBB4_6535-.Lpost_getpc124)&4294967295
	s_addc_u32 s47, s47, (.LBB4_6535-.Lpost_getpc124)>>32
	s_setpc_b64 s[46:47]
.LBB4_209:                              ;   in Loop: Header=BB4_59 Depth=2
	s_or_b32 exec_lo, exec_lo, s38
	;;#ASMSTART
	s_wakeup
	;;#ASMEND
.LBB4_210:                              ;   in Loop: Header=BB4_59 Depth=2
	s_or_b32 exec_lo, exec_lo, s37
.LBB4_211:                              ;   in Loop: Header=BB4_59 Depth=2
	s_and_not1_saveexec_b32 vcc_lo, vcc_hi
	s_cbranch_execz .LBB4_213
; %bb.212:                              ;   in Loop: Header=BB4_59 Depth=2
	;;#ASMSTART
	s_waitcnt lgkmcnt(0) vmcnt(0)
	;;#ASMEND
	s_waitcnt lgkmcnt(0)
	s_waitcnt_vscnt null, 0x0
	s_barrier
.LBB4_213:                              ;   in Loop: Header=BB4_59 Depth=2
	s_or_b32 exec_lo, exec_lo, vcc_lo
	v_and_b32_e32 v2, 16, v30
.LBB4_214:                              ;   in Loop: Header=BB4_59 Depth=2
	s_or_b32 exec_lo, exec_lo, s13
	s_delay_alu instid0(SALU_CYCLE_1) | instskip(NEXT) | instid1(VALU_DEP_1)
	s_mov_b32 s13, exec_lo
	v_cmpx_ne_u32_e32 0, v2
	s_cbranch_execz .LBB4_218
; %bb.215:                              ;   in Loop: Header=BB4_59 Depth=2
	s_and_saveexec_b32 vcc_lo, s2
	s_cbranch_execz .LBB4_217
; %bb.216:                              ;   in Loop: Header=BB4_59 Depth=2
	s_waitcnt lgkmcnt(0)
	s_waitcnt_vscnt null, 0x0
	flat_store_b32 v[38:39], v134
.LBB4_217:                              ;   in Loop: Header=BB4_59 Depth=2
	s_or_b32 exec_lo, exec_lo, vcc_lo
	v_add_co_u32 v34, vcc_lo, v34, 2
	v_add_co_ci_u32_e32 v35, vcc_lo, 0, v35, vcc_lo
	s_waitcnt lgkmcnt(0)
	s_waitcnt_vscnt null, 0x0
	flat_store_b64 v[32:33], v[34:35]
.LBB4_218:                              ;   in Loop: Header=BB4_59 Depth=2
	s_or_b32 exec_lo, exec_lo, s13
	v_dual_mov_b32 v2, s36 :: v_dual_add_nc_u32 v17, v8, v17
	s_xor_b32 s13, s17, -1
	s_mov_b32 s17, 0
	s_mov_b32 s36, 2
	s_delay_alu instid0(VALU_DEP_1) | instskip(SKIP_1) | instid1(SALU_CYCLE_1)
	v_cmp_ge_i32_e32 vcc_lo, v17, v16
	s_or_b32 s13, s13, vcc_lo
	s_and_b32 s13, exec_lo, s13
	s_delay_alu instid0(SALU_CYCLE_1) | instskip(NEXT) | instid1(SALU_CYCLE_1)
	s_or_b32 s16, s13, s16
	s_and_not1_b32 exec_lo, exec_lo, s16
	s_cbranch_execnz .LBB4_59
; %bb.219:                              ;   in Loop: Header=BB4_51 Depth=1
	s_or_b32 exec_lo, exec_lo, s16
	v_readlane_b32 s17, v56, 0
	s_mov_b32 vcc_hi, s6
	s_mov_b32 s6, s10
	s_mov_b32 s10, s11
	;; [unrolled: 1-line block ×3, first 2 shown]
.LBB4_220:                              ;   in Loop: Header=BB4_51 Depth=1
	s_or_b32 exec_lo, exec_lo, s15
	s_delay_alu instid0(SALU_CYCLE_1)
	s_mov_b32 s15, exec_lo
	v_cmpx_gt_i32_e32 2, v2
	s_cbranch_execz .LBB4_301
; %bb.221:                              ;   in Loop: Header=BB4_51 Depth=1
	v_cmp_eq_u32_e64 s13, 0, v2
	s_mov_b32 s16, 0
.LBB4_222:                              ;   Parent Loop BB4_51 Depth=1
                                        ; =>  This Loop Header: Depth=2
                                        ;       Child Loop BB4_228 Depth 3
                                        ;       Child Loop BB4_255 Depth 3
	;; [unrolled: 1-line block ×3, first 2 shown]
	v_and_b32_e32 v2, 8, v30
	s_mov_b32 s36, -1
	s_mov_b32 s2, exec_lo
	s_delay_alu instid0(VALU_DEP_1)
	v_cmpx_ne_u32_e32 0, v2
	s_cbranch_execz .LBB4_236
; %bb.223:                              ;   in Loop: Header=BB4_222 Depth=2
	v_add_co_u32 v11, vcc_lo, v50, 8
	v_add_co_ci_u32_e32 v12, vcc_lo, 0, v51, vcc_lo
	v_add_co_u32 v9, vcc_lo, v34, 2
	v_add_co_ci_u32_e32 v10, vcc_lo, 0, v35, vcc_lo
	v_mov_b32_e32 v2, 1
	s_mov_b32 s36, exec_lo
	s_delay_alu instid0(VALU_DEP_2)
	v_cmpx_lt_u64_e64 v[11:12], v[9:10]
	s_cbranch_execz .LBB4_235
; %bb.224:                              ;   in Loop: Header=BB4_222 Depth=2
	v_mov_b32_e32 v2, 0
	s_mov_b32 s37, 0
                                        ; implicit-def: $sgpr38
	s_branch .LBB4_228
.LBB4_225:                              ;   in Loop: Header=BB4_228 Depth=3
	s_or_b32 exec_lo, exec_lo, s42
	v_mov_b32_e32 v11, 0
	s_or_not1_b32 s41, s41, exec_lo
.LBB4_226:                              ;   in Loop: Header=BB4_228 Depth=3
	s_or_b32 exec_lo, exec_lo, s40
	s_delay_alu instid0(VALU_DEP_1) | instskip(SKIP_2) | instid1(SALU_CYCLE_1)
	v_mov_b32_e32 v2, v11
	s_and_not1_b32 vcc_lo, s38, exec_lo
	s_and_b32 s38, s41, exec_lo
	s_or_b32 s38, vcc_lo, s38
.LBB4_227:                              ;   in Loop: Header=BB4_228 Depth=3
	s_or_b32 exec_lo, exec_lo, s39
	s_waitcnt vmcnt(0) lgkmcnt(0)
	v_add_co_u32 v11, vcc_lo, v50, 8
	v_add_co_ci_u32_e32 v12, vcc_lo, 0, v51, vcc_lo
	s_xor_b32 s39, s38, -1
	s_delay_alu instid0(VALU_DEP_1) | instskip(SKIP_1) | instid1(SALU_CYCLE_1)
	v_cmp_ge_u64_e32 vcc_lo, v[11:12], v[9:10]
	s_or_b32 vcc_lo, s39, vcc_lo
	s_and_b32 vcc_lo, exec_lo, vcc_lo
	s_delay_alu instid0(SALU_CYCLE_1) | instskip(NEXT) | instid1(SALU_CYCLE_1)
	s_or_b32 s37, vcc_lo, s37
	s_and_not1_b32 exec_lo, exec_lo, s37
	s_cbranch_execz .LBB4_234
.LBB4_228:                              ;   Parent Loop BB4_51 Depth=1
                                        ;     Parent Loop BB4_222 Depth=2
                                        ; =>    This Inner Loop Header: Depth=3
	s_sleep 1
	flat_load_b64 v[50:51], v[32:33] glc
	v_and_b32_e32 v11, 64, v30
	s_and_not1_b32 s38, s38, exec_lo
	s_mov_b32 s39, exec_lo
	s_delay_alu instid0(VALU_DEP_1)
	v_cmpx_eq_u32_e32 0, v11
	s_cbranch_execz .LBB4_227
; %bb.229:                              ;   in Loop: Header=BB4_228 Depth=3
	v_add_nc_u32_e32 v11, 1, v2
	s_mov_b32 s41, -1
	s_mov_b32 s40, exec_lo
	v_cmpx_lt_i32_e32 0x270e, v2
	s_cbranch_execz .LBB4_226
; %bb.230:                              ;   in Loop: Header=BB4_228 Depth=3
	s_cbranch_execz .LBB4_231
; %bb.6703:
	s_getpc_b64 s[46:47]
.Lpost_getpc125:
	s_add_u32 s46, s46, (.LBB4_6138-.Lpost_getpc125)&4294967295
	s_addc_u32 s47, s47, (.LBB4_6138-.Lpost_getpc125)>>32
	s_setpc_b64 s[46:47]
.LBB4_231:                              ;   in Loop: Header=BB4_228 Depth=3
	ds_load_b64 v[11:12], v0
	s_mov_b32 s42, exec_lo
	s_waitcnt vmcnt(0) lgkmcnt(0)
	s_waitcnt_vscnt null, 0x0
	flat_load_b32 v2, v[11:12] glc
	s_waitcnt vmcnt(0) lgkmcnt(0)
	buffer_gl1_inv
	buffer_gl0_inv
	v_cmpx_ne_u32_e32 0, v2
	s_cbranch_execz .LBB4_225
; %bb.232:                              ;   in Loop: Header=BB4_228 Depth=3
	ds_store_b32 v0, v2
	s_cbranch_execz .LBB4_233
; %bb.6705:
	s_getpc_b64 s[46:47]
.Lpost_getpc126:
	s_add_u32 s46, s46, (.LBB4_6150-.Lpost_getpc126)&4294967295
	s_addc_u32 s47, s47, (.LBB4_6150-.Lpost_getpc126)>>32
	s_setpc_b64 s[46:47]
.LBB4_233:                              ;   in Loop: Header=BB4_228 Depth=3
	v_or_b32_e32 v30, 64, v30
	s_xor_b32 s41, exec_lo, -1
	s_branch .LBB4_225
.LBB4_234:                              ;   in Loop: Header=BB4_222 Depth=2
	s_or_b32 exec_lo, exec_lo, s37
	v_and_b32_e32 v2, 8, v30
.LBB4_235:                              ;   in Loop: Header=BB4_222 Depth=2
	s_or_b32 exec_lo, exec_lo, s36
	s_delay_alu instid0(VALU_DEP_1)
	v_cmp_eq_u32_e32 vcc_lo, 0, v2
	;;#ASMSTART
	s_wakeup
	;;#ASMEND
	s_or_not1_b32 s36, vcc_lo, exec_lo
.LBB4_236:                              ;   in Loop: Header=BB4_222 Depth=2
	s_or_b32 exec_lo, exec_lo, s2
	v_sub_nc_u32_e32 v2, v16, v17
	s_xor_b32 s2, s13, -1
	s_delay_alu instid0(SALU_CYCLE_1) | instskip(NEXT) | instid1(SALU_CYCLE_1)
	s_and_b32 s2, exec_lo, s2
	s_or_b32 s16, s2, s16
	s_delay_alu instid0(VALU_DEP_1) | instskip(SKIP_1) | instid1(SALU_CYCLE_1)
	v_min_i32_e32 v8, v8, v2
	s_xor_b32 s13, s36, -1
	s_and_saveexec_b32 s2, s13
	s_cbranch_execz .LBB4_246
; %bb.237:                              ;   in Loop: Header=BB4_222 Depth=2
	v_and_b32_e32 v2, 0x100, v30
	s_mov_b32 s13, -1
                                        ; implicit-def: $vgpr9_vgpr10
	s_delay_alu instid0(VALU_DEP_1)
	v_cmp_ne_u32_e32 vcc_lo, 0, v2
	v_and_b32_e32 v2, 7, v34
	s_and_saveexec_b32 s36, vcc_lo
	s_cbranch_execz .LBB4_241
; %bb.238:                              ;   in Loop: Header=BB4_222 Depth=2
	s_delay_alu instid0(VALU_DEP_1)
	v_mad_u64_u32 v[11:12], null, v2, 24, v[6:7]
	v_ashrrev_i32_e32 v9, 31, v8
	flat_load_b32 v10, v[11:12]
	flat_store_b64 v[11:12], v[8:9] offset:8
	s_waitcnt vmcnt(0) lgkmcnt(1)
	v_cmp_ne_u32_e32 vcc_lo, 1, v10
	v_cmp_eq_u32_e64 s13, 1, v10
                                        ; implicit-def: $vgpr9_vgpr10
	s_delay_alu instid0(VALU_DEP_1)
	s_and_saveexec_b32 s37, s13
	s_cbranch_execz .LBB4_240
; %bb.239:                              ;   in Loop: Header=BB4_222 Depth=2
	flat_load_b32 v9, v[11:12] offset:4 glc
	s_waitcnt vmcnt(0) lgkmcnt(0)
	v_ashrrev_i32_e32 v10, 31, v9
.LBB4_240:                              ;   in Loop: Header=BB4_222 Depth=2
	s_or_b32 exec_lo, exec_lo, s37
	s_delay_alu instid0(SALU_CYCLE_1)
	s_or_not1_b32 s13, vcc_lo, exec_lo
.LBB4_241:                              ;   in Loop: Header=BB4_222 Depth=2
	s_or_b32 exec_lo, exec_lo, s36
	s_and_saveexec_b32 vcc_lo, s13
; %bb.242:                              ;   in Loop: Header=BB4_222 Depth=2
	v_mad_i64_i32 v[9:10], null, v2, v86, 0
; %bb.243:                              ;   in Loop: Header=BB4_222 Depth=2
	s_or_b32 exec_lo, exec_lo, vcc_lo
	s_delay_alu instid0(VALU_DEP_1) | instskip(SKIP_1) | instid1(VALU_DEP_3)
	v_add_co_u32 v9, vcc_lo, v36, v9
	v_and_b32_e32 v2, 0x2000, v30
	v_add_co_ci_u32_e32 v10, vcc_lo, v37, v10, vcc_lo
	s_mov_b32 s13, exec_lo
	ds_store_b64 v0, v[9:10] offset:784
	v_cmpx_ne_u32_e32 0, v2
	s_cbranch_execz .LBB4_245
; %bb.244:                              ;   in Loop: Header=BB4_222 Depth=2
	ds_load_b64 v[9:10], v0 offset:584
	s_waitcnt lgkmcnt(0)
	v_add_co_u32 v9, vcc_lo, v9, 1
	v_add_co_ci_u32_e32 v10, vcc_lo, 0, v10, vcc_lo
	ds_store_b64 v0, v[9:10] offset:584
.LBB4_245:                              ;   in Loop: Header=BB4_222 Depth=2
	s_or_b32 exec_lo, exec_lo, s13
	v_add_co_u32 v34, vcc_lo, v34, 2
	v_add_co_ci_u32_e32 v35, vcc_lo, 0, v35, vcc_lo
.LBB4_246:                              ;   in Loop: Header=BB4_222 Depth=2
	s_or_b32 exec_lo, exec_lo, s2
	s_and_saveexec_b32 s13, s3
	s_cbranch_execz .LBB4_268
; %bb.247:                              ;   in Loop: Header=BB4_222 Depth=2
	s_and_saveexec_b32 s2, s4
	s_delay_alu instid0(SALU_CYCLE_1)
	s_xor_b32 s2, exec_lo, s2
	s_cbranch_execz .LBB4_265
; %bb.248:                              ;   in Loop: Header=BB4_222 Depth=2
	s_and_saveexec_b32 s36, s1
	s_cbranch_execz .LBB4_264
; %bb.249:                              ;   in Loop: Header=BB4_222 Depth=2
	s_mov_b32 s37, exec_lo
	s_mov_b32 s17, exec_lo
	v_mbcnt_lo_u32_b32 v2, s37, 0
	s_waitcnt lgkmcnt(0)
	s_waitcnt_vscnt null, 0x0
	buffer_gl1_inv
	buffer_gl0_inv
	v_cmpx_eq_u32_e32 0, v2
	s_cbranch_execz .LBB4_251
; %bb.250:                              ;   in Loop: Header=BB4_222 Depth=2
	s_bcnt1_i32_b32 vcc_lo, s37
	s_delay_alu instid0(SALU_CYCLE_1)
	v_mov_b32_e32 v2, vcc_lo
	ds_add_u64 v0, v[2:3]
	s_cbranch_execz .LBB4_251
; %bb.6707:
	s_getpc_b64 s[46:47]
.Lpost_getpc127:
	s_add_u32 s46, s46, (.LBB4_6181-.Lpost_getpc127)&4294967295
	s_addc_u32 s47, s47, (.LBB4_6181-.Lpost_getpc127)>>32
	s_setpc_b64 s[46:47]
.LBB4_251:                              ;   in Loop: Header=BB4_222 Depth=2
	s_or_b32 exec_lo, exec_lo, s17
	s_cbranch_execz .LBB4_252
; %bb.6709:
	s_getpc_b64 s[46:47]
.Lpost_getpc128:
	s_add_u32 s46, s46, (.LBB4_6163-.Lpost_getpc128)&4294967295
	s_addc_u32 s47, s47, (.LBB4_6163-.Lpost_getpc128)>>32
	s_setpc_b64 s[46:47]
.LBB4_252:                              ;   in Loop: Header=BB4_222 Depth=2
	ds_load_b64 v[9:10], v0
	v_add_co_u32 v48, vcc_lo, v48, v97
	v_add_co_ci_u32_e32 v49, vcc_lo, 0, v49, vcc_lo
	s_mov_b32 s17, exec_lo
	s_waitcnt lgkmcnt(0)
	s_delay_alu instid0(VALU_DEP_1)
	v_cmpx_lt_u64_e64 v[9:10], v[48:49]
	s_cbranch_execz .LBB4_263
; %bb.253:                              ;   in Loop: Header=BB4_222 Depth=2
	s_mov_b32 s37, 0
	s_mov_b32 s40, 0
                                        ; implicit-def: $sgpr38
                                        ; implicit-def: $sgpr39
	s_branch .LBB4_255
.LBB4_254:                              ;   in Loop: Header=BB4_255 Depth=3
	s_or_b32 exec_lo, exec_lo, s42
	s_delay_alu instid0(SALU_CYCLE_1) | instskip(NEXT) | instid1(SALU_CYCLE_1)
	s_and_b32 vcc_lo, exec_lo, vcc_lo
	s_or_b32 s37, vcc_lo, s37
	s_and_not1_b32 vcc_lo, s38, exec_lo
	s_and_b32 s38, s39, exec_lo
	s_delay_alu instid0(SALU_CYCLE_1)
	s_or_b32 s38, vcc_lo, s38
	s_and_not1_b32 exec_lo, exec_lo, s37
	s_cbranch_execz .LBB4_261
.LBB4_255:                              ;   Parent Loop BB4_51 Depth=1
                                        ;     Parent Loop BB4_222 Depth=2
                                        ; =>    This Inner Loop Header: Depth=3
	s_add_i32 s40, s40, 1
                                        ; implicit-def: $sgpr42
	s_delay_alu instid0(SALU_CYCLE_1) | instskip(SKIP_1) | instid1(SALU_CYCLE_1)
	s_cmpk_lg_i32 s40, 0x2710
	s_cselect_b32 s41, -1, 0
	s_and_b32 vcc_lo, exec_lo, s41
	s_cbranch_vccz .LBB4_259
.LBB4_256:                              ;   in Loop: Header=BB4_255 Depth=3
	s_and_not1_b32 s39, s39, exec_lo
	s_and_b32 s42, s42, exec_lo
	s_mov_b32 vcc_lo, -1
	s_or_b32 s39, s39, s42
	s_and_saveexec_b32 s42, s41
	s_cbranch_execz .LBB4_254
; %bb.257:                              ;   in Loop: Header=BB4_255 Depth=3
	s_sleep 1
	s_cbranch_execz .LBB4_258
; %bb.6711:
	s_getpc_b64 s[46:47]
.Lpost_getpc129:
	s_add_u32 s46, s46, (.LBB4_6211-.Lpost_getpc129)&4294967295
	s_addc_u32 s47, s47, (.LBB4_6211-.Lpost_getpc129)>>32
	s_setpc_b64 s[46:47]
.LBB4_258:                              ;   in Loop: Header=BB4_255 Depth=3
	ds_load_b64 v[9:10], v0
	s_and_not1_b32 s39, s39, exec_lo
	s_waitcnt lgkmcnt(0)
	v_cmp_ge_u64_e32 vcc_lo, v[9:10], v[48:49]
	s_or_not1_b32 vcc_lo, vcc_lo, exec_lo
	s_branch .LBB4_254
.LBB4_259:                              ;   in Loop: Header=BB4_255 Depth=3
	s_cbranch_execz .LBB4_260
; %bb.6713:
	s_getpc_b64 s[46:47]
.Lpost_getpc130:
	s_add_u32 s46, s46, (.LBB4_6217-.Lpost_getpc130)&4294967295
	s_addc_u32 s47, s47, (.LBB4_6217-.Lpost_getpc130)>>32
	s_setpc_b64 s[46:47]
.LBB4_260:                              ;   in Loop: Header=BB4_255 Depth=3
	ds_load_b64 v[9:10], v0
	s_and_not1_b32 s41, s41, exec_lo
	s_mov_b32 s40, 0
	s_mov_b32 s42, -1
	s_waitcnt lgkmcnt(0)
	flat_load_b32 v2, v[9:10] glc
	s_waitcnt vmcnt(0) lgkmcnt(0)
	buffer_gl1_inv
	buffer_gl0_inv
	v_cmp_eq_u32_e32 vcc_lo, 0, v2
	s_and_b32 vcc_lo, vcc_lo, exec_lo
	s_delay_alu instid0(SALU_CYCLE_1)
	s_or_b32 s41, s41, vcc_lo
	s_branch .LBB4_256
.LBB4_261:                              ;   in Loop: Header=BB4_222 Depth=2
	s_or_b32 exec_lo, exec_lo, s37
	s_and_saveexec_b32 vcc_lo, s38
	s_delay_alu instid0(SALU_CYCLE_1)
	s_xor_b32 vcc_lo, exec_lo, vcc_lo
	s_cbranch_execz .LBB4_263
; %bb.262:                              ;   in Loop: Header=BB4_222 Depth=2
	ds_store_b32 v0, v134
	s_cbranch_execz .LBB4_263
; %bb.6715:
	s_getpc_b64 s[46:47]
.Lpost_getpc131:
	s_add_u32 s46, s46, (.LBB4_6427-.Lpost_getpc131)&4294967295
	s_addc_u32 s47, s47, (.LBB4_6427-.Lpost_getpc131)>>32
	s_setpc_b64 s[46:47]
.LBB4_263:                              ;   in Loop: Header=BB4_222 Depth=2
	s_or_b32 exec_lo, exec_lo, s17
	v_readlane_b32 s17, v56, 0
	;;#ASMSTART
	s_wakeup
	;;#ASMEND
.LBB4_264:                              ;   in Loop: Header=BB4_222 Depth=2
	s_or_b32 exec_lo, exec_lo, s36
.LBB4_265:                              ;   in Loop: Header=BB4_222 Depth=2
	s_and_not1_saveexec_b32 s2, s2
	s_cbranch_execz .LBB4_267
; %bb.266:                              ;   in Loop: Header=BB4_222 Depth=2
	s_waitcnt lgkmcnt(0)
	s_waitcnt_vscnt null, 0x0
	buffer_gl1_inv
	buffer_gl0_inv
	s_barrier
.LBB4_267:                              ;   in Loop: Header=BB4_222 Depth=2
	s_or_b32 exec_lo, exec_lo, s2
.LBB4_268:                              ;   in Loop: Header=BB4_222 Depth=2
	s_delay_alu instid0(SALU_CYCLE_1) | instskip(SKIP_1) | instid1(SALU_CYCLE_1)
	s_or_b32 exec_lo, exec_lo, s13
                                        ; implicit-def: $vgpr2
	s_and_saveexec_b32 s2, s7
	s_xor_b32 s2, exec_lo, s2
	s_cbranch_execz .LBB4_273
; %bb.269:                              ;   in Loop: Header=BB4_222 Depth=2
	s_cbranch_execz .LBB4_270
; %bb.6717:
	s_getpc_b64 s[46:47]
.Lpost_getpc132:
	s_add_u32 s46, s46, (.LBB4_6136-.Lpost_getpc132)&4294967295
	s_addc_u32 s47, s47, (.LBB4_6136-.Lpost_getpc132)>>32
	s_setpc_b64 s[46:47]
.LBB4_270:                              ;   in Loop: Header=BB4_222 Depth=2
	ds_load_b32 v2, v0
	v_cmp_lt_i32_e32 vcc_lo, 0, v8
	s_waitcnt lgkmcnt(0)
	v_readfirstlane_b32 s13, v2
	v_and_b32_e32 v2, 16, v30
	s_delay_alu instid0(VALU_DEP_2) | instskip(NEXT) | instid1(VALU_DEP_1)
	s_cmp_eq_u32 s13, 0
	v_cmp_ne_u32_e64 s13, 0, v2
	s_cselect_b32 s36, -1, 0
	v_and_b32_e32 v2, 16, v30
	s_and_b32 vcc_lo, vcc_lo, s36
	s_delay_alu instid0(VALU_DEP_2) | instid1(SALU_CYCLE_1)
	s_and_b32 vcc_lo, s13, vcc_lo
	s_delay_alu instid0(SALU_CYCLE_1)
	s_and_saveexec_b32 s13, vcc_lo
	s_cbranch_execz .LBB4_272
; %bb.271:                              ;   in Loop: Header=BB4_222 Depth=2
	v_mov_b32_e32 v2, 1
	s_waitcnt_vscnt null, 0x0
	buffer_gl1_inv
	buffer_gl0_inv
.LBB4_272:                              ;   in Loop: Header=BB4_222 Depth=2
	s_or_b32 exec_lo, exec_lo, s13
.LBB4_273:                              ;   in Loop: Header=BB4_222 Depth=2
	s_and_not1_saveexec_b32 s13, s2
	s_cbranch_execz .LBB4_295
; %bb.274:                              ;   in Loop: Header=BB4_222 Depth=2
	s_and_saveexec_b32 s2, s4
	s_delay_alu instid0(SALU_CYCLE_1)
	s_xor_b32 s2, exec_lo, s2
	s_cbranch_execz .LBB4_292
; %bb.275:                              ;   in Loop: Header=BB4_222 Depth=2
	s_and_saveexec_b32 s36, s1
	s_cbranch_execz .LBB4_291
; %bb.276:                              ;   in Loop: Header=BB4_222 Depth=2
	s_mov_b32 s37, exec_lo
	s_mov_b32 s17, exec_lo
	v_mbcnt_lo_u32_b32 v2, s37, 0
	;;#ASMSTART
	s_waitcnt lgkmcnt(0) vmcnt(0)
	;;#ASMEND
	s_delay_alu instid0(VALU_DEP_1)
	v_cmpx_eq_u32_e32 0, v2
	s_cbranch_execz .LBB4_278
; %bb.277:                              ;   in Loop: Header=BB4_222 Depth=2
	s_bcnt1_i32_b32 vcc_lo, s37
	s_delay_alu instid0(SALU_CYCLE_1)
	v_mov_b32_e32 v2, vcc_lo
	ds_add_u64 v0, v[2:3]
	s_cbranch_execz .LBB4_278
; %bb.6719:
	s_getpc_b64 s[46:47]
.Lpost_getpc133:
	s_add_u32 s46, s46, (.LBB4_6199-.Lpost_getpc133)&4294967295
	s_addc_u32 s47, s47, (.LBB4_6199-.Lpost_getpc133)>>32
	s_setpc_b64 s[46:47]
.LBB4_278:                              ;   in Loop: Header=BB4_222 Depth=2
	s_or_b32 exec_lo, exec_lo, s17
	s_cbranch_execz .LBB4_279
; %bb.6721:
	s_getpc_b64 s[46:47]
.Lpost_getpc134:
	s_add_u32 s46, s46, (.LBB4_6179-.Lpost_getpc134)&4294967295
	s_addc_u32 s47, s47, (.LBB4_6179-.Lpost_getpc134)>>32
	s_setpc_b64 s[46:47]
.LBB4_279:                              ;   in Loop: Header=BB4_222 Depth=2
	ds_load_b64 v[9:10], v0
	v_add_co_u32 v48, vcc_lo, v48, v97
	v_add_co_ci_u32_e32 v49, vcc_lo, 0, v49, vcc_lo
	s_mov_b32 s17, exec_lo
	s_waitcnt lgkmcnt(0)
	s_delay_alu instid0(VALU_DEP_1)
	v_cmpx_lt_u64_e64 v[9:10], v[48:49]
	s_cbranch_execz .LBB4_290
; %bb.280:                              ;   in Loop: Header=BB4_222 Depth=2
	s_mov_b32 s37, 0
	s_mov_b32 s40, 0
                                        ; implicit-def: $sgpr38
                                        ; implicit-def: $sgpr39
	s_branch .LBB4_282
.LBB4_281:                              ;   in Loop: Header=BB4_282 Depth=3
	s_or_b32 exec_lo, exec_lo, s42
	s_delay_alu instid0(SALU_CYCLE_1) | instskip(NEXT) | instid1(SALU_CYCLE_1)
	s_and_b32 vcc_lo, exec_lo, vcc_lo
	s_or_b32 s37, vcc_lo, s37
	s_and_not1_b32 vcc_lo, s38, exec_lo
	s_and_b32 s38, s39, exec_lo
	s_delay_alu instid0(SALU_CYCLE_1)
	s_or_b32 s38, vcc_lo, s38
	s_and_not1_b32 exec_lo, exec_lo, s37
	s_cbranch_execz .LBB4_288
.LBB4_282:                              ;   Parent Loop BB4_51 Depth=1
                                        ;     Parent Loop BB4_222 Depth=2
                                        ; =>    This Inner Loop Header: Depth=3
	s_add_i32 s40, s40, 1
                                        ; implicit-def: $sgpr42
	s_delay_alu instid0(SALU_CYCLE_1) | instskip(SKIP_1) | instid1(SALU_CYCLE_1)
	s_cmpk_lg_i32 s40, 0x2710
	s_cselect_b32 s41, -1, 0
	s_and_b32 vcc_lo, exec_lo, s41
	s_cbranch_vccz .LBB4_286
.LBB4_283:                              ;   in Loop: Header=BB4_282 Depth=3
	s_and_not1_b32 s39, s39, exec_lo
	s_and_b32 s42, s42, exec_lo
	s_mov_b32 vcc_lo, -1
	s_or_b32 s39, s39, s42
	s_and_saveexec_b32 s42, s41
	s_cbranch_execz .LBB4_281
; %bb.284:                              ;   in Loop: Header=BB4_282 Depth=3
	s_sleep 1
	s_cbranch_execz .LBB4_285
; %bb.6723:
	s_getpc_b64 s[46:47]
.Lpost_getpc135:
	s_add_u32 s46, s46, (.LBB4_6223-.Lpost_getpc135)&4294967295
	s_addc_u32 s47, s47, (.LBB4_6223-.Lpost_getpc135)>>32
	s_setpc_b64 s[46:47]
.LBB4_285:                              ;   in Loop: Header=BB4_282 Depth=3
	ds_load_b64 v[9:10], v0
	s_and_not1_b32 s39, s39, exec_lo
	s_waitcnt lgkmcnt(0)
	v_cmp_ge_u64_e32 vcc_lo, v[9:10], v[48:49]
	s_or_not1_b32 vcc_lo, vcc_lo, exec_lo
	s_branch .LBB4_281
.LBB4_286:                              ;   in Loop: Header=BB4_282 Depth=3
	s_cbranch_execz .LBB4_287
; %bb.6725:
	s_getpc_b64 s[46:47]
.Lpost_getpc136:
	s_add_u32 s46, s46, (.LBB4_6235-.Lpost_getpc136)&4294967295
	s_addc_u32 s47, s47, (.LBB4_6235-.Lpost_getpc136)>>32
	s_setpc_b64 s[46:47]
.LBB4_287:                              ;   in Loop: Header=BB4_282 Depth=3
	ds_load_b64 v[9:10], v0
	s_and_not1_b32 s41, s41, exec_lo
	s_mov_b32 s40, 0
	s_mov_b32 s42, -1
	s_waitcnt lgkmcnt(0)
	s_waitcnt_vscnt null, 0x0
	flat_load_b32 v2, v[9:10] glc
	s_waitcnt vmcnt(0) lgkmcnt(0)
	buffer_gl1_inv
	buffer_gl0_inv
	v_cmp_eq_u32_e32 vcc_lo, 0, v2
	s_and_b32 vcc_lo, vcc_lo, exec_lo
	s_delay_alu instid0(SALU_CYCLE_1)
	s_or_b32 s41, s41, vcc_lo
	s_branch .LBB4_283
.LBB4_288:                              ;   in Loop: Header=BB4_222 Depth=2
	s_or_b32 exec_lo, exec_lo, s37
	s_and_saveexec_b32 vcc_lo, s38
	s_delay_alu instid0(SALU_CYCLE_1)
	s_xor_b32 vcc_lo, exec_lo, vcc_lo
	s_cbranch_execz .LBB4_290
; %bb.289:                              ;   in Loop: Header=BB4_222 Depth=2
	ds_store_b32 v0, v134
	s_cbranch_execz .LBB4_290
; %bb.6727:
	s_getpc_b64 s[46:47]
.Lpost_getpc137:
	s_add_u32 s46, s46, (.LBB4_6447-.Lpost_getpc137)&4294967295
	s_addc_u32 s47, s47, (.LBB4_6447-.Lpost_getpc137)>>32
	s_setpc_b64 s[46:47]
.LBB4_290:                              ;   in Loop: Header=BB4_222 Depth=2
	s_or_b32 exec_lo, exec_lo, s17
	v_readlane_b32 s17, v56, 0
	;;#ASMSTART
	s_wakeup
	;;#ASMEND
.LBB4_291:                              ;   in Loop: Header=BB4_222 Depth=2
	s_or_b32 exec_lo, exec_lo, s36
.LBB4_292:                              ;   in Loop: Header=BB4_222 Depth=2
	s_and_not1_saveexec_b32 s2, s2
	s_cbranch_execz .LBB4_294
; %bb.293:                              ;   in Loop: Header=BB4_222 Depth=2
	;;#ASMSTART
	s_waitcnt lgkmcnt(0) vmcnt(0)
	;;#ASMEND
	s_waitcnt lgkmcnt(0)
	s_waitcnt_vscnt null, 0x0
	s_barrier
.LBB4_294:                              ;   in Loop: Header=BB4_222 Depth=2
	s_or_b32 exec_lo, exec_lo, s2
	v_and_b32_e32 v2, 16, v30
.LBB4_295:                              ;   in Loop: Header=BB4_222 Depth=2
	s_or_b32 exec_lo, exec_lo, s13
	s_delay_alu instid0(SALU_CYCLE_1) | instskip(NEXT) | instid1(VALU_DEP_1)
	s_mov_b32 s2, exec_lo
	v_cmpx_ne_u32_e32 0, v2
	s_cbranch_execz .LBB4_299
; %bb.296:                              ;   in Loop: Header=BB4_222 Depth=2
	s_and_saveexec_b32 s13, s11
	s_cbranch_execz .LBB4_298
; %bb.297:                              ;   in Loop: Header=BB4_222 Depth=2
	s_waitcnt lgkmcnt(0)
	s_waitcnt_vscnt null, 0x0
	flat_store_b32 v[38:39], v134
.LBB4_298:                              ;   in Loop: Header=BB4_222 Depth=2
	s_or_b32 exec_lo, exec_lo, s13
	v_add_co_u32 v34, vcc_lo, v34, 2
	v_add_co_ci_u32_e32 v35, vcc_lo, 0, v35, vcc_lo
	s_waitcnt lgkmcnt(0)
	s_waitcnt_vscnt null, 0x0
	flat_store_b64 v[32:33], v[34:35]
.LBB4_299:                              ;   in Loop: Header=BB4_222 Depth=2
	s_or_b32 exec_lo, exec_lo, s2
	v_add_nc_u32_e32 v17, v8, v17
	s_mov_b32 s13, 0
	s_and_not1_b32 exec_lo, exec_lo, s16
	s_cbranch_execnz .LBB4_222
; %bb.300:                              ;   in Loop: Header=BB4_51 Depth=1
	s_or_b32 exec_lo, exec_lo, s16
.LBB4_301:                              ;   in Loop: Header=BB4_51 Depth=1
	s_delay_alu instid0(SALU_CYCLE_1) | instskip(NEXT) | instid1(SALU_CYCLE_1)
	s_or_b32 exec_lo, exec_lo, s15
	s_and_not1_b32 vcc_lo, exec_lo, s17
	s_cbranch_vccnz .LBB4_2117
; %bb.302:                              ;   in Loop: Header=BB4_51 Depth=1
	s_mov_b32 s2, s29
	s_mov_b32 s15, 2
.LBB4_303:                              ;   Parent Loop BB4_51 Depth=1
                                        ; =>  This Loop Header: Depth=2
                                        ;       Child Loop BB4_305 Depth 3
                                        ;         Child Loop BB4_314 Depth 4
                                        ;         Child Loop BB4_344 Depth 4
	;; [unrolled: 1-line block ×9, first 2 shown]
                                        ;       Child Loop BB4_2031 Depth 3
                                        ;         Child Loop BB4_2037 Depth 4
                                        ;         Child Loop BB4_2069 Depth 4
	;; [unrolled: 1-line block ×3, first 2 shown]
	s_delay_alu instid0(SALU_CYCLE_1) | instskip(SKIP_4) | instid1(SALU_CYCLE_1)
	s_sub_i32 s13, s25, s15
	v_mov_b32_e32 v146, 0
	s_cmp_le_i32 s19, s13
	s_mov_b32 s17, 0
	s_cselect_b32 s16, s19, 0
	s_sub_i32 s13, s13, s16
	s_delay_alu instid0(SALU_CYCLE_1) | instskip(SKIP_3) | instid1(VALU_DEP_1)
	s_ashr_i32 s16, s13, 31
	v_mul_lo_u32 v2, v65, s13
	v_mad_u64_u32 v[70:71], null, v64, s13, 0
	v_mul_lo_u32 v8, v64, s16
	v_add3_u32 v71, v71, v8, v2
	s_delay_alu instid0(VALU_DEP_3) | instskip(NEXT) | instid1(VALU_DEP_2)
	v_sub_co_u32 v8, vcc_lo, v66, v70
	v_sub_co_ci_u32_e32 v9, vcc_lo, v67, v71, vcc_lo
	s_delay_alu instid0(VALU_DEP_1) | instskip(SKIP_1) | instid1(VALU_DEP_1)
	v_cmp_lt_i64_e32 vcc_lo, v[64:65], v[8:9]
	v_cndmask_b32_e32 v8, v8, v64, vcc_lo
	v_max_i32_e32 v145, 0, v8
	s_delay_alu instid0(VALU_DEP_1) | instskip(NEXT) | instid1(VALU_DEP_1)
	v_add_nc_u32_e32 v2, 31, v145
	v_lshrrev_b32_e32 v2, 1, v2
	s_delay_alu instid0(VALU_DEP_1) | instskip(SKIP_2) | instid1(VALU_DEP_3)
	v_and_b32_e32 v9, 0x3ffffff0, v2
	v_cmp_lt_i32_e32 vcc_lo, 0, v8
	v_mov_b32_e32 v2, 0
	v_max_i32_e32 v68, s28, v9
	s_and_b32 s13, s30, vcc_lo
	s_delay_alu instid0(SALU_CYCLE_1)
	s_and_saveexec_b32 s16, s13
	s_cbranch_execz .LBB4_2029
; %bb.304:                              ;   in Loop: Header=BB4_303 Depth=2
	v_mov_b32_e32 v146, 0
	s_mov_b32 s36, 1
	s_mov_b32 s29, -1
.LBB4_305:                              ;   Parent Loop BB4_51 Depth=1
                                        ;     Parent Loop BB4_303 Depth=2
                                        ; =>    This Loop Header: Depth=3
                                        ;         Child Loop BB4_314 Depth 4
                                        ;         Child Loop BB4_344 Depth 4
	;; [unrolled: 1-line block ×9, first 2 shown]
	s_and_saveexec_b32 s13, s0
	s_cbranch_execz .LBB4_308
; %bb.306:                              ;   in Loop: Header=BB4_305 Depth=3
	s_cbranch_execz .LBB4_307
; %bb.6729:
	s_getpc_b64 s[46:47]
.Lpost_getpc138:
	s_add_u32 s46, s46, (.LBB4_6146-.Lpost_getpc138)&4294967295
	s_addc_u32 s47, s47, (.LBB4_6146-.Lpost_getpc138)>>32
	s_setpc_b64 s[46:47]
.LBB4_307:                              ;   in Loop: Header=BB4_305 Depth=3
	ds_load_b64 v[8:9], v0
	s_waitcnt lgkmcnt(0)
	v_add_co_u32 v2, vcc_lo, v8, v135
	v_add_co_ci_u32_e32 v8, vcc_lo, v9, v144, vcc_lo
	v_ashrrev_i32_e32 v9, 31, v146
	s_delay_alu instid0(VALU_DEP_3) | instskip(NEXT) | instid1(VALU_DEP_3)
	v_add_co_u32 v2, vcc_lo, v2, v70
	v_add_co_ci_u32_e32 v10, vcc_lo, v8, v71, vcc_lo
	s_delay_alu instid0(VALU_DEP_2) | instskip(NEXT) | instid1(VALU_DEP_2)
	v_add_co_u32 v8, vcc_lo, v2, v146
	v_add_co_ci_u32_e32 v9, vcc_lo, v10, v9, vcc_lo
	v_mov_b32_e32 v2, v3
	ds_store_b64 v0, v[8:9]
	ds_store_b64 v0, v[2:3]
.LBB4_308:                              ;   in Loop: Header=BB4_305 Depth=3
	s_or_b32 exec_lo, exec_lo, s13
	v_and_b32_e32 v2, 12, v30
	s_mov_b32 s37, -1
	s_mov_b32 s13, exec_lo
	s_delay_alu instid0(VALU_DEP_1)
	v_cmpx_ne_u32_e32 0, v2
	v_writelane_b32 v56, s29, 10
	v_writelane_b32 v56, s36, 11
	s_cbranch_execz .LBB4_322
; %bb.309:                              ;   in Loop: Header=BB4_305 Depth=3
	v_and_b32_e32 v2, 8, v30
	s_delay_alu instid0(VALU_DEP_1) | instskip(SKIP_3) | instid1(VALU_DEP_1)
	v_add_co_u32 v10, vcc_lo, v50, v2
	v_add_co_ci_u32_e32 v11, vcc_lo, 0, v51, vcc_lo
	v_add_co_u32 v8, vcc_lo, v34, 2
	v_add_co_ci_u32_e32 v9, vcc_lo, 0, v35, vcc_lo
	v_cmp_lt_u64_e32 vcc_lo, v[10:11], v[8:9]
	v_mov_b32_e32 v10, 1
	s_and_saveexec_b32 s29, vcc_lo
	s_cbranch_execz .LBB4_321
; %bb.310:                              ;   in Loop: Header=BB4_305 Depth=3
	v_mov_b32_e32 v10, 0
	s_mov_b32 s36, 0
                                        ; implicit-def: $sgpr37
	s_branch .LBB4_314
.LBB4_311:                              ;   in Loop: Header=BB4_314 Depth=4
	s_or_b32 exec_lo, exec_lo, s41
	v_mov_b32_e32 v11, 0
	s_or_not1_b32 s40, s40, exec_lo
.LBB4_312:                              ;   in Loop: Header=BB4_314 Depth=4
	s_or_b32 exec_lo, exec_lo, s39
	s_delay_alu instid0(VALU_DEP_1) | instskip(SKIP_2) | instid1(SALU_CYCLE_1)
	v_mov_b32_e32 v10, v11
	s_and_not1_b32 vcc_lo, s37, exec_lo
	s_and_b32 s37, s40, exec_lo
	s_or_b32 s37, vcc_lo, s37
.LBB4_313:                              ;   in Loop: Header=BB4_314 Depth=4
	s_or_b32 exec_lo, exec_lo, s38
	s_waitcnt vmcnt(0) lgkmcnt(0)
	v_add_co_u32 v11, vcc_lo, v50, v2
	v_add_co_ci_u32_e32 v12, vcc_lo, 0, v51, vcc_lo
	s_xor_b32 s38, s37, -1
	s_delay_alu instid0(VALU_DEP_1) | instskip(SKIP_1) | instid1(SALU_CYCLE_1)
	v_cmp_ge_u64_e32 vcc_lo, v[11:12], v[8:9]
	s_or_b32 vcc_lo, s38, vcc_lo
	s_and_b32 vcc_lo, exec_lo, vcc_lo
	s_delay_alu instid0(SALU_CYCLE_1) | instskip(NEXT) | instid1(SALU_CYCLE_1)
	s_or_b32 s36, vcc_lo, s36
	s_and_not1_b32 exec_lo, exec_lo, s36
	s_cbranch_execz .LBB4_320
.LBB4_314:                              ;   Parent Loop BB4_51 Depth=1
                                        ;     Parent Loop BB4_303 Depth=2
                                        ;       Parent Loop BB4_305 Depth=3
                                        ; =>      This Inner Loop Header: Depth=4
	s_sleep 1
	flat_load_b64 v[50:51], v[32:33] glc
	v_and_b32_e32 v11, 64, v30
	s_and_not1_b32 s37, s37, exec_lo
	s_mov_b32 s38, exec_lo
	s_delay_alu instid0(VALU_DEP_1)
	v_cmpx_eq_u32_e32 0, v11
	s_cbranch_execz .LBB4_313
; %bb.315:                              ;   in Loop: Header=BB4_314 Depth=4
	v_add_nc_u32_e32 v11, 1, v10
	s_mov_b32 s40, -1
	s_mov_b32 s39, exec_lo
	v_cmpx_lt_i32_e32 0x270e, v10
	s_cbranch_execz .LBB4_312
; %bb.316:                              ;   in Loop: Header=BB4_314 Depth=4
	s_cbranch_execz .LBB4_317
; %bb.6731:
	s_getpc_b64 s[46:47]
.Lpost_getpc139:
	s_add_u32 s46, s46, (.LBB4_6177-.Lpost_getpc139)&4294967295
	s_addc_u32 s47, s47, (.LBB4_6177-.Lpost_getpc139)>>32
	s_setpc_b64 s[46:47]
.LBB4_317:                              ;   in Loop: Header=BB4_314 Depth=4
	ds_load_b64 v[10:11], v0
	s_mov_b32 s41, exec_lo
	s_waitcnt vmcnt(0) lgkmcnt(0)
	s_waitcnt_vscnt null, 0x0
	flat_load_b32 v10, v[10:11] glc
	s_waitcnt vmcnt(0) lgkmcnt(0)
	buffer_gl1_inv
	buffer_gl0_inv
	v_cmpx_ne_u32_e32 0, v10
	s_cbranch_execz .LBB4_311
; %bb.318:                              ;   in Loop: Header=BB4_314 Depth=4
	ds_store_b32 v0, v10
	s_cbranch_execz .LBB4_319
; %bb.6733:
	s_getpc_b64 s[46:47]
.Lpost_getpc140:
	s_add_u32 s46, s46, (.LBB4_6227-.Lpost_getpc140)&4294967295
	s_addc_u32 s47, s47, (.LBB4_6227-.Lpost_getpc140)>>32
	s_setpc_b64 s[46:47]
.LBB4_319:                              ;   in Loop: Header=BB4_314 Depth=4
	v_or_b32_e32 v30, 64, v30
	s_xor_b32 s40, exec_lo, -1
	s_branch .LBB4_311
.LBB4_320:                              ;   in Loop: Header=BB4_305 Depth=3
	s_or_b32 exec_lo, exec_lo, s36
	v_and_b32_e32 v10, 12, v30
.LBB4_321:                              ;   in Loop: Header=BB4_305 Depth=3
	s_or_b32 exec_lo, exec_lo, s29
	s_delay_alu instid0(VALU_DEP_1)
	v_cmp_eq_u32_e32 vcc_lo, 0, v10
	;;#ASMSTART
	s_wakeup
	;;#ASMEND
	s_or_not1_b32 s37, vcc_lo, exec_lo
.LBB4_322:                              ;   in Loop: Header=BB4_305 Depth=3
	s_or_b32 exec_lo, exec_lo, s13
	v_sub_nc_u32_e32 v2, v145, v146
	s_xor_b32 s13, s37, -1
	s_delay_alu instid0(VALU_DEP_1)
	v_min_i32_e32 v68, v68, v2
	s_and_saveexec_b32 s29, s13
	s_cbranch_execz .LBB4_335
; %bb.323:                              ;   in Loop: Header=BB4_305 Depth=3
	v_and_b32_e32 v2, 0x108, v30
	s_delay_alu instid0(VALU_DEP_1) | instskip(SKIP_2) | instid1(SALU_CYCLE_1)
	v_cmp_ne_u32_e32 vcc_lo, 0x108, v2
	v_and_b32_e32 v2, 7, v34
	s_and_saveexec_b32 s13, vcc_lo
	s_xor_b32 s13, exec_lo, s13
	s_delay_alu instid0(SALU_CYCLE_1)
	s_and_not1_saveexec_b32 s13, s13
	s_cbranch_execz .LBB4_325
; %bb.324:                              ;   in Loop: Header=BB4_305 Depth=3
	v_mad_u64_u32 v[8:9], null, v2, 24, v[6:7]
	v_ashrrev_i32_e32 v69, 31, v68
	flat_store_b64 v[8:9], v[68:69] offset:8
.LBB4_325:                              ;   in Loop: Header=BB4_305 Depth=3
	s_or_b32 exec_lo, exec_lo, s13
	v_and_b32_e32 v8, 0x100, v30
	s_mov_b32 s13, -1
	s_delay_alu instid0(VALU_DEP_1)
	v_cmp_ne_u32_e32 vcc_lo, 0, v8
                                        ; implicit-def: $vgpr8_vgpr9
	s_and_saveexec_b32 s36, vcc_lo
	s_cbranch_execnz .LBB4_328
; %bb.326:                              ;   in Loop: Header=BB4_305 Depth=3
	s_or_b32 exec_lo, exec_lo, s36
	s_and_saveexec_b32 vcc_lo, s13
	s_cbranch_execnz .LBB4_331
.LBB4_327:                              ;   in Loop: Header=BB4_305 Depth=3
	s_or_b32 exec_lo, exec_lo, vcc_lo
	s_cbranch_execz .LBB4_332
; %bb.6735:
	s_getpc_b64 s[46:47]
.Lpost_getpc141:
	s_add_u32 s46, s46, (.LBB4_6173-.Lpost_getpc141)&4294967295
	s_addc_u32 s47, s47, (.LBB4_6173-.Lpost_getpc141)>>32
	s_setpc_b64 s[46:47]
.LBB4_328:                              ;   in Loop: Header=BB4_305 Depth=3
	v_mad_u64_u32 v[10:11], null, v2, 24, v[6:7]
	s_delay_alu instid0(VALU_DEP_1) | instskip(NEXT) | instid1(VALU_DEP_1)
	v_mov_b32_e32 v8, v11
	v_mad_u64_u32 v[11:12], null, v3, 24, v[8:9]
	flat_load_b32 v8, v[10:11]
	s_waitcnt vmcnt(0) lgkmcnt(0)
	v_cmp_ne_u32_e32 vcc_lo, 1, v8
	v_cmp_eq_u32_e64 s13, 1, v8
                                        ; implicit-def: $vgpr8_vgpr9
	s_delay_alu instid0(VALU_DEP_1)
	s_and_saveexec_b32 s37, s13
	s_cbranch_execz .LBB4_330
; %bb.329:                              ;   in Loop: Header=BB4_305 Depth=3
	flat_load_b32 v8, v[10:11] offset:4 glc
	s_waitcnt vmcnt(0) lgkmcnt(0)
	v_ashrrev_i32_e32 v9, 31, v8
.LBB4_330:                              ;   in Loop: Header=BB4_305 Depth=3
	s_or_b32 exec_lo, exec_lo, s37
	s_delay_alu instid0(SALU_CYCLE_1)
	s_or_not1_b32 s13, vcc_lo, exec_lo
	s_or_b32 exec_lo, exec_lo, s36
	s_and_saveexec_b32 vcc_lo, s13
	s_cbranch_execz .LBB4_327
.LBB4_331:                              ;   in Loop: Header=BB4_305 Depth=3
	v_mul_lo_u32 v10, v3, v86
	v_mul_lo_u32 v11, v2, v96
	v_mad_u64_u32 v[8:9], null, v2, v86, 0
	s_delay_alu instid0(VALU_DEP_1)
	v_add3_u32 v9, v9, v11, v10
	s_or_b32 exec_lo, exec_lo, vcc_lo
	s_cbranch_execz .LBB4_332
; %bb.6737:
	s_getpc_b64 s[46:47]
.Lpost_getpc142:
	s_add_u32 s46, s46, (.LBB4_6173-.Lpost_getpc142)&4294967295
	s_addc_u32 s47, s47, (.LBB4_6173-.Lpost_getpc142)>>32
	s_setpc_b64 s[46:47]
.LBB4_332:                              ;   in Loop: Header=BB4_305 Depth=3
	s_delay_alu instid0(VALU_DEP_2)
	v_add_co_u32 v8, vcc_lo, v36, v8
	v_and_b32_e32 v2, 0x2000, v30
	v_add_co_ci_u32_e32 v9, vcc_lo, v37, v9, vcc_lo
	s_mov_b32 s13, exec_lo
	ds_store_b64 v0, v[8:9]
	v_cmpx_ne_u32_e32 0, v2
	s_cbranch_execz .LBB4_334
; %bb.333:                              ;   in Loop: Header=BB4_305 Depth=3
	ds_load_b64 v[8:9], v0 offset:584
	s_waitcnt lgkmcnt(0)
	v_add_co_u32 v8, vcc_lo, v8, 1
	v_add_co_ci_u32_e32 v9, vcc_lo, 0, v9, vcc_lo
	ds_store_b64 v0, v[8:9] offset:584
.LBB4_334:                              ;   in Loop: Header=BB4_305 Depth=3
	s_or_b32 exec_lo, exec_lo, s13
	v_add_co_u32 v34, vcc_lo, v34, 2
	v_add_co_ci_u32_e32 v35, vcc_lo, 0, v35, vcc_lo
.LBB4_335:                              ;   in Loop: Header=BB4_305 Depth=3
	s_or_b32 exec_lo, exec_lo, s29
	s_and_saveexec_b32 s13, s3
	s_cbranch_execz .LBB4_357
; %bb.336:                              ;   in Loop: Header=BB4_305 Depth=3
	s_and_saveexec_b32 s29, s4
	s_delay_alu instid0(SALU_CYCLE_1)
	s_xor_b32 s29, exec_lo, s29
	s_cbranch_execz .LBB4_354
; %bb.337:                              ;   in Loop: Header=BB4_305 Depth=3
	s_and_saveexec_b32 s36, s1
	s_cbranch_execz .LBB4_353
; %bb.338:                              ;   in Loop: Header=BB4_305 Depth=3
	s_mov_b32 s38, exec_lo
	s_mov_b32 s37, exec_lo
	v_mbcnt_lo_u32_b32 v2, s38, 0
	s_waitcnt lgkmcnt(0)
	s_waitcnt_vscnt null, 0x0
	buffer_gl1_inv
	buffer_gl0_inv
	v_cmpx_eq_u32_e32 0, v2
	s_cbranch_execz .LBB4_340
; %bb.339:                              ;   in Loop: Header=BB4_305 Depth=3
	s_bcnt1_i32_b32 vcc_lo, s38
	s_delay_alu instid0(SALU_CYCLE_1)
	v_mov_b32_e32 v2, vcc_lo
	ds_add_u64 v0, v[2:3]
	s_cbranch_execz .LBB4_340
; %bb.6739:
	s_getpc_b64 s[46:47]
.Lpost_getpc143:
	s_add_u32 s46, s46, (.LBB4_6283-.Lpost_getpc143)&4294967295
	s_addc_u32 s47, s47, (.LBB4_6283-.Lpost_getpc143)>>32
	s_setpc_b64 s[46:47]
.LBB4_340:                              ;   in Loop: Header=BB4_305 Depth=3
	s_or_b32 exec_lo, exec_lo, s37
	s_cbranch_execz .LBB4_341
; %bb.6741:
	s_getpc_b64 s[46:47]
.Lpost_getpc144:
	s_add_u32 s46, s46, (.LBB4_6249-.Lpost_getpc144)&4294967295
	s_addc_u32 s47, s47, (.LBB4_6249-.Lpost_getpc144)>>32
	s_setpc_b64 s[46:47]
.LBB4_341:                              ;   in Loop: Header=BB4_305 Depth=3
	ds_load_b64 v[8:9], v0
	v_add_co_u32 v48, vcc_lo, v48, v97
	v_add_co_ci_u32_e32 v49, vcc_lo, 0, v49, vcc_lo
	s_mov_b32 s37, exec_lo
	s_waitcnt lgkmcnt(0)
	s_delay_alu instid0(VALU_DEP_1)
	v_cmpx_lt_u64_e64 v[8:9], v[48:49]
	s_cbranch_execz .LBB4_352
; %bb.342:                              ;   in Loop: Header=BB4_305 Depth=3
	s_mov_b32 s38, 0
	s_mov_b32 s41, 0
                                        ; implicit-def: $sgpr39
                                        ; implicit-def: $sgpr40
	s_branch .LBB4_344
.LBB4_343:                              ;   in Loop: Header=BB4_344 Depth=4
	s_or_b32 exec_lo, exec_lo, s43
	s_delay_alu instid0(SALU_CYCLE_1) | instskip(NEXT) | instid1(SALU_CYCLE_1)
	s_and_b32 vcc_lo, exec_lo, vcc_lo
	s_or_b32 s38, vcc_lo, s38
	s_and_not1_b32 vcc_lo, s39, exec_lo
	s_and_b32 s39, s40, exec_lo
	s_delay_alu instid0(SALU_CYCLE_1)
	s_or_b32 s39, vcc_lo, s39
	s_and_not1_b32 exec_lo, exec_lo, s38
	s_cbranch_execz .LBB4_350
.LBB4_344:                              ;   Parent Loop BB4_51 Depth=1
                                        ;     Parent Loop BB4_303 Depth=2
                                        ;       Parent Loop BB4_305 Depth=3
                                        ; =>      This Inner Loop Header: Depth=4
	s_add_i32 s41, s41, 1
                                        ; implicit-def: $sgpr43
	s_delay_alu instid0(SALU_CYCLE_1) | instskip(SKIP_1) | instid1(SALU_CYCLE_1)
	s_cmpk_lg_i32 s41, 0x2710
	s_cselect_b32 s42, -1, 0
	s_and_b32 vcc_lo, exec_lo, s42
	s_cbranch_vccz .LBB4_348
.LBB4_345:                              ;   in Loop: Header=BB4_344 Depth=4
	s_and_not1_b32 s40, s40, exec_lo
	s_and_b32 s43, s43, exec_lo
	s_mov_b32 vcc_lo, -1
	s_or_b32 s40, s40, s43
	s_and_saveexec_b32 s43, s42
	s_cbranch_execz .LBB4_343
; %bb.346:                              ;   in Loop: Header=BB4_344 Depth=4
	s_sleep 1
	s_cbranch_execz .LBB4_347
; %bb.6743:
	s_getpc_b64 s[46:47]
.Lpost_getpc145:
	s_add_u32 s46, s46, (.LBB4_6329-.Lpost_getpc145)&4294967295
	s_addc_u32 s47, s47, (.LBB4_6329-.Lpost_getpc145)>>32
	s_setpc_b64 s[46:47]
.LBB4_347:                              ;   in Loop: Header=BB4_344 Depth=4
	ds_load_b64 v[8:9], v0
	s_and_not1_b32 s40, s40, exec_lo
	s_waitcnt lgkmcnt(0)
	v_cmp_ge_u64_e32 vcc_lo, v[8:9], v[48:49]
	s_or_not1_b32 vcc_lo, vcc_lo, exec_lo
	s_branch .LBB4_343
.LBB4_348:                              ;   in Loop: Header=BB4_344 Depth=4
	s_cbranch_execz .LBB4_349
; %bb.6745:
	s_getpc_b64 s[46:47]
.Lpost_getpc146:
	s_add_u32 s46, s46, (.LBB4_6341-.Lpost_getpc146)&4294967295
	s_addc_u32 s47, s47, (.LBB4_6341-.Lpost_getpc146)>>32
	s_setpc_b64 s[46:47]
.LBB4_349:                              ;   in Loop: Header=BB4_344 Depth=4
	ds_load_b64 v[8:9], v0
	s_and_not1_b32 s42, s42, exec_lo
	s_mov_b32 s41, 0
	s_mov_b32 s43, -1
	s_waitcnt lgkmcnt(0)
	flat_load_b32 v2, v[8:9] glc
	s_waitcnt vmcnt(0) lgkmcnt(0)
	buffer_gl1_inv
	buffer_gl0_inv
	v_cmp_eq_u32_e32 vcc_lo, 0, v2
	s_and_b32 vcc_lo, vcc_lo, exec_lo
	s_delay_alu instid0(SALU_CYCLE_1)
	s_or_b32 s42, s42, vcc_lo
	s_branch .LBB4_345
.LBB4_350:                              ;   in Loop: Header=BB4_305 Depth=3
	s_or_b32 exec_lo, exec_lo, s38
	s_and_saveexec_b32 vcc_lo, s39
	s_delay_alu instid0(SALU_CYCLE_1)
	s_xor_b32 vcc_lo, exec_lo, vcc_lo
	s_cbranch_execz .LBB4_352
; %bb.351:                              ;   in Loop: Header=BB4_305 Depth=3
	ds_store_b32 v0, v134
	s_cbranch_execz .LBB4_352
; %bb.6747:
	s_getpc_b64 s[46:47]
.Lpost_getpc147:
	s_add_u32 s46, s46, (.LBB4_6537-.Lpost_getpc147)&4294967295
	s_addc_u32 s47, s47, (.LBB4_6537-.Lpost_getpc147)>>32
	s_setpc_b64 s[46:47]
.LBB4_352:                              ;   in Loop: Header=BB4_305 Depth=3
	s_or_b32 exec_lo, exec_lo, s37
	;;#ASMSTART
	s_wakeup
	;;#ASMEND
.LBB4_353:                              ;   in Loop: Header=BB4_305 Depth=3
	s_or_b32 exec_lo, exec_lo, s36
.LBB4_354:                              ;   in Loop: Header=BB4_305 Depth=3
	s_and_not1_saveexec_b32 s29, s29
	s_cbranch_execz .LBB4_356
; %bb.355:                              ;   in Loop: Header=BB4_305 Depth=3
	s_waitcnt lgkmcnt(0)
	s_waitcnt_vscnt null, 0x0
	buffer_gl1_inv
	buffer_gl0_inv
	s_barrier
.LBB4_356:                              ;   in Loop: Header=BB4_305 Depth=3
	s_or_b32 exec_lo, exec_lo, s29
.LBB4_357:                              ;   in Loop: Header=BB4_305 Depth=3
	v_writelane_b32 v56, s14, 5
	v_writelane_b32 v56, s35, 8
	;; [unrolled: 1-line block ×5, first 2 shown]
	s_or_b32 exec_lo, exec_lo, s13
	s_cbranch_execz .LBB4_358
; %bb.6749:
	s_getpc_b64 s[46:47]
.Lpost_getpc148:
	s_add_u32 s46, s46, (.LBB4_6152-.Lpost_getpc148)&4294967295
	s_addc_u32 s47, s47, (.LBB4_6152-.Lpost_getpc148)>>32
	s_setpc_b64 s[46:47]
.LBB4_358:                              ;   in Loop: Header=BB4_305 Depth=3
	ds_load_b32 v8, v0
	v_and_b32_e32 v2, 0x4000, v30
	s_xor_b32 s13, s2, -1
	s_delay_alu instid0(VALU_DEP_1) | instskip(SKIP_1) | instid1(SALU_CYCLE_1)
	v_cmp_ne_u32_e32 vcc_lo, 0, v2
	s_and_b32 s14, s13, vcc_lo
	s_and_saveexec_b32 s13, s14
	s_cbranch_execz .LBB4_380
; %bb.359:                              ;   in Loop: Header=BB4_305 Depth=3
	s_and_saveexec_b32 s14, s4
	s_delay_alu instid0(SALU_CYCLE_1)
	s_xor_b32 s14, exec_lo, s14
	s_cbranch_execz .LBB4_377
; %bb.360:                              ;   in Loop: Header=BB4_305 Depth=3
	s_and_saveexec_b32 s29, s1
	s_cbranch_execz .LBB4_376
; %bb.361:                              ;   in Loop: Header=BB4_305 Depth=3
	s_mov_b32 s31, exec_lo
	s_mov_b32 s30, exec_lo
	v_mbcnt_lo_u32_b32 v2, s31, 0
	s_waitcnt lgkmcnt(0)
	s_waitcnt_vscnt null, 0x0
	buffer_gl1_inv
	buffer_gl0_inv
	v_cmpx_eq_u32_e32 0, v2
	s_cbranch_execz .LBB4_363
; %bb.362:                              ;   in Loop: Header=BB4_305 Depth=3
	s_bcnt1_i32_b32 vcc_lo, s31
	s_delay_alu instid0(SALU_CYCLE_1)
	v_mov_b32_e32 v2, vcc_lo
	ds_add_u64 v0, v[2:3]
	s_cbranch_execz .LBB4_363
; %bb.6751:
	s_getpc_b64 s[46:47]
.Lpost_getpc149:
	s_add_u32 s46, s46, (.LBB4_6315-.Lpost_getpc149)&4294967295
	s_addc_u32 s47, s47, (.LBB4_6315-.Lpost_getpc149)>>32
	s_setpc_b64 s[46:47]
.LBB4_363:                              ;   in Loop: Header=BB4_305 Depth=3
	s_or_b32 exec_lo, exec_lo, s30
	s_cbranch_execz .LBB4_364
; %bb.6753:
	s_getpc_b64 s[46:47]
.Lpost_getpc150:
	s_add_u32 s46, s46, (.LBB4_6305-.Lpost_getpc150)&4294967295
	s_addc_u32 s47, s47, (.LBB4_6305-.Lpost_getpc150)>>32
	s_setpc_b64 s[46:47]
.LBB4_364:                              ;   in Loop: Header=BB4_305 Depth=3
	ds_load_b64 v[9:10], v0
	v_add_co_u32 v48, vcc_lo, v48, v97
	v_add_co_ci_u32_e32 v49, vcc_lo, 0, v49, vcc_lo
	s_mov_b32 s30, exec_lo
	s_waitcnt lgkmcnt(0)
	s_delay_alu instid0(VALU_DEP_1)
	v_cmpx_lt_u64_e64 v[9:10], v[48:49]
	s_cbranch_execz .LBB4_375
; %bb.365:                              ;   in Loop: Header=BB4_305 Depth=3
	s_mov_b32 s31, 0
	s_mov_b32 s36, 0
                                        ; implicit-def: $sgpr34
                                        ; implicit-def: $sgpr35
	s_branch .LBB4_367
.LBB4_366:                              ;   in Loop: Header=BB4_367 Depth=4
	s_or_b32 exec_lo, exec_lo, s38
	s_delay_alu instid0(SALU_CYCLE_1) | instskip(NEXT) | instid1(SALU_CYCLE_1)
	s_and_b32 vcc_lo, exec_lo, vcc_lo
	s_or_b32 s31, vcc_lo, s31
	s_and_not1_b32 vcc_lo, s34, exec_lo
	s_and_b32 s34, s35, exec_lo
	s_delay_alu instid0(SALU_CYCLE_1)
	s_or_b32 s34, vcc_lo, s34
	s_and_not1_b32 exec_lo, exec_lo, s31
	s_cbranch_execz .LBB4_373
.LBB4_367:                              ;   Parent Loop BB4_51 Depth=1
                                        ;     Parent Loop BB4_303 Depth=2
                                        ;       Parent Loop BB4_305 Depth=3
                                        ; =>      This Inner Loop Header: Depth=4
	s_add_i32 s36, s36, 1
                                        ; implicit-def: $sgpr38
	s_delay_alu instid0(SALU_CYCLE_1) | instskip(SKIP_1) | instid1(SALU_CYCLE_1)
	s_cmpk_lg_i32 s36, 0x2710
	s_cselect_b32 s37, -1, 0
	s_and_b32 vcc_lo, exec_lo, s37
	s_cbranch_vccz .LBB4_371
.LBB4_368:                              ;   in Loop: Header=BB4_367 Depth=4
	s_and_not1_b32 s35, s35, exec_lo
	s_and_b32 s38, s38, exec_lo
	s_mov_b32 vcc_lo, -1
	s_or_b32 s35, s35, s38
	s_and_saveexec_b32 s38, s37
	s_cbranch_execz .LBB4_366
; %bb.369:                              ;   in Loop: Header=BB4_367 Depth=4
	s_sleep 1
	s_cbranch_execz .LBB4_370
; %bb.6755:
	s_getpc_b64 s[46:47]
.Lpost_getpc151:
	s_add_u32 s46, s46, (.LBB4_6381-.Lpost_getpc151)&4294967295
	s_addc_u32 s47, s47, (.LBB4_6381-.Lpost_getpc151)>>32
	s_setpc_b64 s[46:47]
.LBB4_370:                              ;   in Loop: Header=BB4_367 Depth=4
	ds_load_b64 v[9:10], v0
	s_and_not1_b32 s35, s35, exec_lo
	s_waitcnt lgkmcnt(0)
	v_cmp_ge_u64_e32 vcc_lo, v[9:10], v[48:49]
	s_or_not1_b32 vcc_lo, vcc_lo, exec_lo
	s_branch .LBB4_366
.LBB4_371:                              ;   in Loop: Header=BB4_367 Depth=4
	s_cbranch_execz .LBB4_372
; %bb.6757:
	s_getpc_b64 s[46:47]
.Lpost_getpc152:
	s_add_u32 s46, s46, (.LBB4_6395-.Lpost_getpc152)&4294967295
	s_addc_u32 s47, s47, (.LBB4_6395-.Lpost_getpc152)>>32
	s_setpc_b64 s[46:47]
.LBB4_372:                              ;   in Loop: Header=BB4_367 Depth=4
	ds_load_b64 v[9:10], v0
	s_and_not1_b32 s37, s37, exec_lo
	s_mov_b32 s36, 0
	s_mov_b32 s38, -1
	s_waitcnt lgkmcnt(0)
	flat_load_b32 v2, v[9:10] glc
	s_waitcnt vmcnt(0) lgkmcnt(0)
	buffer_gl1_inv
	buffer_gl0_inv
	v_cmp_eq_u32_e32 vcc_lo, 0, v2
	s_and_b32 vcc_lo, vcc_lo, exec_lo
	s_delay_alu instid0(SALU_CYCLE_1)
	s_or_b32 s37, s37, vcc_lo
	s_branch .LBB4_368
.LBB4_373:                              ;   in Loop: Header=BB4_305 Depth=3
	s_or_b32 exec_lo, exec_lo, s31
	s_and_saveexec_b32 vcc_lo, s34
	s_delay_alu instid0(SALU_CYCLE_1)
	s_xor_b32 vcc_lo, exec_lo, vcc_lo
	s_cbranch_execz .LBB4_375
; %bb.374:                              ;   in Loop: Header=BB4_305 Depth=3
	ds_store_b32 v0, v134
	s_cbranch_execz .LBB4_375
; %bb.6759:
	s_getpc_b64 s[46:47]
.Lpost_getpc153:
	s_add_u32 s46, s46, (.LBB4_6573-.Lpost_getpc153)&4294967295
	s_addc_u32 s47, s47, (.LBB4_6573-.Lpost_getpc153)>>32
	s_setpc_b64 s[46:47]
.LBB4_375:                              ;   in Loop: Header=BB4_305 Depth=3
	s_or_b32 exec_lo, exec_lo, s30
	;;#ASMSTART
	s_wakeup
	;;#ASMEND
.LBB4_376:                              ;   in Loop: Header=BB4_305 Depth=3
	s_or_b32 exec_lo, exec_lo, s29
.LBB4_377:                              ;   in Loop: Header=BB4_305 Depth=3
	s_and_not1_saveexec_b32 s14, s14
	s_cbranch_execz .LBB4_379
; %bb.378:                              ;   in Loop: Header=BB4_305 Depth=3
	s_waitcnt lgkmcnt(0)
	s_waitcnt_vscnt null, 0x0
	buffer_gl1_inv
	buffer_gl0_inv
	s_barrier
.LBB4_379:                              ;   in Loop: Header=BB4_305 Depth=3
	s_or_b32 exec_lo, exec_lo, s14
.LBB4_380:                              ;   in Loop: Header=BB4_305 Depth=3
	s_delay_alu instid0(SALU_CYCLE_1)
	s_or_b32 exec_lo, exec_lo, s13
	s_cbranch_execz .LBB4_381
; %bb.6761:
	s_getpc_b64 s[46:47]
.Lpost_getpc154:
	s_add_u32 s46, s46, (.LBB4_6195-.Lpost_getpc154)&4294967295
	s_addc_u32 s47, s47, (.LBB4_6195-.Lpost_getpc154)>>32
	s_setpc_b64 s[46:47]
.LBB4_381:                              ;   in Loop: Header=BB4_305 Depth=3
	ds_load_b64 v[9:10], v0
	v_mov_b32_e32 v69, 0
	s_waitcnt lgkmcnt(0)
	v_cmp_eq_u64_e32 vcc_lo, 0, v[9:10]
	s_or_b32 s13, vcc_lo, vcc_lo
	s_delay_alu instid0(SALU_CYCLE_1)
	s_and_b32 vcc_lo, exec_lo, s13
	s_cbranch_vccnz .LBB4_1975
; %bb.382:                              ;   in Loop: Header=BB4_305 Depth=3
	s_mov_b32 s13, -1
	s_and_saveexec_b32 s14, s12
	s_cbranch_execz .LBB4_384
; %bb.383:                              ;   in Loop: Header=BB4_305 Depth=3
	ds_load_b32 v2, v0 offset:720
	s_waitcnt lgkmcnt(0)
	v_and_b32_e32 v2, 15, v2
	s_delay_alu instid0(VALU_DEP_1)
	v_cmp_eq_u32_e32 vcc_lo, 0, v2
	s_or_not1_b32 s13, vcc_lo, exec_lo
.LBB4_384:                              ;   in Loop: Header=BB4_305 Depth=3
	s_or_b32 exec_lo, exec_lo, s14
	s_and_saveexec_b32 s14, s6
	s_cbranch_execz .LBB4_386
; %bb.385:                              ;   in Loop: Header=BB4_305 Depth=3
	ds_load_b32 v2, v0 offset:784
	s_waitcnt lgkmcnt(0)
	v_and_b32_e32 v2, 15, v2
	s_delay_alu instid0(VALU_DEP_1) | instskip(SKIP_3) | instid1(SALU_CYCLE_1)
	v_cmp_eq_u32_e32 vcc_lo, 0, v2
	s_and_b32 s29, s13, vcc_lo
	s_and_not1_b32 s13, s13, exec_lo
	s_and_b32 s29, s29, exec_lo
	s_or_b32 s13, s13, s29
.LBB4_386:                              ;   in Loop: Header=BB4_305 Depth=3
	s_or_b32 exec_lo, exec_lo, s14
	v_cmp_eq_u32_e32 vcc_lo, 0, v8
	s_xor_b32 s13, s13, -1
	v_mov_b32_e32 v8, v99
	v_cndmask_b32_e64 v2, 0, 1, s13
	;;#ASMSTART
	;;#ASMEND
	v_dual_cndmask_b32 v69, 0, v68 :: v_dual_mov_b32 v14, 0
	s_delay_alu instid0(VALU_DEP_2) | instskip(SKIP_1) | instid1(VALU_DEP_2)
	v_cmp_ne_u32_e32 vcc_lo, 0, v2
	s_mov_b32 s13, -1
	v_dual_mov_b32 v16, v0 :: v_dual_mov_b32 v15, v69
	s_cbranch_vccnz .LBB4_1554
; %bb.387:                              ;   in Loop: Header=BB4_305 Depth=3
	v_ashrrev_i32_e32 v2, 31, v69
	s_mov_b32 s14, exec_lo
	s_delay_alu instid0(VALU_DEP_1) | instskip(NEXT) | instid1(VALU_DEP_1)
	v_lshrrev_b32_e32 v2, 22, v2
	v_add_nc_u32_e32 v2, v69, v2
	s_delay_alu instid0(VALU_DEP_1) | instskip(NEXT) | instid1(VALU_DEP_1)
	v_ashrrev_i32_e32 v147, 10, v2
	v_sub_nc_u32_e32 v2, v147, v99
	s_delay_alu instid0(VALU_DEP_1)
	v_cmpx_lt_i32_e32 0, v2
	s_cbranch_execz .LBB4_1160
; %bb.388:                              ;   in Loop: Header=BB4_305 Depth=3
	s_cbranch_execz .LBB4_389
; %bb.6763:
	s_getpc_b64 s[46:47]
.Lpost_getpc155:
	s_add_u32 s46, s46, (.LBB4_6345-.Lpost_getpc155)&4294967295
	s_addc_u32 s47, s47, (.LBB4_6345-.Lpost_getpc155)>>32
	s_setpc_b64 s[46:47]
.LBB4_389:                              ;   in Loop: Header=BB4_305 Depth=3
	ds_load_b128 v[8:11], v0
	ds_load_b64 v[12:13], v0
	s_mov_b32 s30, 0
	s_waitcnt lgkmcnt(1)
	v_add_co_u32 v80, vcc_lo, v8, v130
	v_add_co_ci_u32_e32 v81, vcc_lo, v9, v131, vcc_lo
	v_add_co_u32 v82, vcc_lo, v10, v130
	v_add_co_ci_u32_e32 v83, vcc_lo, v11, v131, vcc_lo
	s_waitcnt lgkmcnt(0)
	v_add_co_u32 v84, vcc_lo, v12, v130
	v_add_co_ci_u32_e32 v85, vcc_lo, v13, v131, vcc_lo
	s_branch .LBB4_393
.LBB4_390:                              ;   in Loop: Header=BB4_393 Depth=4
	s_or_b32 exec_lo, exec_lo, s13
	s_delay_alu instid0(VALU_DEP_1) | instskip(NEXT) | instid1(VALU_DEP_2)
	v_lshrrev_b32_e32 v181, 20, v181
	v_cmp_gt_i32_e32 vcc_lo, 16, v15
	v_min_i32_e32 v182, 15, v15
	v_lshrrev_b32_e32 v11, 24, v11
	s_delay_alu instid0(VALU_DEP_2) | instskip(NEXT) | instid1(VALU_DEP_2)
	v_dual_cndmask_b32 v181, 7, v181 :: v_dual_lshlrev_b32 v182, 3, v182
	v_and_b32_e32 v11, 0x80, v11
	s_delay_alu instid0(VALU_DEP_2) | instskip(SKIP_1) | instid1(VALU_DEP_2)
	v_or_b32_e32 v15, v15, v181
	v_and_b32_e32 v183, 7, v181
	v_cmp_ne_u32_e32 vcc_lo, 0, v15
	v_and_b32_e32 v182, 0xf8, v182
	s_delay_alu instid0(VALU_DEP_1) | instskip(NEXT) | instid1(VALU_DEP_1)
	v_or3_b32 v11, v11, v182, v183
	v_lshlrev_b32_e32 v11, 8, v11
	s_delay_alu instid0(VALU_DEP_1)
	v_cndmask_b32_e32 v15, 0, v11, vcc_lo
.LBB4_391:                              ;   in Loop: Header=BB4_393 Depth=4
	s_or_b32 exec_lo, exec_lo, s31
.LBB4_392:                              ;   in Loop: Header=BB4_393 Depth=4
	s_delay_alu instid0(SALU_CYCLE_1)
	s_or_b32 exec_lo, exec_lo, s29
	v_or_b32_e32 v11, v17, v160
	v_and_b32_e32 v17, 0xff, v20
	v_and_b32_e32 v20, 0xff, v150
	v_lshlrev_b32_e32 v149, 8, v149
	v_and_b32_e32 v150, 0xff, v162
	v_lshlrev_b32_e32 v160, 8, v161
	v_lshlrev_b32_e32 v11, 16, v11
	;; [unrolled: 1-line block ×4, first 2 shown]
	v_perm_b32 v148, v149, v148, 0xc0c0500
	v_lshlrev_b32_e32 v18, 24, v18
	v_lshlrev_b32_e32 v149, 16, v150
	v_perm_b32 v21, v160, v21, 0xc0c0500
	v_or3_b32 v17, v151, v17, v11
	v_or_b32_e32 v11, v19, v164
	v_or3_b32 v16, v16, v20, v148
	v_or_b32_e32 v9, v9, v176
	v_or3_b32 v18, v18, v149, v21
	v_and_b32_e32 v19, 0xff, v22
	v_and_b32_e32 v20, 0xff, v166
	v_lshlrev_b32_e32 v21, 8, v165
	v_and_b32_e32 v22, 0xff, v178
	v_lshlrev_b32_e32 v148, 8, v177
	v_or_b32_e32 v15, v15, v180
	v_lshlrev_b32_e32 v11, 16, v11
	v_and_b32_e32 v12, 0xff, v12
	v_lshlrev_b32_e32 v9, 16, v9
	v_lshlrev_b32_e32 v8, 24, v8
	;; [unrolled: 1-line block ×3, first 2 shown]
	v_perm_b32 v21, v21, v23, 0xc0c0500
	v_lshlrev_b32_e32 v10, 24, v10
	v_lshlrev_b32_e32 v22, 16, v22
	v_perm_b32 v13, v148, v13, 0xc0c0500
	v_and_b32_e32 v14, 0xff, v14
	v_lshlrev_b32_e32 v15, 16, v15
	v_add_co_u32 v80, vcc_lo, v80, v132
	v_or3_b32 v19, v163, v19, v11
	v_sub_nc_u32_e32 v2, v2, v97
	v_or3_b32 v9, v167, v12, v9
	v_or3_b32 v8, v8, v20, v21
	v_or3_b32 v10, v10, v22, v13
	v_or3_b32 v11, v179, v14, v15
	v_add_co_ci_u32_e32 v81, vcc_lo, v81, v133, vcc_lo
	v_add_co_u32 v82, vcc_lo, v82, v132
	v_add_co_ci_u32_e32 v83, vcc_lo, v83, v133, vcc_lo
	s_clause 0x1
	global_store_b128 v[84:85], v[16:19], off glc slc dlc
	global_store_b128 v[84:85], v[8:11], off offset:512 glc slc dlc
	v_cmp_gt_i32_e32 vcc_lo, 1, v2
	v_add_co_u32 v84, s13, v84, v132
	s_delay_alu instid0(VALU_DEP_1) | instskip(SKIP_1) | instid1(SALU_CYCLE_1)
	v_add_co_ci_u32_e64 v85, s13, v85, v133, s13
	s_or_b32 s30, vcc_lo, s30
	s_and_not1_b32 exec_lo, exec_lo, s30
	s_cbranch_execz .LBB4_1159
.LBB4_393:                              ;   Parent Loop BB4_51 Depth=1
                                        ;     Parent Loop BB4_303 Depth=2
                                        ;       Parent Loop BB4_305 Depth=3
                                        ; =>      This Inner Loop Header: Depth=4
	s_clause 0x1
	global_load_b128 v[20:23], v[80:81], off slc dlc
	global_load_b128 v[12:15], v[80:81], off offset:512 slc dlc
	s_clause 0x1
	global_load_b128 v[16:19], v[82:83], off slc dlc
	global_load_b128 v[8:11], v[82:83], off offset:512 slc dlc
	s_mov_b32 s13, 0
	s_mov_b32 s31, exec_lo
                                        ; implicit-def: $sgpr29
	s_waitcnt vmcnt(3)
	v_and_b32_e32 v149, 0xff, v20
	s_delay_alu instid0(VALU_DEP_1)
	v_cmpx_lt_i16_e64 0x7f, v149
	s_xor_b32 s31, exec_lo, s31
	s_cbranch_execnz .LBB4_903
; %bb.394:                              ;   in Loop: Header=BB4_393 Depth=4
	s_or_saveexec_b32 s31, s31
	v_mov_b32_e32 v148, s29
	s_xor_b32 exec_lo, exec_lo, s31
	s_cbranch_execnz .LBB4_906
.LBB4_395:                              ;   in Loop: Header=BB4_393 Depth=4
	s_or_b32 exec_lo, exec_lo, s31
	s_and_saveexec_b32 s29, s13
	s_cbranch_execz .LBB4_397
.LBB4_396:                              ;   in Loop: Header=BB4_393 Depth=4
	v_bfe_u32 v151, v20, 3, 4
	v_lshlrev_b32_e32 v160, 24, v20
	s_delay_alu instid0(VALU_DEP_2) | instskip(SKIP_1) | instid1(VALU_DEP_1)
	v_cmp_eq_u32_e32 vcc_lo, 0, v151
	v_and_b32_e32 v148, 7, v20
	v_clz_i32_u32_e32 v149, v148
	s_delay_alu instid0(VALU_DEP_1) | instskip(NEXT) | instid1(VALU_DEP_1)
	v_min_u32_e32 v149, 32, v149
	v_subrev_nc_u32_e32 v150, 28, v149
	v_sub_nc_u32_e32 v149, 29, v149
	s_delay_alu instid0(VALU_DEP_1) | instskip(NEXT) | instid1(VALU_DEP_1)
	v_dual_cndmask_b32 v149, v151, v149 :: v_dual_lshlrev_b32 v150, v150, v20
	v_and_b32_e32 v150, 7, v150
	s_delay_alu instid0(VALU_DEP_2) | instskip(NEXT) | instid1(VALU_DEP_2)
	v_lshl_add_u32 v149, v149, 23, 0x3b800000
	v_cndmask_b32_e32 v148, v148, v150, vcc_lo
	v_and_b32_e32 v150, 0x80000000, v160
	s_delay_alu instid0(VALU_DEP_2) | instskip(NEXT) | instid1(VALU_DEP_1)
	v_lshlrev_b32_e32 v148, 20, v148
	v_or3_b32 v148, v150, v149, v148
.LBB4_397:                              ;   in Loop: Header=BB4_393 Depth=4
	s_or_b32 exec_lo, exec_lo, s29
	s_waitcnt vmcnt(1)
	v_and_b32_e32 v150, 0xff, v16
	s_mov_b32 s13, 0
	s_mov_b32 s31, exec_lo
                                        ; implicit-def: $sgpr29
	s_delay_alu instid0(VALU_DEP_1)
	v_cmpx_lt_i16_e64 0x7f, v150
	s_xor_b32 s31, exec_lo, s31
	s_cbranch_execnz .LBB4_907
; %bb.398:                              ;   in Loop: Header=BB4_393 Depth=4
	s_or_saveexec_b32 s31, s31
	v_mov_b32_e32 v149, s29
	s_xor_b32 exec_lo, exec_lo, s31
	s_cbranch_execnz .LBB4_910
.LBB4_399:                              ;   in Loop: Header=BB4_393 Depth=4
	s_or_b32 exec_lo, exec_lo, s31
	s_and_saveexec_b32 s29, s13
	s_cbranch_execz .LBB4_401
.LBB4_400:                              ;   in Loop: Header=BB4_393 Depth=4
	v_bfe_u32 v160, v16, 3, 4
	v_lshlrev_b32_e32 v161, 24, v16
	s_delay_alu instid0(VALU_DEP_2) | instskip(SKIP_1) | instid1(VALU_DEP_1)
	v_cmp_eq_u32_e32 vcc_lo, 0, v160
	v_and_b32_e32 v149, 7, v16
	v_clz_i32_u32_e32 v150, v149
	s_delay_alu instid0(VALU_DEP_1) | instskip(NEXT) | instid1(VALU_DEP_1)
	v_min_u32_e32 v150, 32, v150
	v_subrev_nc_u32_e32 v151, 28, v150
	v_sub_nc_u32_e32 v150, 29, v150
	s_delay_alu instid0(VALU_DEP_1) | instskip(NEXT) | instid1(VALU_DEP_1)
	v_dual_cndmask_b32 v150, v160, v150 :: v_dual_lshlrev_b32 v151, v151, v16
	v_and_b32_e32 v151, 7, v151
	s_delay_alu instid0(VALU_DEP_2) | instskip(NEXT) | instid1(VALU_DEP_2)
	v_lshl_add_u32 v150, v150, 23, 0x3b800000
	v_cndmask_b32_e32 v149, v149, v151, vcc_lo
	v_and_b32_e32 v151, 0x80000000, v161
	s_delay_alu instid0(VALU_DEP_2) | instskip(NEXT) | instid1(VALU_DEP_1)
	v_lshlrev_b32_e32 v149, 20, v149
	v_or3_b32 v149, v151, v150, v149
.LBB4_401:                              ;   in Loop: Header=BB4_393 Depth=4
	s_or_b32 exec_lo, exec_lo, s29
	s_delay_alu instid0(VALU_DEP_1) | instskip(NEXT) | instid1(VALU_DEP_1)
	v_add_f32_e32 v149, v148, v149
	v_and_b32_e32 v148, 0x7f800000, v149
	s_delay_alu instid0(VALU_DEP_1)
	v_cmp_ne_u32_e32 vcc_lo, 0x7f800000, v148
	v_mov_b32_e32 v148, 0x80
	s_and_saveexec_b32 s29, vcc_lo
	s_cbranch_execz .LBB4_409
; %bb.402:                              ;   in Loop: Header=BB4_393 Depth=4
	v_mov_b32_e32 v148, 0
	s_mov_b32 s31, exec_lo
	v_cmpx_ne_u32_e32 0, v149
	s_cbranch_execz .LBB4_408
; %bb.403:                              ;   in Loop: Header=BB4_393 Depth=4
	v_bfe_u32 v148, v149, 23, 8
	s_delay_alu instid0(VALU_DEP_1) | instskip(SKIP_1) | instid1(VALU_DEP_2)
	v_sub_nc_u32_e32 v151, 0x78, v148
	v_cmp_gt_u32_e32 vcc_lo, 0x79, v148
	v_dual_cndmask_b32 v151, 0, v151 :: v_dual_and_b32 v150, 0x7fffff, v149
	s_delay_alu instid0(VALU_DEP_1) | instskip(SKIP_2) | instid1(VALU_DEP_4)
	v_or_b32_e32 v160, 0x800000, v150
	v_cmp_eq_u32_e32 vcc_lo, 0, v148
	v_add_nc_u32_e32 v148, 0xffffff89, v148
	v_cndmask_b32_e64 v151, v151, 0x77, vcc_lo
	s_delay_alu instid0(VALU_DEP_2) | instskip(SKIP_1) | instid1(VALU_DEP_3)
	v_cndmask_b32_e64 v148, v148, 0xffffff8a, vcc_lo
	v_cndmask_b32_e32 v150, v160, v150, vcc_lo
	v_lshl_add_u32 v160, 0x100000, v151, -1
	v_lshlrev_b32_e64 v163, v151, 0x80000
	s_delay_alu instid0(VALU_DEP_3) | instskip(SKIP_1) | instid1(VALU_DEP_4)
	v_lshrrev_b32_e32 v161, v151, v150
	v_add_nc_u32_e32 v151, v151, v148
	v_and_b32_e32 v150, v160, v150
	s_delay_alu instid0(VALU_DEP_3) | instskip(NEXT) | instid1(VALU_DEP_2)
	v_bfe_u32 v162, v161, 20, 1
	v_cmp_eq_u32_e64 s13, v150, v163
	s_delay_alu instid0(VALU_DEP_2) | instskip(NEXT) | instid1(VALU_DEP_1)
	v_add_nc_u32_e32 v160, -1, v162
	v_cndmask_b32_e64 v150, 0, v160, s13
	v_lshrrev_b32_e32 v160, 23, v161
	s_mov_b32 s13, exec_lo
	s_delay_alu instid0(VALU_DEP_2) | instskip(NEXT) | instid1(VALU_DEP_2)
	v_add_nc_u32_e32 v150, v150, v161
	v_xor_b32_e32 v160, 1, v160
	s_delay_alu instid0(VALU_DEP_2) | instskip(NEXT) | instid1(VALU_DEP_1)
	v_and_b32_e32 v148, 0xfffff, v150
	v_add_nc_u32_e32 v150, v148, v161
                                        ; implicit-def: $vgpr148
	s_delay_alu instid0(VALU_DEP_3)
	v_cmpx_ne_u32_e64 v151, v160
	s_xor_b32 s13, exec_lo, s13
; %bb.404:                              ;   in Loop: Header=BB4_393 Depth=4
	s_delay_alu instid0(VALU_DEP_2) | instskip(SKIP_2) | instid1(VALU_DEP_2)
	v_cmp_lt_u32_e32 vcc_lo, 0xffffff, v150
	v_sub_nc_u32_e32 v148, v151, v160
	v_cndmask_b32_e64 v151, 0, 1, vcc_lo
	v_add_co_ci_u32_e32 v148, vcc_lo, 0, v148, vcc_lo
	s_delay_alu instid0(VALU_DEP_2)
	v_lshrrev_b32_e32 v150, v151, v150
; %bb.405:                              ;   in Loop: Header=BB4_393 Depth=4
	s_and_not1_saveexec_b32 s13, s13
; %bb.406:                              ;   in Loop: Header=BB4_393 Depth=4
	s_delay_alu instid0(VALU_DEP_1)
	v_bfe_u32 v148, v150, 23, 1
; %bb.407:                              ;   in Loop: Header=BB4_393 Depth=4
	s_or_b32 exec_lo, exec_lo, s13
	v_lshrrev_b32_e32 v150, 20, v150
	s_delay_alu instid0(VALU_DEP_2) | instskip(SKIP_2) | instid1(VALU_DEP_2)
	v_cmp_gt_i32_e32 vcc_lo, 16, v148
	v_lshrrev_b32_e32 v149, 24, v149
	v_min_i32_e32 v151, 15, v148
	v_dual_cndmask_b32 v150, 7, v150 :: v_dual_and_b32 v149, 0x80, v149
	s_delay_alu instid0(VALU_DEP_1) | instskip(SKIP_1) | instid1(VALU_DEP_2)
	v_or_b32_e32 v148, v148, v150
	v_and_b32_e32 v160, 7, v150
	v_cmp_ne_u32_e32 vcc_lo, 0, v148
	v_lshlrev_b32_e32 v151, 3, v151
	s_delay_alu instid0(VALU_DEP_1) | instskip(NEXT) | instid1(VALU_DEP_1)
	v_or3_b32 v149, v151, v149, v160
	v_cndmask_b32_e32 v148, 0, v149, vcc_lo
.LBB4_408:                              ;   in Loop: Header=BB4_393 Depth=4
	s_or_b32 exec_lo, exec_lo, s31
.LBB4_409:                              ;   in Loop: Header=BB4_393 Depth=4
	s_delay_alu instid0(SALU_CYCLE_1) | instskip(SKIP_3) | instid1(VALU_DEP_1)
	s_or_b32 exec_lo, exec_lo, s29
	v_lshrrev_b16 v150, 8, v20
	s_mov_b32 s13, 0
	s_mov_b32 s31, exec_lo
                                        ; implicit-def: $sgpr29
	v_cmpx_lt_i16_e64 0x7f, v150
	s_xor_b32 s31, exec_lo, s31
	s_cbranch_execnz .LBB4_911
; %bb.410:                              ;   in Loop: Header=BB4_393 Depth=4
	s_or_saveexec_b32 s31, s31
	v_mov_b32_e32 v149, s29
	s_xor_b32 exec_lo, exec_lo, s31
	s_cbranch_execnz .LBB4_914
.LBB4_411:                              ;   in Loop: Header=BB4_393 Depth=4
	s_or_b32 exec_lo, exec_lo, s31
	s_and_saveexec_b32 s29, s13
	s_cbranch_execz .LBB4_413
.LBB4_412:                              ;   in Loop: Header=BB4_393 Depth=4
	v_and_b32_e32 v149, 0xffff, v150
	s_delay_alu instid0(VALU_DEP_1) | instskip(NEXT) | instid1(VALU_DEP_1)
	v_and_b32_e32 v151, 7, v149
	v_clz_i32_u32_e32 v160, v151
	s_delay_alu instid0(VALU_DEP_1) | instskip(NEXT) | instid1(VALU_DEP_1)
	v_min_u32_e32 v160, 32, v160
	v_subrev_nc_u32_e32 v161, 28, v160
	v_sub_nc_u32_e32 v160, 29, v160
	s_delay_alu instid0(VALU_DEP_2) | instskip(SKIP_1) | instid1(VALU_DEP_2)
	v_lshlrev_b32_e32 v161, v161, v149
	v_bfe_u32 v149, v149, 3, 4
	v_and_b32_e32 v161, 7, v161
	s_delay_alu instid0(VALU_DEP_2) | instskip(SKIP_1) | instid1(VALU_DEP_1)
	v_cmp_eq_u32_e32 vcc_lo, 0, v149
	v_dual_cndmask_b32 v149, v149, v160 :: v_dual_lshlrev_b32 v150, 24, v150
	v_dual_cndmask_b32 v151, v151, v161 :: v_dual_and_b32 v150, 0x80000000, v150
	s_delay_alu instid0(VALU_DEP_2) | instskip(NEXT) | instid1(VALU_DEP_2)
	v_lshl_add_u32 v149, v149, 23, 0x3b800000
	v_lshlrev_b32_e32 v151, 20, v151
	s_delay_alu instid0(VALU_DEP_1)
	v_or3_b32 v149, v150, v149, v151
.LBB4_413:                              ;   in Loop: Header=BB4_393 Depth=4
	s_or_b32 exec_lo, exec_lo, s29
	v_lshrrev_b16 v150, 8, v16
	s_mov_b32 s13, 0
	s_mov_b32 s31, exec_lo
                                        ; implicit-def: $sgpr29
	s_delay_alu instid0(VALU_DEP_1)
	v_cmpx_lt_i16_e64 0x7f, v150
	s_xor_b32 s31, exec_lo, s31
	s_cbranch_execnz .LBB4_915
; %bb.414:                              ;   in Loop: Header=BB4_393 Depth=4
	s_or_saveexec_b32 s31, s31
	v_mov_b32_e32 v151, s29
	s_xor_b32 exec_lo, exec_lo, s31
	s_cbranch_execnz .LBB4_918
.LBB4_415:                              ;   in Loop: Header=BB4_393 Depth=4
	s_or_b32 exec_lo, exec_lo, s31
	s_and_saveexec_b32 s29, s13
	s_cbranch_execz .LBB4_417
.LBB4_416:                              ;   in Loop: Header=BB4_393 Depth=4
	v_and_b32_e32 v151, 0xffff, v150
	v_lshlrev_b32_e32 v150, 24, v150
	s_delay_alu instid0(VALU_DEP_2) | instskip(NEXT) | instid1(VALU_DEP_2)
	v_and_b32_e32 v160, 7, v151
	v_and_b32_e32 v150, 0x80000000, v150
	s_delay_alu instid0(VALU_DEP_2) | instskip(NEXT) | instid1(VALU_DEP_1)
	v_clz_i32_u32_e32 v161, v160
	v_min_u32_e32 v161, 32, v161
	s_delay_alu instid0(VALU_DEP_1) | instskip(SKIP_1) | instid1(VALU_DEP_2)
	v_subrev_nc_u32_e32 v162, 28, v161
	v_sub_nc_u32_e32 v161, 29, v161
	v_lshlrev_b32_e32 v162, v162, v151
	v_bfe_u32 v151, v151, 3, 4
	s_delay_alu instid0(VALU_DEP_2) | instskip(NEXT) | instid1(VALU_DEP_2)
	v_and_b32_e32 v162, 7, v162
	v_cmp_eq_u32_e32 vcc_lo, 0, v151
	s_delay_alu instid0(VALU_DEP_2) | instskip(NEXT) | instid1(VALU_DEP_1)
	v_dual_cndmask_b32 v151, v151, v161 :: v_dual_cndmask_b32 v160, v160, v162
	v_lshl_add_u32 v151, v151, 23, 0x3b800000
	s_delay_alu instid0(VALU_DEP_2) | instskip(NEXT) | instid1(VALU_DEP_1)
	v_lshlrev_b32_e32 v160, 20, v160
	v_or3_b32 v151, v150, v151, v160
.LBB4_417:                              ;   in Loop: Header=BB4_393 Depth=4
	s_or_b32 exec_lo, exec_lo, s29
	s_delay_alu instid0(VALU_DEP_1) | instskip(NEXT) | instid1(VALU_DEP_1)
	v_add_f32_e32 v150, v149, v151
	v_and_b32_e32 v149, 0x7f800000, v150
	s_delay_alu instid0(VALU_DEP_1)
	v_cmp_ne_u32_e32 vcc_lo, 0x7f800000, v149
	v_mov_b32_e32 v149, 0x80
	s_and_saveexec_b32 s29, vcc_lo
	s_cbranch_execz .LBB4_425
; %bb.418:                              ;   in Loop: Header=BB4_393 Depth=4
	v_mov_b32_e32 v149, 0
	s_mov_b32 s31, exec_lo
	v_cmpx_ne_u32_e32 0, v150
	s_cbranch_execz .LBB4_424
; %bb.419:                              ;   in Loop: Header=BB4_393 Depth=4
	v_bfe_u32 v149, v150, 23, 8
	s_delay_alu instid0(VALU_DEP_1) | instskip(SKIP_1) | instid1(VALU_DEP_2)
	v_sub_nc_u32_e32 v160, 0x78, v149
	v_cmp_gt_u32_e32 vcc_lo, 0x79, v149
	v_dual_cndmask_b32 v160, 0, v160 :: v_dual_and_b32 v151, 0x7fffff, v150
	s_delay_alu instid0(VALU_DEP_1) | instskip(SKIP_2) | instid1(VALU_DEP_4)
	v_or_b32_e32 v161, 0x800000, v151
	v_cmp_eq_u32_e32 vcc_lo, 0, v149
	v_add_nc_u32_e32 v149, 0xffffff89, v149
	v_cndmask_b32_e64 v160, v160, 0x77, vcc_lo
	s_delay_alu instid0(VALU_DEP_2) | instskip(SKIP_1) | instid1(VALU_DEP_3)
	v_cndmask_b32_e64 v149, v149, 0xffffff8a, vcc_lo
	v_cndmask_b32_e32 v151, v161, v151, vcc_lo
	v_lshl_add_u32 v161, 0x100000, v160, -1
	v_lshlrev_b32_e64 v164, v160, 0x80000
	s_delay_alu instid0(VALU_DEP_3) | instskip(SKIP_1) | instid1(VALU_DEP_4)
	v_lshrrev_b32_e32 v162, v160, v151
	v_add_nc_u32_e32 v160, v160, v149
	v_and_b32_e32 v151, v161, v151
	s_delay_alu instid0(VALU_DEP_3) | instskip(NEXT) | instid1(VALU_DEP_2)
	v_bfe_u32 v163, v162, 20, 1
	v_cmp_eq_u32_e64 s13, v151, v164
	s_delay_alu instid0(VALU_DEP_2) | instskip(NEXT) | instid1(VALU_DEP_1)
	v_add_nc_u32_e32 v161, -1, v163
	v_cndmask_b32_e64 v151, 0, v161, s13
	v_lshrrev_b32_e32 v161, 23, v162
	s_mov_b32 s13, exec_lo
	s_delay_alu instid0(VALU_DEP_2) | instskip(NEXT) | instid1(VALU_DEP_2)
	v_add_nc_u32_e32 v151, v151, v162
	v_xor_b32_e32 v161, 1, v161
	s_delay_alu instid0(VALU_DEP_2) | instskip(NEXT) | instid1(VALU_DEP_1)
	v_and_b32_e32 v149, 0xfffff, v151
	v_add_nc_u32_e32 v151, v149, v162
                                        ; implicit-def: $vgpr149
	s_delay_alu instid0(VALU_DEP_3)
	v_cmpx_ne_u32_e64 v160, v161
	s_xor_b32 s13, exec_lo, s13
; %bb.420:                              ;   in Loop: Header=BB4_393 Depth=4
	s_delay_alu instid0(VALU_DEP_2) | instskip(SKIP_2) | instid1(VALU_DEP_2)
	v_cmp_lt_u32_e32 vcc_lo, 0xffffff, v151
	v_sub_nc_u32_e32 v149, v160, v161
	v_cndmask_b32_e64 v160, 0, 1, vcc_lo
	v_add_co_ci_u32_e32 v149, vcc_lo, 0, v149, vcc_lo
	s_delay_alu instid0(VALU_DEP_2)
	v_lshrrev_b32_e32 v151, v160, v151
; %bb.421:                              ;   in Loop: Header=BB4_393 Depth=4
	s_and_not1_saveexec_b32 s13, s13
; %bb.422:                              ;   in Loop: Header=BB4_393 Depth=4
	s_delay_alu instid0(VALU_DEP_1)
	v_bfe_u32 v149, v151, 23, 1
; %bb.423:                              ;   in Loop: Header=BB4_393 Depth=4
	s_or_b32 exec_lo, exec_lo, s13
	v_lshrrev_b32_e32 v151, 20, v151
	s_delay_alu instid0(VALU_DEP_2) | instskip(SKIP_2) | instid1(VALU_DEP_2)
	v_cmp_gt_i32_e32 vcc_lo, 16, v149
	v_lshrrev_b32_e32 v150, 24, v150
	v_min_i32_e32 v160, 15, v149
	v_dual_cndmask_b32 v151, 7, v151 :: v_dual_and_b32 v150, 0x80, v150
	s_delay_alu instid0(VALU_DEP_1) | instskip(SKIP_1) | instid1(VALU_DEP_2)
	v_or_b32_e32 v149, v149, v151
	v_and_b32_e32 v161, 7, v151
	v_cmp_ne_u32_e32 vcc_lo, 0, v149
	v_lshlrev_b32_e32 v160, 3, v160
	s_delay_alu instid0(VALU_DEP_1) | instskip(NEXT) | instid1(VALU_DEP_1)
	v_or3_b32 v150, v160, v150, v161
	v_cndmask_b32_e32 v149, 0, v150, vcc_lo
.LBB4_424:                              ;   in Loop: Header=BB4_393 Depth=4
	s_or_b32 exec_lo, exec_lo, s31
.LBB4_425:                              ;   in Loop: Header=BB4_393 Depth=4
	s_delay_alu instid0(SALU_CYCLE_1) | instskip(SKIP_3) | instid1(VALU_DEP_1)
	s_or_b32 exec_lo, exec_lo, s29
	v_lshrrev_b32_e32 v151, 16, v20
	s_mov_b32 s13, 0
	s_mov_b32 s31, exec_lo
                                        ; implicit-def: $sgpr29
	v_and_b32_e32 v160, 0xff, v151
	s_delay_alu instid0(VALU_DEP_1)
	v_cmpx_lt_i16_e64 0x7f, v160
	s_xor_b32 s31, exec_lo, s31
	s_cbranch_execnz .LBB4_919
; %bb.426:                              ;   in Loop: Header=BB4_393 Depth=4
	s_or_saveexec_b32 s31, s31
	v_mov_b32_e32 v150, s29
	s_xor_b32 exec_lo, exec_lo, s31
	s_cbranch_execnz .LBB4_922
.LBB4_427:                              ;   in Loop: Header=BB4_393 Depth=4
	s_or_b32 exec_lo, exec_lo, s31
	s_and_saveexec_b32 s29, s13
	s_cbranch_execz .LBB4_429
.LBB4_428:                              ;   in Loop: Header=BB4_393 Depth=4
	v_bfe_u32 v150, v20, 16, 3
	v_lshlrev_b32_e32 v162, 8, v20
	s_delay_alu instid0(VALU_DEP_2) | instskip(NEXT) | instid1(VALU_DEP_1)
	v_clz_i32_u32_e32 v160, v150
	v_min_u32_e32 v160, 32, v160
	s_delay_alu instid0(VALU_DEP_1) | instskip(SKIP_1) | instid1(VALU_DEP_2)
	v_subrev_nc_u32_e32 v161, 28, v160
	v_sub_nc_u32_e32 v160, 29, v160
	v_lshlrev_b32_e32 v151, v161, v151
	v_bfe_u32 v161, v20, 19, 4
	s_delay_alu instid0(VALU_DEP_1) | instskip(NEXT) | instid1(VALU_DEP_3)
	v_cmp_eq_u32_e32 vcc_lo, 0, v161
	v_dual_cndmask_b32 v160, v161, v160 :: v_dual_and_b32 v151, 7, v151
	s_delay_alu instid0(VALU_DEP_1) | instskip(NEXT) | instid1(VALU_DEP_2)
	v_dual_cndmask_b32 v150, v150, v151 :: v_dual_and_b32 v151, 0x80000000, v162
	v_lshl_add_u32 v160, v160, 23, 0x3b800000
	s_delay_alu instid0(VALU_DEP_2) | instskip(NEXT) | instid1(VALU_DEP_1)
	v_lshlrev_b32_e32 v150, 20, v150
	v_or3_b32 v150, v151, v160, v150
.LBB4_429:                              ;   in Loop: Header=BB4_393 Depth=4
	s_or_b32 exec_lo, exec_lo, s29
	v_lshrrev_b32_e32 v151, 16, v16
	s_mov_b32 s13, 0
	s_mov_b32 s31, exec_lo
                                        ; implicit-def: $sgpr29
	s_delay_alu instid0(VALU_DEP_1) | instskip(NEXT) | instid1(VALU_DEP_1)
	v_and_b32_e32 v161, 0xff, v151
	v_cmpx_lt_i16_e64 0x7f, v161
	s_xor_b32 s31, exec_lo, s31
	s_cbranch_execnz .LBB4_923
; %bb.430:                              ;   in Loop: Header=BB4_393 Depth=4
	s_or_saveexec_b32 s31, s31
	v_mov_b32_e32 v160, s29
	s_xor_b32 exec_lo, exec_lo, s31
	s_cbranch_execnz .LBB4_926
.LBB4_431:                              ;   in Loop: Header=BB4_393 Depth=4
	s_or_b32 exec_lo, exec_lo, s31
	s_and_saveexec_b32 s29, s13
	s_cbranch_execz .LBB4_433
.LBB4_432:                              ;   in Loop: Header=BB4_393 Depth=4
	v_bfe_u32 v160, v16, 16, 3
	v_lshlrev_b32_e32 v163, 8, v16
	s_delay_alu instid0(VALU_DEP_2) | instskip(NEXT) | instid1(VALU_DEP_1)
	v_clz_i32_u32_e32 v161, v160
	v_min_u32_e32 v161, 32, v161
	s_delay_alu instid0(VALU_DEP_1) | instskip(SKIP_1) | instid1(VALU_DEP_2)
	v_subrev_nc_u32_e32 v162, 28, v161
	v_sub_nc_u32_e32 v161, 29, v161
	v_lshlrev_b32_e32 v151, v162, v151
	v_bfe_u32 v162, v16, 19, 4
	s_delay_alu instid0(VALU_DEP_2) | instskip(NEXT) | instid1(VALU_DEP_2)
	v_and_b32_e32 v151, 7, v151
	v_cmp_eq_u32_e32 vcc_lo, 0, v162
	v_cndmask_b32_e32 v161, v162, v161, vcc_lo
	s_delay_alu instid0(VALU_DEP_3) | instskip(SKIP_1) | instid1(VALU_DEP_3)
	v_cndmask_b32_e32 v151, v160, v151, vcc_lo
	v_and_b32_e32 v160, 0x80000000, v163
	v_lshl_add_u32 v161, v161, 23, 0x3b800000
	s_delay_alu instid0(VALU_DEP_3) | instskip(NEXT) | instid1(VALU_DEP_1)
	v_lshlrev_b32_e32 v151, 20, v151
	v_or3_b32 v160, v160, v161, v151
.LBB4_433:                              ;   in Loop: Header=BB4_393 Depth=4
	s_or_b32 exec_lo, exec_lo, s29
	s_delay_alu instid0(VALU_DEP_1) | instskip(NEXT) | instid1(VALU_DEP_1)
	v_add_f32_e32 v151, v150, v160
	v_and_b32_e32 v150, 0x7f800000, v151
	s_delay_alu instid0(VALU_DEP_1)
	v_cmp_ne_u32_e32 vcc_lo, 0x7f800000, v150
	v_mov_b32_e32 v150, 0x80
	s_and_saveexec_b32 s29, vcc_lo
	s_cbranch_execz .LBB4_441
; %bb.434:                              ;   in Loop: Header=BB4_393 Depth=4
	v_mov_b32_e32 v150, 0
	s_mov_b32 s31, exec_lo
	v_cmpx_ne_u32_e32 0, v151
	s_cbranch_execz .LBB4_440
; %bb.435:                              ;   in Loop: Header=BB4_393 Depth=4
	v_bfe_u32 v150, v151, 23, 8
	s_delay_alu instid0(VALU_DEP_1) | instskip(SKIP_1) | instid1(VALU_DEP_2)
	v_sub_nc_u32_e32 v161, 0x78, v150
	v_cmp_gt_u32_e32 vcc_lo, 0x79, v150
	v_dual_cndmask_b32 v161, 0, v161 :: v_dual_and_b32 v160, 0x7fffff, v151
	s_delay_alu instid0(VALU_DEP_1) | instskip(SKIP_2) | instid1(VALU_DEP_4)
	v_or_b32_e32 v162, 0x800000, v160
	v_cmp_eq_u32_e32 vcc_lo, 0, v150
	v_add_nc_u32_e32 v150, 0xffffff89, v150
	v_cndmask_b32_e64 v161, v161, 0x77, vcc_lo
	s_delay_alu instid0(VALU_DEP_2) | instskip(SKIP_1) | instid1(VALU_DEP_3)
	v_cndmask_b32_e64 v150, v150, 0xffffff8a, vcc_lo
	v_cndmask_b32_e32 v160, v162, v160, vcc_lo
	v_lshl_add_u32 v162, 0x100000, v161, -1
	v_lshlrev_b32_e64 v165, v161, 0x80000
	s_delay_alu instid0(VALU_DEP_3) | instskip(SKIP_1) | instid1(VALU_DEP_4)
	v_lshrrev_b32_e32 v163, v161, v160
	v_add_nc_u32_e32 v161, v161, v150
	v_and_b32_e32 v160, v162, v160
	s_delay_alu instid0(VALU_DEP_3) | instskip(NEXT) | instid1(VALU_DEP_2)
	v_bfe_u32 v164, v163, 20, 1
	v_cmp_eq_u32_e64 s13, v160, v165
	s_delay_alu instid0(VALU_DEP_2) | instskip(NEXT) | instid1(VALU_DEP_1)
	v_add_nc_u32_e32 v162, -1, v164
	v_cndmask_b32_e64 v160, 0, v162, s13
	v_lshrrev_b32_e32 v162, 23, v163
	s_mov_b32 s13, exec_lo
	s_delay_alu instid0(VALU_DEP_2) | instskip(NEXT) | instid1(VALU_DEP_2)
	v_add_nc_u32_e32 v160, v160, v163
	v_xor_b32_e32 v162, 1, v162
	s_delay_alu instid0(VALU_DEP_2) | instskip(NEXT) | instid1(VALU_DEP_1)
	v_and_b32_e32 v150, 0xfffff, v160
	v_add_nc_u32_e32 v160, v150, v163
                                        ; implicit-def: $vgpr150
	s_delay_alu instid0(VALU_DEP_3)
	v_cmpx_ne_u32_e64 v161, v162
	s_xor_b32 s13, exec_lo, s13
; %bb.436:                              ;   in Loop: Header=BB4_393 Depth=4
	s_delay_alu instid0(VALU_DEP_2) | instskip(SKIP_2) | instid1(VALU_DEP_2)
	v_cmp_lt_u32_e32 vcc_lo, 0xffffff, v160
	v_sub_nc_u32_e32 v150, v161, v162
	v_cndmask_b32_e64 v161, 0, 1, vcc_lo
	v_add_co_ci_u32_e32 v150, vcc_lo, 0, v150, vcc_lo
	s_delay_alu instid0(VALU_DEP_2)
	v_lshrrev_b32_e32 v160, v161, v160
; %bb.437:                              ;   in Loop: Header=BB4_393 Depth=4
	s_and_not1_saveexec_b32 s13, s13
; %bb.438:                              ;   in Loop: Header=BB4_393 Depth=4
	s_delay_alu instid0(VALU_DEP_1)
	v_bfe_u32 v150, v160, 23, 1
; %bb.439:                              ;   in Loop: Header=BB4_393 Depth=4
	s_or_b32 exec_lo, exec_lo, s13
	v_lshrrev_b32_e32 v160, 20, v160
	s_delay_alu instid0(VALU_DEP_2) | instskip(SKIP_2) | instid1(VALU_DEP_2)
	v_cmp_gt_i32_e32 vcc_lo, 16, v150
	v_lshrrev_b32_e32 v151, 24, v151
	v_min_i32_e32 v161, 15, v150
	v_dual_cndmask_b32 v160, 7, v160 :: v_dual_and_b32 v151, 0x80, v151
	s_delay_alu instid0(VALU_DEP_1) | instskip(SKIP_1) | instid1(VALU_DEP_2)
	v_or_b32_e32 v150, v150, v160
	v_and_b32_e32 v162, 7, v160
	v_cmp_ne_u32_e32 vcc_lo, 0, v150
	v_lshlrev_b32_e32 v161, 3, v161
	s_delay_alu instid0(VALU_DEP_1) | instskip(NEXT) | instid1(VALU_DEP_1)
	v_or3_b32 v151, v161, v151, v162
	v_cndmask_b32_e32 v150, 0, v151, vcc_lo
.LBB4_440:                              ;   in Loop: Header=BB4_393 Depth=4
	s_or_b32 exec_lo, exec_lo, s31
.LBB4_441:                              ;   in Loop: Header=BB4_393 Depth=4
	s_delay_alu instid0(SALU_CYCLE_1) | instskip(SKIP_3) | instid1(VALU_DEP_1)
	s_or_b32 exec_lo, exec_lo, s29
	v_lshrrev_b32_e32 v160, 24, v20
	s_mov_b32 s13, 0
	s_mov_b32 s31, exec_lo
                                        ; implicit-def: $sgpr29
	v_cmpx_lt_i16_e64 0x7f, v160
	s_xor_b32 s31, exec_lo, s31
	s_cbranch_execnz .LBB4_927
; %bb.442:                              ;   in Loop: Header=BB4_393 Depth=4
	s_or_saveexec_b32 s31, s31
	v_mov_b32_e32 v151, s29
	s_xor_b32 exec_lo, exec_lo, s31
	s_cbranch_execnz .LBB4_930
.LBB4_443:                              ;   in Loop: Header=BB4_393 Depth=4
	s_or_b32 exec_lo, exec_lo, s31
	s_and_saveexec_b32 s29, s13
	s_cbranch_execz .LBB4_445
.LBB4_444:                              ;   in Loop: Header=BB4_393 Depth=4
	v_bfe_u32 v151, v20, 24, 3
	s_delay_alu instid0(VALU_DEP_1) | instskip(NEXT) | instid1(VALU_DEP_1)
	v_clz_i32_u32_e32 v161, v151
	v_min_u32_e32 v161, 32, v161
	s_delay_alu instid0(VALU_DEP_1) | instskip(SKIP_1) | instid1(VALU_DEP_2)
	v_subrev_nc_u32_e32 v162, 28, v161
	v_sub_nc_u32_e32 v161, 29, v161
	v_lshlrev_b32_e32 v160, v162, v160
	v_bfe_u32 v162, v20, 27, 4
	v_and_b32_e32 v20, 0x80000000, v20
	s_delay_alu instid0(VALU_DEP_2) | instskip(NEXT) | instid1(VALU_DEP_4)
	v_cmp_eq_u32_e32 vcc_lo, 0, v162
	v_dual_cndmask_b32 v161, v162, v161 :: v_dual_and_b32 v160, 7, v160
	s_delay_alu instid0(VALU_DEP_1) | instskip(NEXT) | instid1(VALU_DEP_2)
	v_cndmask_b32_e32 v151, v151, v160, vcc_lo
	v_lshl_add_u32 v160, v161, 23, 0x3b800000
	s_delay_alu instid0(VALU_DEP_2) | instskip(NEXT) | instid1(VALU_DEP_1)
	v_lshlrev_b32_e32 v151, 20, v151
	v_or3_b32 v151, v20, v160, v151
.LBB4_445:                              ;   in Loop: Header=BB4_393 Depth=4
	s_or_b32 exec_lo, exec_lo, s29
	v_lshrrev_b32_e32 v20, 24, v16
	s_mov_b32 s13, 0
	s_mov_b32 s31, exec_lo
                                        ; implicit-def: $sgpr29
	s_delay_alu instid0(VALU_DEP_1)
	v_cmpx_lt_i16_e32 0x7f, v20
	s_xor_b32 s31, exec_lo, s31
	s_cbranch_execnz .LBB4_931
; %bb.446:                              ;   in Loop: Header=BB4_393 Depth=4
	s_or_saveexec_b32 s31, s31
	v_mov_b32_e32 v160, s29
	s_xor_b32 exec_lo, exec_lo, s31
	s_cbranch_execnz .LBB4_934
.LBB4_447:                              ;   in Loop: Header=BB4_393 Depth=4
	s_or_b32 exec_lo, exec_lo, s31
	s_and_saveexec_b32 s29, s13
	s_cbranch_execz .LBB4_449
.LBB4_448:                              ;   in Loop: Header=BB4_393 Depth=4
	v_bfe_u32 v160, v16, 24, 3
	s_delay_alu instid0(VALU_DEP_1) | instskip(NEXT) | instid1(VALU_DEP_1)
	v_clz_i32_u32_e32 v161, v160
	v_min_u32_e32 v161, 32, v161
	s_delay_alu instid0(VALU_DEP_1) | instskip(SKIP_1) | instid1(VALU_DEP_2)
	v_subrev_nc_u32_e32 v162, 28, v161
	v_sub_nc_u32_e32 v161, 29, v161
	v_lshlrev_b32_e32 v20, v162, v20
	v_bfe_u32 v162, v16, 27, 4
	v_and_b32_e32 v16, 0x80000000, v16
	s_delay_alu instid0(VALU_DEP_2) | instskip(NEXT) | instid1(VALU_DEP_4)
	v_cmp_eq_u32_e32 vcc_lo, 0, v162
	v_dual_cndmask_b32 v161, v162, v161 :: v_dual_and_b32 v20, 7, v20
	s_delay_alu instid0(VALU_DEP_1) | instskip(NEXT) | instid1(VALU_DEP_2)
	v_cndmask_b32_e32 v20, v160, v20, vcc_lo
	v_lshl_add_u32 v160, v161, 23, 0x3b800000
	s_delay_alu instid0(VALU_DEP_2) | instskip(NEXT) | instid1(VALU_DEP_1)
	v_lshlrev_b32_e32 v20, 20, v20
	v_or3_b32 v160, v16, v160, v20
.LBB4_449:                              ;   in Loop: Header=BB4_393 Depth=4
	s_or_b32 exec_lo, exec_lo, s29
	s_delay_alu instid0(VALU_DEP_1) | instskip(NEXT) | instid1(VALU_DEP_1)
	v_add_f32_e32 v20, v151, v160
	v_and_b32_e32 v16, 0x7f800000, v20
	s_delay_alu instid0(VALU_DEP_1)
	v_cmp_ne_u32_e32 vcc_lo, 0x7f800000, v16
	v_mov_b32_e32 v16, 0x80
	s_and_saveexec_b32 s29, vcc_lo
	s_cbranch_execz .LBB4_457
; %bb.450:                              ;   in Loop: Header=BB4_393 Depth=4
	v_mov_b32_e32 v16, 0
	s_mov_b32 s31, exec_lo
	v_cmpx_ne_u32_e32 0, v20
	s_cbranch_execz .LBB4_456
; %bb.451:                              ;   in Loop: Header=BB4_393 Depth=4
	v_bfe_u32 v16, v20, 23, 8
	v_and_b32_e32 v151, 0x7fffff, v20
	s_delay_alu instid0(VALU_DEP_2) | instskip(SKIP_1) | instid1(VALU_DEP_3)
	v_sub_nc_u32_e32 v160, 0x78, v16
	v_cmp_gt_u32_e32 vcc_lo, 0x79, v16
	v_or_b32_e32 v161, 0x800000, v151
	s_delay_alu instid0(VALU_DEP_3) | instskip(SKIP_1) | instid1(VALU_DEP_3)
	v_cndmask_b32_e32 v160, 0, v160, vcc_lo
	v_cmp_eq_u32_e32 vcc_lo, 0, v16
	v_dual_cndmask_b32 v151, v161, v151 :: v_dual_add_nc_u32 v16, 0xffffff89, v16
	s_delay_alu instid0(VALU_DEP_3) | instskip(NEXT) | instid1(VALU_DEP_2)
	v_cndmask_b32_e64 v160, v160, 0x77, vcc_lo
	v_cndmask_b32_e64 v16, v16, 0xffffff8a, vcc_lo
	s_delay_alu instid0(VALU_DEP_2) | instskip(SKIP_2) | instid1(VALU_DEP_4)
	v_lshrrev_b32_e32 v162, v160, v151
	v_lshl_add_u32 v161, 0x100000, v160, -1
	v_lshlrev_b32_e64 v164, v160, 0x80000
	v_add_nc_u32_e32 v160, v160, v16
	s_delay_alu instid0(VALU_DEP_4) | instskip(NEXT) | instid1(VALU_DEP_4)
	v_bfe_u32 v163, v162, 20, 1
	v_and_b32_e32 v151, v161, v151
	s_delay_alu instid0(VALU_DEP_2) | instskip(NEXT) | instid1(VALU_DEP_2)
	v_add_nc_u32_e32 v161, -1, v163
	v_cmp_eq_u32_e64 s13, v151, v164
	s_delay_alu instid0(VALU_DEP_1) | instskip(SKIP_2) | instid1(VALU_DEP_2)
	v_cndmask_b32_e64 v151, 0, v161, s13
	v_lshrrev_b32_e32 v161, 23, v162
	s_mov_b32 s13, exec_lo
	v_add_nc_u32_e32 v151, v151, v162
	s_delay_alu instid0(VALU_DEP_2) | instskip(NEXT) | instid1(VALU_DEP_2)
	v_xor_b32_e32 v161, 1, v161
	v_and_b32_e32 v16, 0xfffff, v151
	s_delay_alu instid0(VALU_DEP_1) | instskip(NEXT) | instid1(VALU_DEP_3)
	v_add_nc_u32_e32 v151, v16, v162
                                        ; implicit-def: $vgpr16
	v_cmpx_ne_u32_e64 v160, v161
	s_xor_b32 s13, exec_lo, s13
; %bb.452:                              ;   in Loop: Header=BB4_393 Depth=4
	s_delay_alu instid0(VALU_DEP_2) | instskip(SKIP_2) | instid1(VALU_DEP_2)
	v_cmp_lt_u32_e32 vcc_lo, 0xffffff, v151
	v_sub_nc_u32_e32 v16, v160, v161
	v_cndmask_b32_e64 v160, 0, 1, vcc_lo
	v_add_co_ci_u32_e32 v16, vcc_lo, 0, v16, vcc_lo
	s_delay_alu instid0(VALU_DEP_2)
	v_lshrrev_b32_e32 v151, v160, v151
; %bb.453:                              ;   in Loop: Header=BB4_393 Depth=4
	s_and_not1_saveexec_b32 s13, s13
; %bb.454:                              ;   in Loop: Header=BB4_393 Depth=4
	s_delay_alu instid0(VALU_DEP_1)
	v_bfe_u32 v16, v151, 23, 1
; %bb.455:                              ;   in Loop: Header=BB4_393 Depth=4
	s_or_b32 exec_lo, exec_lo, s13
	v_lshrrev_b32_e32 v151, 20, v151
	s_delay_alu instid0(VALU_DEP_2) | instskip(SKIP_2) | instid1(VALU_DEP_2)
	v_cmp_gt_i32_e32 vcc_lo, 16, v16
	v_lshrrev_b32_e32 v20, 24, v20
	v_min_i32_e32 v160, 15, v16
	v_dual_cndmask_b32 v151, 7, v151 :: v_dual_and_b32 v20, 0x80, v20
	s_delay_alu instid0(VALU_DEP_2) | instskip(NEXT) | instid1(VALU_DEP_2)
	v_lshlrev_b32_e32 v160, 3, v160
	v_or_b32_e32 v16, v16, v151
	s_delay_alu instid0(VALU_DEP_1) | instskip(SKIP_1) | instid1(VALU_DEP_1)
	v_cmp_ne_u32_e32 vcc_lo, 0, v16
	v_and_b32_e32 v161, 7, v151
	v_or3_b32 v20, v160, v20, v161
	s_delay_alu instid0(VALU_DEP_1)
	v_cndmask_b32_e32 v16, 0, v20, vcc_lo
.LBB4_456:                              ;   in Loop: Header=BB4_393 Depth=4
	s_or_b32 exec_lo, exec_lo, s31
.LBB4_457:                              ;   in Loop: Header=BB4_393 Depth=4
	s_delay_alu instid0(SALU_CYCLE_1) | instskip(SKIP_3) | instid1(VALU_DEP_1)
	s_or_b32 exec_lo, exec_lo, s29
	v_and_b32_e32 v151, 0xff, v21
	s_mov_b32 s13, 0
	s_mov_b32 s31, exec_lo
                                        ; implicit-def: $sgpr29
	v_cmpx_lt_i16_e64 0x7f, v151
	s_xor_b32 s31, exec_lo, s31
	s_cbranch_execnz .LBB4_935
; %bb.458:                              ;   in Loop: Header=BB4_393 Depth=4
	s_or_saveexec_b32 s31, s31
	v_mov_b32_e32 v20, s29
	s_xor_b32 exec_lo, exec_lo, s31
	s_cbranch_execnz .LBB4_938
.LBB4_459:                              ;   in Loop: Header=BB4_393 Depth=4
	s_or_b32 exec_lo, exec_lo, s31
	s_and_saveexec_b32 s29, s13
	s_cbranch_execz .LBB4_461
.LBB4_460:                              ;   in Loop: Header=BB4_393 Depth=4
	v_bfe_u32 v161, v21, 3, 4
	v_lshlrev_b32_e32 v162, 24, v21
	s_delay_alu instid0(VALU_DEP_2) | instskip(SKIP_1) | instid1(VALU_DEP_1)
	v_cmp_eq_u32_e32 vcc_lo, 0, v161
	v_and_b32_e32 v20, 7, v21
	v_clz_i32_u32_e32 v151, v20
	s_delay_alu instid0(VALU_DEP_1) | instskip(NEXT) | instid1(VALU_DEP_1)
	v_min_u32_e32 v151, 32, v151
	v_subrev_nc_u32_e32 v160, 28, v151
	v_sub_nc_u32_e32 v151, 29, v151
	s_delay_alu instid0(VALU_DEP_1) | instskip(NEXT) | instid1(VALU_DEP_1)
	v_dual_cndmask_b32 v151, v161, v151 :: v_dual_lshlrev_b32 v160, v160, v21
	v_and_b32_e32 v160, 7, v160
	s_delay_alu instid0(VALU_DEP_2) | instskip(NEXT) | instid1(VALU_DEP_2)
	v_lshl_add_u32 v151, v151, 23, 0x3b800000
	v_cndmask_b32_e32 v20, v20, v160, vcc_lo
	v_and_b32_e32 v160, 0x80000000, v162
	s_delay_alu instid0(VALU_DEP_2) | instskip(NEXT) | instid1(VALU_DEP_1)
	v_lshlrev_b32_e32 v20, 20, v20
	v_or3_b32 v20, v160, v151, v20
.LBB4_461:                              ;   in Loop: Header=BB4_393 Depth=4
	s_or_b32 exec_lo, exec_lo, s29
	v_and_b32_e32 v160, 0xff, v17
	s_mov_b32 s13, 0
	s_mov_b32 s31, exec_lo
                                        ; implicit-def: $sgpr29
	s_delay_alu instid0(VALU_DEP_1)
	v_cmpx_lt_i16_e64 0x7f, v160
	s_xor_b32 s31, exec_lo, s31
	s_cbranch_execnz .LBB4_939
; %bb.462:                              ;   in Loop: Header=BB4_393 Depth=4
	s_or_saveexec_b32 s31, s31
	v_mov_b32_e32 v151, s29
	s_xor_b32 exec_lo, exec_lo, s31
	s_cbranch_execnz .LBB4_942
.LBB4_463:                              ;   in Loop: Header=BB4_393 Depth=4
	s_or_b32 exec_lo, exec_lo, s31
	s_and_saveexec_b32 s29, s13
	s_cbranch_execz .LBB4_465
.LBB4_464:                              ;   in Loop: Header=BB4_393 Depth=4
	v_bfe_u32 v162, v17, 3, 4
	v_lshlrev_b32_e32 v163, 24, v17
	s_delay_alu instid0(VALU_DEP_2) | instskip(SKIP_1) | instid1(VALU_DEP_1)
	v_cmp_eq_u32_e32 vcc_lo, 0, v162
	v_and_b32_e32 v151, 7, v17
	v_clz_i32_u32_e32 v160, v151
	s_delay_alu instid0(VALU_DEP_1) | instskip(NEXT) | instid1(VALU_DEP_1)
	v_min_u32_e32 v160, 32, v160
	v_subrev_nc_u32_e32 v161, 28, v160
	v_sub_nc_u32_e32 v160, 29, v160
	s_delay_alu instid0(VALU_DEP_1) | instskip(NEXT) | instid1(VALU_DEP_1)
	v_dual_cndmask_b32 v160, v162, v160 :: v_dual_lshlrev_b32 v161, v161, v17
	v_and_b32_e32 v161, 7, v161
	s_delay_alu instid0(VALU_DEP_2) | instskip(NEXT) | instid1(VALU_DEP_2)
	v_lshl_add_u32 v160, v160, 23, 0x3b800000
	v_cndmask_b32_e32 v151, v151, v161, vcc_lo
	v_and_b32_e32 v161, 0x80000000, v163
	s_delay_alu instid0(VALU_DEP_2) | instskip(NEXT) | instid1(VALU_DEP_1)
	v_lshlrev_b32_e32 v151, 20, v151
	v_or3_b32 v151, v161, v160, v151
.LBB4_465:                              ;   in Loop: Header=BB4_393 Depth=4
	s_or_b32 exec_lo, exec_lo, s29
	s_delay_alu instid0(VALU_DEP_1) | instskip(NEXT) | instid1(VALU_DEP_1)
	v_add_f32_e32 v151, v20, v151
	v_and_b32_e32 v20, 0x7f800000, v151
	s_delay_alu instid0(VALU_DEP_1)
	v_cmp_ne_u32_e32 vcc_lo, 0x7f800000, v20
	v_mov_b32_e32 v20, 0x80
	s_and_saveexec_b32 s29, vcc_lo
	s_cbranch_execz .LBB4_473
; %bb.466:                              ;   in Loop: Header=BB4_393 Depth=4
	v_mov_b32_e32 v20, 0
	s_mov_b32 s31, exec_lo
	v_cmpx_ne_u32_e32 0, v151
	s_cbranch_execz .LBB4_472
; %bb.467:                              ;   in Loop: Header=BB4_393 Depth=4
	v_bfe_u32 v20, v151, 23, 8
	s_delay_alu instid0(VALU_DEP_1) | instskip(SKIP_1) | instid1(VALU_DEP_2)
	v_sub_nc_u32_e32 v161, 0x78, v20
	v_cmp_gt_u32_e32 vcc_lo, 0x79, v20
	v_dual_cndmask_b32 v161, 0, v161 :: v_dual_and_b32 v160, 0x7fffff, v151
	s_delay_alu instid0(VALU_DEP_1) | instskip(SKIP_2) | instid1(VALU_DEP_4)
	v_or_b32_e32 v162, 0x800000, v160
	v_cmp_eq_u32_e32 vcc_lo, 0, v20
	v_add_nc_u32_e32 v20, 0xffffff89, v20
	v_cndmask_b32_e64 v161, v161, 0x77, vcc_lo
	s_delay_alu instid0(VALU_DEP_4) | instskip(NEXT) | instid1(VALU_DEP_3)
	v_cndmask_b32_e32 v160, v162, v160, vcc_lo
	v_cndmask_b32_e64 v20, v20, 0xffffff8a, vcc_lo
	s_delay_alu instid0(VALU_DEP_3) | instskip(NEXT) | instid1(VALU_DEP_3)
	v_lshl_add_u32 v162, 0x100000, v161, -1
	v_lshrrev_b32_e32 v163, v161, v160
	v_lshlrev_b32_e64 v165, v161, 0x80000
	s_delay_alu instid0(VALU_DEP_4) | instskip(NEXT) | instid1(VALU_DEP_4)
	v_add_nc_u32_e32 v161, v161, v20
	v_and_b32_e32 v160, v162, v160
	s_delay_alu instid0(VALU_DEP_4) | instskip(NEXT) | instid1(VALU_DEP_2)
	v_bfe_u32 v164, v163, 20, 1
	v_cmp_eq_u32_e64 s13, v160, v165
	s_delay_alu instid0(VALU_DEP_2) | instskip(NEXT) | instid1(VALU_DEP_1)
	v_add_nc_u32_e32 v162, -1, v164
	v_cndmask_b32_e64 v160, 0, v162, s13
	v_lshrrev_b32_e32 v162, 23, v163
	s_mov_b32 s13, exec_lo
	s_delay_alu instid0(VALU_DEP_2) | instskip(NEXT) | instid1(VALU_DEP_2)
	v_add_nc_u32_e32 v160, v160, v163
	v_xor_b32_e32 v162, 1, v162
	s_delay_alu instid0(VALU_DEP_2) | instskip(NEXT) | instid1(VALU_DEP_1)
	v_and_b32_e32 v20, 0xfffff, v160
	v_add_nc_u32_e32 v160, v20, v163
                                        ; implicit-def: $vgpr20
	s_delay_alu instid0(VALU_DEP_3)
	v_cmpx_ne_u32_e64 v161, v162
	s_xor_b32 s13, exec_lo, s13
; %bb.468:                              ;   in Loop: Header=BB4_393 Depth=4
	s_delay_alu instid0(VALU_DEP_2) | instskip(SKIP_2) | instid1(VALU_DEP_2)
	v_cmp_lt_u32_e32 vcc_lo, 0xffffff, v160
	v_sub_nc_u32_e32 v20, v161, v162
	v_cndmask_b32_e64 v161, 0, 1, vcc_lo
	v_add_co_ci_u32_e32 v20, vcc_lo, 0, v20, vcc_lo
	s_delay_alu instid0(VALU_DEP_2)
	v_lshrrev_b32_e32 v160, v161, v160
; %bb.469:                              ;   in Loop: Header=BB4_393 Depth=4
	s_and_not1_saveexec_b32 s13, s13
; %bb.470:                              ;   in Loop: Header=BB4_393 Depth=4
	s_delay_alu instid0(VALU_DEP_1)
	v_bfe_u32 v20, v160, 23, 1
; %bb.471:                              ;   in Loop: Header=BB4_393 Depth=4
	s_or_b32 exec_lo, exec_lo, s13
	v_lshrrev_b32_e32 v160, 20, v160
	s_delay_alu instid0(VALU_DEP_2) | instskip(SKIP_2) | instid1(VALU_DEP_2)
	v_cmp_gt_i32_e32 vcc_lo, 16, v20
	v_lshrrev_b32_e32 v151, 24, v151
	v_min_i32_e32 v161, 15, v20
	v_dual_cndmask_b32 v160, 7, v160 :: v_dual_and_b32 v151, 0x80, v151
	s_delay_alu instid0(VALU_DEP_1) | instskip(SKIP_1) | instid1(VALU_DEP_2)
	v_or_b32_e32 v20, v20, v160
	v_and_b32_e32 v162, 7, v160
	v_cmp_ne_u32_e32 vcc_lo, 0, v20
	v_lshlrev_b32_e32 v161, 3, v161
	s_delay_alu instid0(VALU_DEP_1) | instskip(NEXT) | instid1(VALU_DEP_1)
	v_or3_b32 v151, v161, v151, v162
	v_cndmask_b32_e32 v20, 0, v151, vcc_lo
.LBB4_472:                              ;   in Loop: Header=BB4_393 Depth=4
	s_or_b32 exec_lo, exec_lo, s31
.LBB4_473:                              ;   in Loop: Header=BB4_393 Depth=4
	s_delay_alu instid0(SALU_CYCLE_1) | instskip(SKIP_3) | instid1(VALU_DEP_1)
	s_or_b32 exec_lo, exec_lo, s29
	v_lshrrev_b16 v160, 8, v21
	s_mov_b32 s13, 0
	s_mov_b32 s31, exec_lo
                                        ; implicit-def: $sgpr29
	v_cmpx_lt_i16_e64 0x7f, v160
	s_xor_b32 s31, exec_lo, s31
	s_cbranch_execnz .LBB4_943
; %bb.474:                              ;   in Loop: Header=BB4_393 Depth=4
	s_or_saveexec_b32 s31, s31
	v_mov_b32_e32 v151, s29
	s_xor_b32 exec_lo, exec_lo, s31
	s_cbranch_execnz .LBB4_946
.LBB4_475:                              ;   in Loop: Header=BB4_393 Depth=4
	s_or_b32 exec_lo, exec_lo, s31
	s_and_saveexec_b32 s29, s13
	s_cbranch_execz .LBB4_477
.LBB4_476:                              ;   in Loop: Header=BB4_393 Depth=4
	v_and_b32_e32 v151, 0xffff, v160
	s_delay_alu instid0(VALU_DEP_1) | instskip(NEXT) | instid1(VALU_DEP_1)
	v_and_b32_e32 v161, 7, v151
	v_clz_i32_u32_e32 v162, v161
	s_delay_alu instid0(VALU_DEP_1) | instskip(NEXT) | instid1(VALU_DEP_1)
	v_min_u32_e32 v162, 32, v162
	v_subrev_nc_u32_e32 v163, 28, v162
	v_sub_nc_u32_e32 v162, 29, v162
	s_delay_alu instid0(VALU_DEP_2) | instskip(SKIP_1) | instid1(VALU_DEP_2)
	v_lshlrev_b32_e32 v163, v163, v151
	v_bfe_u32 v151, v151, 3, 4
	v_and_b32_e32 v163, 7, v163
	s_delay_alu instid0(VALU_DEP_2) | instskip(SKIP_1) | instid1(VALU_DEP_1)
	v_cmp_eq_u32_e32 vcc_lo, 0, v151
	v_dual_cndmask_b32 v151, v151, v162 :: v_dual_lshlrev_b32 v160, 24, v160
	v_dual_cndmask_b32 v161, v161, v163 :: v_dual_and_b32 v160, 0x80000000, v160
	s_delay_alu instid0(VALU_DEP_2) | instskip(NEXT) | instid1(VALU_DEP_2)
	v_lshl_add_u32 v151, v151, 23, 0x3b800000
	v_lshlrev_b32_e32 v161, 20, v161
	s_delay_alu instid0(VALU_DEP_1)
	v_or3_b32 v151, v160, v151, v161
.LBB4_477:                              ;   in Loop: Header=BB4_393 Depth=4
	s_or_b32 exec_lo, exec_lo, s29
	v_lshrrev_b16 v160, 8, v17
	s_mov_b32 s13, 0
	s_mov_b32 s31, exec_lo
                                        ; implicit-def: $sgpr29
	s_delay_alu instid0(VALU_DEP_1)
	v_cmpx_lt_i16_e64 0x7f, v160
	s_xor_b32 s31, exec_lo, s31
	s_cbranch_execnz .LBB4_947
; %bb.478:                              ;   in Loop: Header=BB4_393 Depth=4
	s_or_saveexec_b32 s31, s31
	v_mov_b32_e32 v161, s29
	s_xor_b32 exec_lo, exec_lo, s31
	s_cbranch_execnz .LBB4_950
.LBB4_479:                              ;   in Loop: Header=BB4_393 Depth=4
	s_or_b32 exec_lo, exec_lo, s31
	s_and_saveexec_b32 s29, s13
	s_cbranch_execz .LBB4_481
.LBB4_480:                              ;   in Loop: Header=BB4_393 Depth=4
	v_and_b32_e32 v161, 0xffff, v160
	v_lshlrev_b32_e32 v160, 24, v160
	s_delay_alu instid0(VALU_DEP_2) | instskip(NEXT) | instid1(VALU_DEP_2)
	v_and_b32_e32 v162, 7, v161
	v_and_b32_e32 v160, 0x80000000, v160
	s_delay_alu instid0(VALU_DEP_2) | instskip(NEXT) | instid1(VALU_DEP_1)
	v_clz_i32_u32_e32 v163, v162
	v_min_u32_e32 v163, 32, v163
	s_delay_alu instid0(VALU_DEP_1) | instskip(SKIP_1) | instid1(VALU_DEP_2)
	v_subrev_nc_u32_e32 v164, 28, v163
	v_sub_nc_u32_e32 v163, 29, v163
	v_lshlrev_b32_e32 v164, v164, v161
	v_bfe_u32 v161, v161, 3, 4
	s_delay_alu instid0(VALU_DEP_2) | instskip(NEXT) | instid1(VALU_DEP_2)
	v_and_b32_e32 v164, 7, v164
	v_cmp_eq_u32_e32 vcc_lo, 0, v161
	s_delay_alu instid0(VALU_DEP_2) | instskip(NEXT) | instid1(VALU_DEP_1)
	v_dual_cndmask_b32 v161, v161, v163 :: v_dual_cndmask_b32 v162, v162, v164
	v_lshl_add_u32 v161, v161, 23, 0x3b800000
	s_delay_alu instid0(VALU_DEP_2) | instskip(NEXT) | instid1(VALU_DEP_1)
	v_lshlrev_b32_e32 v162, 20, v162
	v_or3_b32 v161, v160, v161, v162
.LBB4_481:                              ;   in Loop: Header=BB4_393 Depth=4
	s_or_b32 exec_lo, exec_lo, s29
	s_delay_alu instid0(VALU_DEP_1) | instskip(NEXT) | instid1(VALU_DEP_1)
	v_add_f32_e32 v160, v151, v161
	v_and_b32_e32 v151, 0x7f800000, v160
	s_delay_alu instid0(VALU_DEP_1)
	v_cmp_ne_u32_e32 vcc_lo, 0x7f800000, v151
	v_mov_b32_e32 v151, 0x8000
	s_and_saveexec_b32 s29, vcc_lo
	s_cbranch_execz .LBB4_489
; %bb.482:                              ;   in Loop: Header=BB4_393 Depth=4
	v_mov_b32_e32 v151, 0
	s_mov_b32 s31, exec_lo
	v_cmpx_ne_u32_e32 0, v160
	s_cbranch_execz .LBB4_488
; %bb.483:                              ;   in Loop: Header=BB4_393 Depth=4
	v_bfe_u32 v151, v160, 23, 8
	s_delay_alu instid0(VALU_DEP_1) | instskip(SKIP_1) | instid1(VALU_DEP_2)
	v_sub_nc_u32_e32 v162, 0x78, v151
	v_cmp_gt_u32_e32 vcc_lo, 0x79, v151
	v_dual_cndmask_b32 v162, 0, v162 :: v_dual_and_b32 v161, 0x7fffff, v160
	s_delay_alu instid0(VALU_DEP_1) | instskip(SKIP_2) | instid1(VALU_DEP_4)
	v_or_b32_e32 v163, 0x800000, v161
	v_cmp_eq_u32_e32 vcc_lo, 0, v151
	v_add_nc_u32_e32 v151, 0xffffff89, v151
	v_cndmask_b32_e64 v162, v162, 0x77, vcc_lo
	s_delay_alu instid0(VALU_DEP_2) | instskip(SKIP_1) | instid1(VALU_DEP_3)
	v_cndmask_b32_e64 v151, v151, 0xffffff8a, vcc_lo
	v_cndmask_b32_e32 v161, v163, v161, vcc_lo
	v_lshl_add_u32 v163, 0x100000, v162, -1
	v_lshlrev_b32_e64 v166, v162, 0x80000
	s_delay_alu instid0(VALU_DEP_3) | instskip(SKIP_1) | instid1(VALU_DEP_4)
	v_lshrrev_b32_e32 v164, v162, v161
	v_add_nc_u32_e32 v162, v162, v151
	v_and_b32_e32 v161, v163, v161
	s_delay_alu instid0(VALU_DEP_3) | instskip(NEXT) | instid1(VALU_DEP_2)
	v_bfe_u32 v165, v164, 20, 1
	v_cmp_eq_u32_e64 s13, v161, v166
	s_delay_alu instid0(VALU_DEP_2) | instskip(NEXT) | instid1(VALU_DEP_1)
	v_add_nc_u32_e32 v163, -1, v165
	v_cndmask_b32_e64 v161, 0, v163, s13
	v_lshrrev_b32_e32 v163, 23, v164
	s_mov_b32 s13, exec_lo
	s_delay_alu instid0(VALU_DEP_2) | instskip(NEXT) | instid1(VALU_DEP_2)
	v_add_nc_u32_e32 v161, v161, v164
	v_xor_b32_e32 v163, 1, v163
	s_delay_alu instid0(VALU_DEP_2) | instskip(NEXT) | instid1(VALU_DEP_1)
	v_and_b32_e32 v151, 0xfffff, v161
	v_add_nc_u32_e32 v161, v151, v164
                                        ; implicit-def: $vgpr151
	s_delay_alu instid0(VALU_DEP_3)
	v_cmpx_ne_u32_e64 v162, v163
	s_xor_b32 s13, exec_lo, s13
; %bb.484:                              ;   in Loop: Header=BB4_393 Depth=4
	s_delay_alu instid0(VALU_DEP_2) | instskip(SKIP_2) | instid1(VALU_DEP_2)
	v_cmp_lt_u32_e32 vcc_lo, 0xffffff, v161
	v_sub_nc_u32_e32 v151, v162, v163
	v_cndmask_b32_e64 v162, 0, 1, vcc_lo
	v_add_co_ci_u32_e32 v151, vcc_lo, 0, v151, vcc_lo
	s_delay_alu instid0(VALU_DEP_2)
	v_lshrrev_b32_e32 v161, v162, v161
; %bb.485:                              ;   in Loop: Header=BB4_393 Depth=4
	s_and_not1_saveexec_b32 s13, s13
; %bb.486:                              ;   in Loop: Header=BB4_393 Depth=4
	s_delay_alu instid0(VALU_DEP_1)
	v_bfe_u32 v151, v161, 23, 1
; %bb.487:                              ;   in Loop: Header=BB4_393 Depth=4
	s_or_b32 exec_lo, exec_lo, s13
	v_lshrrev_b32_e32 v161, 20, v161
	s_delay_alu instid0(VALU_DEP_2) | instskip(SKIP_2) | instid1(VALU_DEP_2)
	v_cmp_gt_i32_e32 vcc_lo, 16, v151
	v_min_i32_e32 v162, 15, v151
	v_lshrrev_b32_e32 v160, 24, v160
	v_dual_cndmask_b32 v161, 7, v161 :: v_dual_lshlrev_b32 v162, 3, v162
	s_delay_alu instid0(VALU_DEP_2) | instskip(NEXT) | instid1(VALU_DEP_2)
	v_and_b32_e32 v160, 0x80, v160
	v_or_b32_e32 v151, v151, v161
	v_and_b32_e32 v163, 7, v161
	s_delay_alu instid0(VALU_DEP_2) | instskip(SKIP_1) | instid1(VALU_DEP_1)
	v_cmp_ne_u32_e32 vcc_lo, 0, v151
	v_and_b32_e32 v162, 0xf8, v162
	v_or3_b32 v160, v160, v162, v163
	s_delay_alu instid0(VALU_DEP_1) | instskip(NEXT) | instid1(VALU_DEP_1)
	v_lshlrev_b32_e32 v160, 8, v160
	v_cndmask_b32_e32 v151, 0, v160, vcc_lo
.LBB4_488:                              ;   in Loop: Header=BB4_393 Depth=4
	s_or_b32 exec_lo, exec_lo, s31
.LBB4_489:                              ;   in Loop: Header=BB4_393 Depth=4
	s_delay_alu instid0(SALU_CYCLE_1) | instskip(SKIP_3) | instid1(VALU_DEP_1)
	s_or_b32 exec_lo, exec_lo, s29
	v_lshrrev_b32_e32 v161, 16, v21
	s_mov_b32 s13, 0
	s_mov_b32 s31, exec_lo
                                        ; implicit-def: $sgpr29
	v_and_b32_e32 v162, 0xff, v161
	s_delay_alu instid0(VALU_DEP_1)
	v_cmpx_lt_i16_e64 0x7f, v162
	s_xor_b32 s31, exec_lo, s31
	s_cbranch_execnz .LBB4_951
; %bb.490:                              ;   in Loop: Header=BB4_393 Depth=4
	s_or_saveexec_b32 s31, s31
	v_mov_b32_e32 v160, s29
	s_xor_b32 exec_lo, exec_lo, s31
	s_cbranch_execnz .LBB4_954
.LBB4_491:                              ;   in Loop: Header=BB4_393 Depth=4
	s_or_b32 exec_lo, exec_lo, s31
	s_and_saveexec_b32 s29, s13
	s_cbranch_execz .LBB4_493
.LBB4_492:                              ;   in Loop: Header=BB4_393 Depth=4
	v_bfe_u32 v160, v21, 16, 3
	v_lshlrev_b32_e32 v164, 8, v21
	s_delay_alu instid0(VALU_DEP_2) | instskip(NEXT) | instid1(VALU_DEP_1)
	v_clz_i32_u32_e32 v162, v160
	v_min_u32_e32 v162, 32, v162
	s_delay_alu instid0(VALU_DEP_1) | instskip(SKIP_1) | instid1(VALU_DEP_2)
	v_subrev_nc_u32_e32 v163, 28, v162
	v_sub_nc_u32_e32 v162, 29, v162
	v_lshlrev_b32_e32 v161, v163, v161
	v_bfe_u32 v163, v21, 19, 4
	s_delay_alu instid0(VALU_DEP_1) | instskip(NEXT) | instid1(VALU_DEP_3)
	v_cmp_eq_u32_e32 vcc_lo, 0, v163
	v_dual_cndmask_b32 v162, v163, v162 :: v_dual_and_b32 v161, 7, v161
	s_delay_alu instid0(VALU_DEP_1) | instskip(NEXT) | instid1(VALU_DEP_2)
	v_dual_cndmask_b32 v160, v160, v161 :: v_dual_and_b32 v161, 0x80000000, v164
	v_lshl_add_u32 v162, v162, 23, 0x3b800000
	s_delay_alu instid0(VALU_DEP_2) | instskip(NEXT) | instid1(VALU_DEP_1)
	v_lshlrev_b32_e32 v160, 20, v160
	v_or3_b32 v160, v161, v162, v160
.LBB4_493:                              ;   in Loop: Header=BB4_393 Depth=4
	s_or_b32 exec_lo, exec_lo, s29
	v_lshrrev_b32_e32 v161, 16, v17
	s_mov_b32 s13, 0
	s_mov_b32 s31, exec_lo
                                        ; implicit-def: $sgpr29
	s_delay_alu instid0(VALU_DEP_1) | instskip(NEXT) | instid1(VALU_DEP_1)
	v_and_b32_e32 v163, 0xff, v161
	v_cmpx_lt_i16_e64 0x7f, v163
	s_xor_b32 s31, exec_lo, s31
	s_cbranch_execnz .LBB4_955
; %bb.494:                              ;   in Loop: Header=BB4_393 Depth=4
	s_or_saveexec_b32 s31, s31
	v_mov_b32_e32 v162, s29
	s_xor_b32 exec_lo, exec_lo, s31
	s_cbranch_execnz .LBB4_958
.LBB4_495:                              ;   in Loop: Header=BB4_393 Depth=4
	s_or_b32 exec_lo, exec_lo, s31
	s_and_saveexec_b32 s29, s13
	s_cbranch_execz .LBB4_497
.LBB4_496:                              ;   in Loop: Header=BB4_393 Depth=4
	v_bfe_u32 v162, v17, 16, 3
	v_lshlrev_b32_e32 v165, 8, v17
	s_delay_alu instid0(VALU_DEP_2) | instskip(NEXT) | instid1(VALU_DEP_1)
	v_clz_i32_u32_e32 v163, v162
	v_min_u32_e32 v163, 32, v163
	s_delay_alu instid0(VALU_DEP_1) | instskip(SKIP_1) | instid1(VALU_DEP_2)
	v_subrev_nc_u32_e32 v164, 28, v163
	v_sub_nc_u32_e32 v163, 29, v163
	v_lshlrev_b32_e32 v161, v164, v161
	v_bfe_u32 v164, v17, 19, 4
	s_delay_alu instid0(VALU_DEP_2) | instskip(NEXT) | instid1(VALU_DEP_2)
	v_and_b32_e32 v161, 7, v161
	v_cmp_eq_u32_e32 vcc_lo, 0, v164
	v_cndmask_b32_e32 v163, v164, v163, vcc_lo
	s_delay_alu instid0(VALU_DEP_3) | instskip(SKIP_1) | instid1(VALU_DEP_3)
	v_cndmask_b32_e32 v161, v162, v161, vcc_lo
	v_and_b32_e32 v162, 0x80000000, v165
	v_lshl_add_u32 v163, v163, 23, 0x3b800000
	s_delay_alu instid0(VALU_DEP_3) | instskip(NEXT) | instid1(VALU_DEP_1)
	v_lshlrev_b32_e32 v161, 20, v161
	v_or3_b32 v162, v162, v163, v161
.LBB4_497:                              ;   in Loop: Header=BB4_393 Depth=4
	s_or_b32 exec_lo, exec_lo, s29
	s_delay_alu instid0(VALU_DEP_1) | instskip(NEXT) | instid1(VALU_DEP_1)
	v_add_f32_e32 v161, v160, v162
	v_and_b32_e32 v160, 0x7f800000, v161
	s_delay_alu instid0(VALU_DEP_1)
	v_cmp_ne_u32_e32 vcc_lo, 0x7f800000, v160
	v_mov_b32_e32 v160, 0x80
	s_and_saveexec_b32 s29, vcc_lo
	s_cbranch_execz .LBB4_505
; %bb.498:                              ;   in Loop: Header=BB4_393 Depth=4
	v_mov_b32_e32 v160, 0
	s_mov_b32 s31, exec_lo
	v_cmpx_ne_u32_e32 0, v161
	s_cbranch_execz .LBB4_504
; %bb.499:                              ;   in Loop: Header=BB4_393 Depth=4
	v_bfe_u32 v160, v161, 23, 8
	s_delay_alu instid0(VALU_DEP_1) | instskip(SKIP_1) | instid1(VALU_DEP_2)
	v_sub_nc_u32_e32 v163, 0x78, v160
	v_cmp_gt_u32_e32 vcc_lo, 0x79, v160
	v_dual_cndmask_b32 v163, 0, v163 :: v_dual_and_b32 v162, 0x7fffff, v161
	s_delay_alu instid0(VALU_DEP_1) | instskip(SKIP_2) | instid1(VALU_DEP_4)
	v_or_b32_e32 v164, 0x800000, v162
	v_cmp_eq_u32_e32 vcc_lo, 0, v160
	v_add_nc_u32_e32 v160, 0xffffff89, v160
	v_cndmask_b32_e64 v163, v163, 0x77, vcc_lo
	s_delay_alu instid0(VALU_DEP_2) | instskip(SKIP_1) | instid1(VALU_DEP_3)
	v_cndmask_b32_e64 v160, v160, 0xffffff8a, vcc_lo
	v_cndmask_b32_e32 v162, v164, v162, vcc_lo
	v_lshl_add_u32 v164, 0x100000, v163, -1
	v_lshlrev_b32_e64 v167, v163, 0x80000
	s_delay_alu instid0(VALU_DEP_3) | instskip(SKIP_1) | instid1(VALU_DEP_4)
	v_lshrrev_b32_e32 v165, v163, v162
	v_add_nc_u32_e32 v163, v163, v160
	v_and_b32_e32 v162, v164, v162
	s_delay_alu instid0(VALU_DEP_3) | instskip(NEXT) | instid1(VALU_DEP_2)
	v_bfe_u32 v166, v165, 20, 1
	v_cmp_eq_u32_e64 s13, v162, v167
	s_delay_alu instid0(VALU_DEP_2) | instskip(NEXT) | instid1(VALU_DEP_1)
	v_add_nc_u32_e32 v164, -1, v166
	v_cndmask_b32_e64 v162, 0, v164, s13
	v_lshrrev_b32_e32 v164, 23, v165
	s_mov_b32 s13, exec_lo
	s_delay_alu instid0(VALU_DEP_2) | instskip(NEXT) | instid1(VALU_DEP_2)
	v_add_nc_u32_e32 v162, v162, v165
	v_xor_b32_e32 v164, 1, v164
	s_delay_alu instid0(VALU_DEP_2) | instskip(NEXT) | instid1(VALU_DEP_1)
	v_and_b32_e32 v160, 0xfffff, v162
	v_add_nc_u32_e32 v162, v160, v165
                                        ; implicit-def: $vgpr160
	s_delay_alu instid0(VALU_DEP_3)
	v_cmpx_ne_u32_e64 v163, v164
	s_xor_b32 s13, exec_lo, s13
; %bb.500:                              ;   in Loop: Header=BB4_393 Depth=4
	s_delay_alu instid0(VALU_DEP_2) | instskip(SKIP_2) | instid1(VALU_DEP_2)
	v_cmp_lt_u32_e32 vcc_lo, 0xffffff, v162
	v_sub_nc_u32_e32 v160, v163, v164
	v_cndmask_b32_e64 v163, 0, 1, vcc_lo
	v_add_co_ci_u32_e32 v160, vcc_lo, 0, v160, vcc_lo
	s_delay_alu instid0(VALU_DEP_2)
	v_lshrrev_b32_e32 v162, v163, v162
; %bb.501:                              ;   in Loop: Header=BB4_393 Depth=4
	s_and_not1_saveexec_b32 s13, s13
; %bb.502:                              ;   in Loop: Header=BB4_393 Depth=4
	s_delay_alu instid0(VALU_DEP_1)
	v_bfe_u32 v160, v162, 23, 1
; %bb.503:                              ;   in Loop: Header=BB4_393 Depth=4
	s_or_b32 exec_lo, exec_lo, s13
	v_lshrrev_b32_e32 v162, 20, v162
	s_delay_alu instid0(VALU_DEP_2) | instskip(SKIP_2) | instid1(VALU_DEP_2)
	v_cmp_gt_i32_e32 vcc_lo, 16, v160
	v_min_i32_e32 v163, 15, v160
	v_lshrrev_b32_e32 v161, 24, v161
	v_dual_cndmask_b32 v162, 7, v162 :: v_dual_lshlrev_b32 v163, 3, v163
	s_delay_alu instid0(VALU_DEP_2) | instskip(NEXT) | instid1(VALU_DEP_2)
	v_and_b32_e32 v161, 0x80, v161
	v_or_b32_e32 v160, v160, v162
	v_and_b32_e32 v164, 7, v162
	s_delay_alu instid0(VALU_DEP_2) | instskip(SKIP_1) | instid1(VALU_DEP_1)
	v_cmp_ne_u32_e32 vcc_lo, 0, v160
	v_and_b32_e32 v163, 0xf8, v163
	v_or3_b32 v161, v163, v161, v164
	s_delay_alu instid0(VALU_DEP_1)
	v_cndmask_b32_e32 v160, 0, v161, vcc_lo
.LBB4_504:                              ;   in Loop: Header=BB4_393 Depth=4
	s_or_b32 exec_lo, exec_lo, s31
.LBB4_505:                              ;   in Loop: Header=BB4_393 Depth=4
	s_delay_alu instid0(SALU_CYCLE_1) | instskip(SKIP_3) | instid1(VALU_DEP_1)
	s_or_b32 exec_lo, exec_lo, s29
	v_lshrrev_b32_e32 v162, 24, v21
	s_mov_b32 s13, 0
	s_mov_b32 s31, exec_lo
                                        ; implicit-def: $sgpr29
	v_cmpx_lt_i16_e64 0x7f, v162
	s_xor_b32 s31, exec_lo, s31
	s_cbranch_execnz .LBB4_959
; %bb.506:                              ;   in Loop: Header=BB4_393 Depth=4
	s_or_saveexec_b32 s31, s31
	v_mov_b32_e32 v161, s29
	s_xor_b32 exec_lo, exec_lo, s31
	s_cbranch_execnz .LBB4_962
.LBB4_507:                              ;   in Loop: Header=BB4_393 Depth=4
	s_or_b32 exec_lo, exec_lo, s31
	s_and_saveexec_b32 s29, s13
	s_cbranch_execz .LBB4_509
.LBB4_508:                              ;   in Loop: Header=BB4_393 Depth=4
	v_bfe_u32 v161, v21, 24, 3
	s_delay_alu instid0(VALU_DEP_1) | instskip(NEXT) | instid1(VALU_DEP_1)
	v_clz_i32_u32_e32 v163, v161
	v_min_u32_e32 v163, 32, v163
	s_delay_alu instid0(VALU_DEP_1) | instskip(SKIP_1) | instid1(VALU_DEP_2)
	v_subrev_nc_u32_e32 v164, 28, v163
	v_sub_nc_u32_e32 v163, 29, v163
	v_lshlrev_b32_e32 v162, v164, v162
	v_bfe_u32 v164, v21, 27, 4
	v_and_b32_e32 v21, 0x80000000, v21
	s_delay_alu instid0(VALU_DEP_2) | instskip(NEXT) | instid1(VALU_DEP_4)
	v_cmp_eq_u32_e32 vcc_lo, 0, v164
	v_dual_cndmask_b32 v163, v164, v163 :: v_dual_and_b32 v162, 7, v162
	s_delay_alu instid0(VALU_DEP_1) | instskip(NEXT) | instid1(VALU_DEP_2)
	v_cndmask_b32_e32 v161, v161, v162, vcc_lo
	v_lshl_add_u32 v162, v163, 23, 0x3b800000
	s_delay_alu instid0(VALU_DEP_2) | instskip(NEXT) | instid1(VALU_DEP_1)
	v_lshlrev_b32_e32 v161, 20, v161
	v_or3_b32 v161, v21, v162, v161
.LBB4_509:                              ;   in Loop: Header=BB4_393 Depth=4
	s_or_b32 exec_lo, exec_lo, s29
	v_lshrrev_b32_e32 v21, 24, v17
	s_mov_b32 s13, 0
	s_mov_b32 s31, exec_lo
                                        ; implicit-def: $sgpr29
	s_delay_alu instid0(VALU_DEP_1)
	v_cmpx_lt_i16_e32 0x7f, v21
	s_xor_b32 s31, exec_lo, s31
	s_cbranch_execnz .LBB4_963
; %bb.510:                              ;   in Loop: Header=BB4_393 Depth=4
	s_or_saveexec_b32 s31, s31
	v_mov_b32_e32 v162, s29
	s_xor_b32 exec_lo, exec_lo, s31
	s_cbranch_execnz .LBB4_966
.LBB4_511:                              ;   in Loop: Header=BB4_393 Depth=4
	s_or_b32 exec_lo, exec_lo, s31
	s_and_saveexec_b32 s29, s13
	s_cbranch_execz .LBB4_513
.LBB4_512:                              ;   in Loop: Header=BB4_393 Depth=4
	v_bfe_u32 v162, v17, 24, 3
	s_delay_alu instid0(VALU_DEP_1) | instskip(NEXT) | instid1(VALU_DEP_1)
	v_clz_i32_u32_e32 v163, v162
	v_min_u32_e32 v163, 32, v163
	s_delay_alu instid0(VALU_DEP_1) | instskip(SKIP_1) | instid1(VALU_DEP_2)
	v_subrev_nc_u32_e32 v164, 28, v163
	v_sub_nc_u32_e32 v163, 29, v163
	v_lshlrev_b32_e32 v21, v164, v21
	v_bfe_u32 v164, v17, 27, 4
	v_and_b32_e32 v17, 0x80000000, v17
	s_delay_alu instid0(VALU_DEP_3) | instskip(NEXT) | instid1(VALU_DEP_3)
	v_and_b32_e32 v21, 7, v21
	v_cmp_eq_u32_e32 vcc_lo, 0, v164
	v_cndmask_b32_e32 v163, v164, v163, vcc_lo
	s_delay_alu instid0(VALU_DEP_3) | instskip(NEXT) | instid1(VALU_DEP_2)
	v_cndmask_b32_e32 v21, v162, v21, vcc_lo
	v_lshl_add_u32 v162, v163, 23, 0x3b800000
	s_delay_alu instid0(VALU_DEP_2) | instskip(NEXT) | instid1(VALU_DEP_1)
	v_lshlrev_b32_e32 v21, 20, v21
	v_or3_b32 v162, v17, v162, v21
.LBB4_513:                              ;   in Loop: Header=BB4_393 Depth=4
	s_or_b32 exec_lo, exec_lo, s29
	s_delay_alu instid0(VALU_DEP_1) | instskip(NEXT) | instid1(VALU_DEP_1)
	v_add_f32_e32 v21, v161, v162
	v_and_b32_e32 v17, 0x7f800000, v21
	s_delay_alu instid0(VALU_DEP_1)
	v_cmp_ne_u32_e32 vcc_lo, 0x7f800000, v17
	v_mov_b32_e32 v17, 0x8000
	s_and_saveexec_b32 s29, vcc_lo
	s_cbranch_execz .LBB4_521
; %bb.514:                              ;   in Loop: Header=BB4_393 Depth=4
	v_mov_b32_e32 v17, 0
	s_mov_b32 s31, exec_lo
	v_cmpx_ne_u32_e32 0, v21
	s_cbranch_execz .LBB4_520
; %bb.515:                              ;   in Loop: Header=BB4_393 Depth=4
	v_bfe_u32 v17, v21, 23, 8
	s_delay_alu instid0(VALU_DEP_1) | instskip(SKIP_1) | instid1(VALU_DEP_2)
	v_sub_nc_u32_e32 v162, 0x78, v17
	v_cmp_gt_u32_e32 vcc_lo, 0x79, v17
	v_dual_cndmask_b32 v162, 0, v162 :: v_dual_and_b32 v161, 0x7fffff, v21
	s_delay_alu instid0(VALU_DEP_1) | instskip(SKIP_2) | instid1(VALU_DEP_4)
	v_or_b32_e32 v163, 0x800000, v161
	v_cmp_eq_u32_e32 vcc_lo, 0, v17
	v_add_nc_u32_e32 v17, 0xffffff89, v17
	v_cndmask_b32_e64 v162, v162, 0x77, vcc_lo
	s_delay_alu instid0(VALU_DEP_4) | instskip(NEXT) | instid1(VALU_DEP_3)
	v_cndmask_b32_e32 v161, v163, v161, vcc_lo
	v_cndmask_b32_e64 v17, v17, 0xffffff8a, vcc_lo
	s_delay_alu instid0(VALU_DEP_3) | instskip(NEXT) | instid1(VALU_DEP_3)
	v_lshl_add_u32 v163, 0x100000, v162, -1
	v_lshrrev_b32_e32 v164, v162, v161
	v_lshlrev_b32_e64 v166, v162, 0x80000
	s_delay_alu instid0(VALU_DEP_4) | instskip(NEXT) | instid1(VALU_DEP_4)
	v_add_nc_u32_e32 v162, v162, v17
	v_and_b32_e32 v161, v163, v161
	s_delay_alu instid0(VALU_DEP_4) | instskip(NEXT) | instid1(VALU_DEP_2)
	v_bfe_u32 v165, v164, 20, 1
	v_cmp_eq_u32_e64 s13, v161, v166
	s_delay_alu instid0(VALU_DEP_2) | instskip(NEXT) | instid1(VALU_DEP_1)
	v_add_nc_u32_e32 v163, -1, v165
	v_cndmask_b32_e64 v161, 0, v163, s13
	v_lshrrev_b32_e32 v163, 23, v164
	s_mov_b32 s13, exec_lo
	s_delay_alu instid0(VALU_DEP_2) | instskip(NEXT) | instid1(VALU_DEP_2)
	v_add_nc_u32_e32 v161, v161, v164
	v_xor_b32_e32 v163, 1, v163
	s_delay_alu instid0(VALU_DEP_2) | instskip(NEXT) | instid1(VALU_DEP_1)
	v_and_b32_e32 v17, 0xfffff, v161
	v_add_nc_u32_e32 v161, v17, v164
                                        ; implicit-def: $vgpr17
	s_delay_alu instid0(VALU_DEP_3)
	v_cmpx_ne_u32_e64 v162, v163
	s_xor_b32 s13, exec_lo, s13
; %bb.516:                              ;   in Loop: Header=BB4_393 Depth=4
	s_delay_alu instid0(VALU_DEP_2) | instskip(SKIP_2) | instid1(VALU_DEP_2)
	v_cmp_lt_u32_e32 vcc_lo, 0xffffff, v161
	v_sub_nc_u32_e32 v17, v162, v163
	v_cndmask_b32_e64 v162, 0, 1, vcc_lo
	v_add_co_ci_u32_e32 v17, vcc_lo, 0, v17, vcc_lo
	s_delay_alu instid0(VALU_DEP_2)
	v_lshrrev_b32_e32 v161, v162, v161
; %bb.517:                              ;   in Loop: Header=BB4_393 Depth=4
	s_and_not1_saveexec_b32 s13, s13
; %bb.518:                              ;   in Loop: Header=BB4_393 Depth=4
	s_delay_alu instid0(VALU_DEP_1)
	v_bfe_u32 v17, v161, 23, 1
; %bb.519:                              ;   in Loop: Header=BB4_393 Depth=4
	s_or_b32 exec_lo, exec_lo, s13
	v_lshrrev_b32_e32 v161, 20, v161
	s_delay_alu instid0(VALU_DEP_2) | instskip(SKIP_2) | instid1(VALU_DEP_2)
	v_cmp_gt_i32_e32 vcc_lo, 16, v17
	v_min_i32_e32 v162, 15, v17
	v_lshrrev_b32_e32 v21, 24, v21
	v_dual_cndmask_b32 v161, 7, v161 :: v_dual_lshlrev_b32 v162, 3, v162
	s_delay_alu instid0(VALU_DEP_2) | instskip(NEXT) | instid1(VALU_DEP_2)
	v_and_b32_e32 v21, 0x80, v21
	v_or_b32_e32 v17, v17, v161
	v_and_b32_e32 v163, 7, v161
	s_delay_alu instid0(VALU_DEP_2) | instskip(SKIP_1) | instid1(VALU_DEP_1)
	v_cmp_ne_u32_e32 vcc_lo, 0, v17
	v_and_b32_e32 v162, 0xf8, v162
	v_or3_b32 v21, v21, v162, v163
	s_delay_alu instid0(VALU_DEP_1) | instskip(NEXT) | instid1(VALU_DEP_1)
	v_lshlrev_b32_e32 v21, 8, v21
	v_cndmask_b32_e32 v17, 0, v21, vcc_lo
.LBB4_520:                              ;   in Loop: Header=BB4_393 Depth=4
	s_or_b32 exec_lo, exec_lo, s31
.LBB4_521:                              ;   in Loop: Header=BB4_393 Depth=4
	s_delay_alu instid0(SALU_CYCLE_1) | instskip(SKIP_3) | instid1(VALU_DEP_1)
	s_or_b32 exec_lo, exec_lo, s29
	v_and_b32_e32 v161, 0xff, v22
	s_mov_b32 s13, 0
	s_mov_b32 s31, exec_lo
                                        ; implicit-def: $sgpr29
	v_cmpx_lt_i16_e64 0x7f, v161
	s_xor_b32 s31, exec_lo, s31
	s_cbranch_execnz .LBB4_967
; %bb.522:                              ;   in Loop: Header=BB4_393 Depth=4
	s_or_saveexec_b32 s31, s31
	v_mov_b32_e32 v21, s29
	s_xor_b32 exec_lo, exec_lo, s31
	s_cbranch_execnz .LBB4_970
.LBB4_523:                              ;   in Loop: Header=BB4_393 Depth=4
	s_or_b32 exec_lo, exec_lo, s31
	s_and_saveexec_b32 s29, s13
	s_cbranch_execz .LBB4_525
.LBB4_524:                              ;   in Loop: Header=BB4_393 Depth=4
	v_and_b32_e32 v21, 7, v22
	v_bfe_u32 v163, v22, 3, 4
	v_lshlrev_b32_e32 v164, 24, v22
	s_delay_alu instid0(VALU_DEP_3) | instskip(NEXT) | instid1(VALU_DEP_3)
	v_clz_i32_u32_e32 v161, v21
	v_cmp_eq_u32_e32 vcc_lo, 0, v163
	s_delay_alu instid0(VALU_DEP_2) | instskip(NEXT) | instid1(VALU_DEP_1)
	v_min_u32_e32 v161, 32, v161
	v_subrev_nc_u32_e32 v162, 28, v161
	v_sub_nc_u32_e32 v161, 29, v161
	s_delay_alu instid0(VALU_DEP_1) | instskip(NEXT) | instid1(VALU_DEP_1)
	v_dual_cndmask_b32 v161, v163, v161 :: v_dual_lshlrev_b32 v162, v162, v22
	v_and_b32_e32 v162, 7, v162
	s_delay_alu instid0(VALU_DEP_2) | instskip(NEXT) | instid1(VALU_DEP_2)
	v_lshl_add_u32 v161, v161, 23, 0x3b800000
	v_dual_cndmask_b32 v21, v21, v162 :: v_dual_and_b32 v162, 0x80000000, v164
	s_delay_alu instid0(VALU_DEP_1) | instskip(NEXT) | instid1(VALU_DEP_1)
	v_lshlrev_b32_e32 v21, 20, v21
	v_or3_b32 v21, v162, v161, v21
.LBB4_525:                              ;   in Loop: Header=BB4_393 Depth=4
	s_or_b32 exec_lo, exec_lo, s29
	v_and_b32_e32 v162, 0xff, v18
	s_mov_b32 s13, 0
	s_mov_b32 s31, exec_lo
                                        ; implicit-def: $sgpr29
	s_delay_alu instid0(VALU_DEP_1)
	v_cmpx_lt_i16_e64 0x7f, v162
	s_xor_b32 s31, exec_lo, s31
	s_cbranch_execnz .LBB4_971
; %bb.526:                              ;   in Loop: Header=BB4_393 Depth=4
	s_or_saveexec_b32 s31, s31
	v_mov_b32_e32 v161, s29
	s_xor_b32 exec_lo, exec_lo, s31
	s_cbranch_execnz .LBB4_974
.LBB4_527:                              ;   in Loop: Header=BB4_393 Depth=4
	s_or_b32 exec_lo, exec_lo, s31
	s_and_saveexec_b32 s29, s13
	s_cbranch_execz .LBB4_529
.LBB4_528:                              ;   in Loop: Header=BB4_393 Depth=4
	v_and_b32_e32 v161, 7, v18
	v_bfe_u32 v164, v18, 3, 4
	v_lshlrev_b32_e32 v165, 24, v18
	s_delay_alu instid0(VALU_DEP_3) | instskip(NEXT) | instid1(VALU_DEP_3)
	v_clz_i32_u32_e32 v162, v161
	v_cmp_eq_u32_e32 vcc_lo, 0, v164
	s_delay_alu instid0(VALU_DEP_2) | instskip(NEXT) | instid1(VALU_DEP_1)
	v_min_u32_e32 v162, 32, v162
	v_subrev_nc_u32_e32 v163, 28, v162
	v_sub_nc_u32_e32 v162, 29, v162
	s_delay_alu instid0(VALU_DEP_2) | instskip(NEXT) | instid1(VALU_DEP_1)
	v_lshlrev_b32_e32 v163, v163, v18
	v_dual_cndmask_b32 v162, v164, v162 :: v_dual_and_b32 v163, 7, v163
	s_delay_alu instid0(VALU_DEP_1) | instskip(NEXT) | instid1(VALU_DEP_2)
	v_lshl_add_u32 v162, v162, 23, 0x3b800000
	v_cndmask_b32_e32 v161, v161, v163, vcc_lo
	v_and_b32_e32 v163, 0x80000000, v165
	s_delay_alu instid0(VALU_DEP_2) | instskip(NEXT) | instid1(VALU_DEP_1)
	v_lshlrev_b32_e32 v161, 20, v161
	v_or3_b32 v161, v163, v162, v161
.LBB4_529:                              ;   in Loop: Header=BB4_393 Depth=4
	s_or_b32 exec_lo, exec_lo, s29
	s_delay_alu instid0(VALU_DEP_1) | instskip(NEXT) | instid1(VALU_DEP_1)
	v_add_f32_e32 v161, v21, v161
	v_and_b32_e32 v21, 0x7f800000, v161
	s_delay_alu instid0(VALU_DEP_1)
	v_cmp_ne_u32_e32 vcc_lo, 0x7f800000, v21
	v_mov_b32_e32 v21, 0x80
	s_and_saveexec_b32 s29, vcc_lo
	s_cbranch_execz .LBB4_537
; %bb.530:                              ;   in Loop: Header=BB4_393 Depth=4
	v_mov_b32_e32 v21, 0
	s_mov_b32 s31, exec_lo
	v_cmpx_ne_u32_e32 0, v161
	s_cbranch_execz .LBB4_536
; %bb.531:                              ;   in Loop: Header=BB4_393 Depth=4
	v_bfe_u32 v21, v161, 23, 8
	s_delay_alu instid0(VALU_DEP_1) | instskip(SKIP_1) | instid1(VALU_DEP_2)
	v_sub_nc_u32_e32 v163, 0x78, v21
	v_cmp_gt_u32_e32 vcc_lo, 0x79, v21
	v_dual_cndmask_b32 v163, 0, v163 :: v_dual_and_b32 v162, 0x7fffff, v161
	s_delay_alu instid0(VALU_DEP_1) | instskip(SKIP_2) | instid1(VALU_DEP_4)
	v_or_b32_e32 v164, 0x800000, v162
	v_cmp_eq_u32_e32 vcc_lo, 0, v21
	v_add_nc_u32_e32 v21, 0xffffff89, v21
	v_cndmask_b32_e64 v163, v163, 0x77, vcc_lo
	s_delay_alu instid0(VALU_DEP_4) | instskip(NEXT) | instid1(VALU_DEP_3)
	v_cndmask_b32_e32 v162, v164, v162, vcc_lo
	v_cndmask_b32_e64 v21, v21, 0xffffff8a, vcc_lo
	s_delay_alu instid0(VALU_DEP_3) | instskip(NEXT) | instid1(VALU_DEP_3)
	v_lshl_add_u32 v164, 0x100000, v163, -1
	v_lshrrev_b32_e32 v165, v163, v162
	v_lshlrev_b32_e64 v167, v163, 0x80000
	s_delay_alu instid0(VALU_DEP_4) | instskip(NEXT) | instid1(VALU_DEP_4)
	v_add_nc_u32_e32 v163, v163, v21
	v_and_b32_e32 v162, v164, v162
	s_delay_alu instid0(VALU_DEP_4) | instskip(NEXT) | instid1(VALU_DEP_2)
	v_bfe_u32 v166, v165, 20, 1
	v_cmp_eq_u32_e64 s13, v162, v167
	s_delay_alu instid0(VALU_DEP_2) | instskip(NEXT) | instid1(VALU_DEP_1)
	v_add_nc_u32_e32 v164, -1, v166
	v_cndmask_b32_e64 v162, 0, v164, s13
	v_lshrrev_b32_e32 v164, 23, v165
	s_mov_b32 s13, exec_lo
	s_delay_alu instid0(VALU_DEP_2) | instskip(NEXT) | instid1(VALU_DEP_2)
	v_add_nc_u32_e32 v162, v162, v165
	v_xor_b32_e32 v164, 1, v164
	s_delay_alu instid0(VALU_DEP_2) | instskip(NEXT) | instid1(VALU_DEP_1)
	v_and_b32_e32 v21, 0xfffff, v162
	v_add_nc_u32_e32 v162, v21, v165
                                        ; implicit-def: $vgpr21
	s_delay_alu instid0(VALU_DEP_3)
	v_cmpx_ne_u32_e64 v163, v164
	s_xor_b32 s13, exec_lo, s13
; %bb.532:                              ;   in Loop: Header=BB4_393 Depth=4
	s_delay_alu instid0(VALU_DEP_2) | instskip(SKIP_2) | instid1(VALU_DEP_2)
	v_cmp_lt_u32_e32 vcc_lo, 0xffffff, v162
	v_sub_nc_u32_e32 v21, v163, v164
	v_cndmask_b32_e64 v163, 0, 1, vcc_lo
	v_add_co_ci_u32_e32 v21, vcc_lo, 0, v21, vcc_lo
	s_delay_alu instid0(VALU_DEP_2)
	v_lshrrev_b32_e32 v162, v163, v162
; %bb.533:                              ;   in Loop: Header=BB4_393 Depth=4
	s_and_not1_saveexec_b32 s13, s13
; %bb.534:                              ;   in Loop: Header=BB4_393 Depth=4
	s_delay_alu instid0(VALU_DEP_1)
	v_bfe_u32 v21, v162, 23, 1
; %bb.535:                              ;   in Loop: Header=BB4_393 Depth=4
	s_or_b32 exec_lo, exec_lo, s13
	v_lshrrev_b32_e32 v162, 20, v162
	s_delay_alu instid0(VALU_DEP_2) | instskip(SKIP_2) | instid1(VALU_DEP_2)
	v_cmp_gt_i32_e32 vcc_lo, 16, v21
	v_lshrrev_b32_e32 v161, 24, v161
	v_min_i32_e32 v163, 15, v21
	v_dual_cndmask_b32 v162, 7, v162 :: v_dual_and_b32 v161, 0x80, v161
	s_delay_alu instid0(VALU_DEP_2) | instskip(NEXT) | instid1(VALU_DEP_2)
	v_lshlrev_b32_e32 v163, 3, v163
	v_or_b32_e32 v21, v21, v162
	s_delay_alu instid0(VALU_DEP_1) | instskip(SKIP_1) | instid1(VALU_DEP_1)
	v_cmp_ne_u32_e32 vcc_lo, 0, v21
	v_and_b32_e32 v164, 7, v162
	v_or3_b32 v161, v163, v161, v164
	s_delay_alu instid0(VALU_DEP_1)
	v_cndmask_b32_e32 v21, 0, v161, vcc_lo
.LBB4_536:                              ;   in Loop: Header=BB4_393 Depth=4
	s_or_b32 exec_lo, exec_lo, s31
.LBB4_537:                              ;   in Loop: Header=BB4_393 Depth=4
	s_delay_alu instid0(SALU_CYCLE_1) | instskip(SKIP_3) | instid1(VALU_DEP_1)
	s_or_b32 exec_lo, exec_lo, s29
	v_lshrrev_b16 v162, 8, v22
	s_mov_b32 s13, 0
	s_mov_b32 s31, exec_lo
                                        ; implicit-def: $sgpr29
	v_cmpx_lt_i16_e64 0x7f, v162
	s_xor_b32 s31, exec_lo, s31
	s_cbranch_execnz .LBB4_975
; %bb.538:                              ;   in Loop: Header=BB4_393 Depth=4
	s_or_saveexec_b32 s31, s31
	v_mov_b32_e32 v161, s29
	s_xor_b32 exec_lo, exec_lo, s31
	s_cbranch_execnz .LBB4_978
.LBB4_539:                              ;   in Loop: Header=BB4_393 Depth=4
	s_or_b32 exec_lo, exec_lo, s31
	s_and_saveexec_b32 s29, s13
	s_cbranch_execz .LBB4_541
.LBB4_540:                              ;   in Loop: Header=BB4_393 Depth=4
	v_and_b32_e32 v161, 0xffff, v162
	s_delay_alu instid0(VALU_DEP_1) | instskip(NEXT) | instid1(VALU_DEP_1)
	v_and_b32_e32 v163, 7, v161
	v_clz_i32_u32_e32 v164, v163
	s_delay_alu instid0(VALU_DEP_1) | instskip(NEXT) | instid1(VALU_DEP_1)
	v_min_u32_e32 v164, 32, v164
	v_subrev_nc_u32_e32 v165, 28, v164
	v_sub_nc_u32_e32 v164, 29, v164
	s_delay_alu instid0(VALU_DEP_2) | instskip(SKIP_1) | instid1(VALU_DEP_2)
	v_lshlrev_b32_e32 v165, v165, v161
	v_bfe_u32 v161, v161, 3, 4
	v_and_b32_e32 v165, 7, v165
	s_delay_alu instid0(VALU_DEP_2) | instskip(SKIP_1) | instid1(VALU_DEP_1)
	v_cmp_eq_u32_e32 vcc_lo, 0, v161
	v_dual_cndmask_b32 v161, v161, v164 :: v_dual_lshlrev_b32 v162, 24, v162
	v_dual_cndmask_b32 v163, v163, v165 :: v_dual_and_b32 v162, 0x80000000, v162
	s_delay_alu instid0(VALU_DEP_2) | instskip(NEXT) | instid1(VALU_DEP_2)
	v_lshl_add_u32 v161, v161, 23, 0x3b800000
	v_lshlrev_b32_e32 v163, 20, v163
	s_delay_alu instid0(VALU_DEP_1)
	v_or3_b32 v161, v162, v161, v163
.LBB4_541:                              ;   in Loop: Header=BB4_393 Depth=4
	s_or_b32 exec_lo, exec_lo, s29
	v_lshrrev_b16 v162, 8, v18
	s_mov_b32 s13, 0
	s_mov_b32 s31, exec_lo
                                        ; implicit-def: $sgpr29
	s_delay_alu instid0(VALU_DEP_1)
	v_cmpx_lt_i16_e64 0x7f, v162
	s_xor_b32 s31, exec_lo, s31
	s_cbranch_execnz .LBB4_979
; %bb.542:                              ;   in Loop: Header=BB4_393 Depth=4
	s_or_saveexec_b32 s31, s31
	v_mov_b32_e32 v163, s29
	s_xor_b32 exec_lo, exec_lo, s31
	s_cbranch_execnz .LBB4_982
.LBB4_543:                              ;   in Loop: Header=BB4_393 Depth=4
	s_or_b32 exec_lo, exec_lo, s31
	s_and_saveexec_b32 s29, s13
	s_cbranch_execz .LBB4_545
.LBB4_544:                              ;   in Loop: Header=BB4_393 Depth=4
	v_and_b32_e32 v163, 0xffff, v162
	v_lshlrev_b32_e32 v162, 24, v162
	s_delay_alu instid0(VALU_DEP_2) | instskip(NEXT) | instid1(VALU_DEP_2)
	v_and_b32_e32 v164, 7, v163
	v_and_b32_e32 v162, 0x80000000, v162
	s_delay_alu instid0(VALU_DEP_2) | instskip(NEXT) | instid1(VALU_DEP_1)
	v_clz_i32_u32_e32 v165, v164
	v_min_u32_e32 v165, 32, v165
	s_delay_alu instid0(VALU_DEP_1) | instskip(SKIP_1) | instid1(VALU_DEP_2)
	v_subrev_nc_u32_e32 v166, 28, v165
	v_sub_nc_u32_e32 v165, 29, v165
	v_lshlrev_b32_e32 v166, v166, v163
	v_bfe_u32 v163, v163, 3, 4
	s_delay_alu instid0(VALU_DEP_2) | instskip(NEXT) | instid1(VALU_DEP_2)
	v_and_b32_e32 v166, 7, v166
	v_cmp_eq_u32_e32 vcc_lo, 0, v163
	s_delay_alu instid0(VALU_DEP_2) | instskip(NEXT) | instid1(VALU_DEP_1)
	v_dual_cndmask_b32 v163, v163, v165 :: v_dual_cndmask_b32 v164, v164, v166
	v_lshl_add_u32 v163, v163, 23, 0x3b800000
	s_delay_alu instid0(VALU_DEP_2) | instskip(NEXT) | instid1(VALU_DEP_1)
	v_lshlrev_b32_e32 v164, 20, v164
	v_or3_b32 v163, v162, v163, v164
.LBB4_545:                              ;   in Loop: Header=BB4_393 Depth=4
	s_or_b32 exec_lo, exec_lo, s29
	s_delay_alu instid0(VALU_DEP_1) | instskip(NEXT) | instid1(VALU_DEP_1)
	v_add_f32_e32 v162, v161, v163
	v_and_b32_e32 v161, 0x7f800000, v162
	s_delay_alu instid0(VALU_DEP_1)
	v_cmp_ne_u32_e32 vcc_lo, 0x7f800000, v161
	v_mov_b32_e32 v161, 0x80
	s_and_saveexec_b32 s29, vcc_lo
	s_cbranch_execz .LBB4_553
; %bb.546:                              ;   in Loop: Header=BB4_393 Depth=4
	v_mov_b32_e32 v161, 0
	s_mov_b32 s31, exec_lo
	v_cmpx_ne_u32_e32 0, v162
	s_cbranch_execz .LBB4_552
; %bb.547:                              ;   in Loop: Header=BB4_393 Depth=4
	v_bfe_u32 v161, v162, 23, 8
	s_delay_alu instid0(VALU_DEP_1) | instskip(SKIP_1) | instid1(VALU_DEP_2)
	v_sub_nc_u32_e32 v164, 0x78, v161
	v_cmp_gt_u32_e32 vcc_lo, 0x79, v161
	v_dual_cndmask_b32 v164, 0, v164 :: v_dual_and_b32 v163, 0x7fffff, v162
	s_delay_alu instid0(VALU_DEP_1) | instskip(SKIP_2) | instid1(VALU_DEP_4)
	v_or_b32_e32 v165, 0x800000, v163
	v_cmp_eq_u32_e32 vcc_lo, 0, v161
	v_add_nc_u32_e32 v161, 0xffffff89, v161
	v_cndmask_b32_e64 v164, v164, 0x77, vcc_lo
	s_delay_alu instid0(VALU_DEP_2) | instskip(SKIP_1) | instid1(VALU_DEP_3)
	v_cndmask_b32_e64 v161, v161, 0xffffff8a, vcc_lo
	v_cndmask_b32_e32 v163, v165, v163, vcc_lo
	v_lshl_add_u32 v165, 0x100000, v164, -1
	v_lshlrev_b32_e64 v176, v164, 0x80000
	s_delay_alu instid0(VALU_DEP_3) | instskip(SKIP_1) | instid1(VALU_DEP_4)
	v_lshrrev_b32_e32 v166, v164, v163
	v_add_nc_u32_e32 v164, v164, v161
	v_and_b32_e32 v163, v165, v163
	s_delay_alu instid0(VALU_DEP_3) | instskip(NEXT) | instid1(VALU_DEP_2)
	v_bfe_u32 v167, v166, 20, 1
	v_cmp_eq_u32_e64 s13, v163, v176
	s_delay_alu instid0(VALU_DEP_2) | instskip(NEXT) | instid1(VALU_DEP_1)
	v_add_nc_u32_e32 v165, -1, v167
	v_cndmask_b32_e64 v163, 0, v165, s13
	v_lshrrev_b32_e32 v165, 23, v166
	s_mov_b32 s13, exec_lo
	s_delay_alu instid0(VALU_DEP_2) | instskip(NEXT) | instid1(VALU_DEP_2)
	v_add_nc_u32_e32 v163, v163, v166
	v_xor_b32_e32 v165, 1, v165
	s_delay_alu instid0(VALU_DEP_2) | instskip(NEXT) | instid1(VALU_DEP_1)
	v_and_b32_e32 v161, 0xfffff, v163
	v_add_nc_u32_e32 v163, v161, v166
                                        ; implicit-def: $vgpr161
	s_delay_alu instid0(VALU_DEP_3)
	v_cmpx_ne_u32_e64 v164, v165
	s_xor_b32 s13, exec_lo, s13
; %bb.548:                              ;   in Loop: Header=BB4_393 Depth=4
	s_delay_alu instid0(VALU_DEP_2) | instskip(SKIP_2) | instid1(VALU_DEP_2)
	v_cmp_lt_u32_e32 vcc_lo, 0xffffff, v163
	v_sub_nc_u32_e32 v161, v164, v165
	v_cndmask_b32_e64 v164, 0, 1, vcc_lo
	v_add_co_ci_u32_e32 v161, vcc_lo, 0, v161, vcc_lo
	s_delay_alu instid0(VALU_DEP_2)
	v_lshrrev_b32_e32 v163, v164, v163
; %bb.549:                              ;   in Loop: Header=BB4_393 Depth=4
	s_and_not1_saveexec_b32 s13, s13
; %bb.550:                              ;   in Loop: Header=BB4_393 Depth=4
	s_delay_alu instid0(VALU_DEP_1)
	v_bfe_u32 v161, v163, 23, 1
; %bb.551:                              ;   in Loop: Header=BB4_393 Depth=4
	s_or_b32 exec_lo, exec_lo, s13
	v_lshrrev_b32_e32 v163, 20, v163
	s_delay_alu instid0(VALU_DEP_2) | instskip(SKIP_2) | instid1(VALU_DEP_2)
	v_cmp_gt_i32_e32 vcc_lo, 16, v161
	v_lshrrev_b32_e32 v162, 24, v162
	v_min_i32_e32 v164, 15, v161
	v_dual_cndmask_b32 v163, 7, v163 :: v_dual_and_b32 v162, 0x80, v162
	s_delay_alu instid0(VALU_DEP_1) | instskip(SKIP_1) | instid1(VALU_DEP_2)
	v_or_b32_e32 v161, v161, v163
	v_and_b32_e32 v165, 7, v163
	v_cmp_ne_u32_e32 vcc_lo, 0, v161
	v_lshlrev_b32_e32 v164, 3, v164
	s_delay_alu instid0(VALU_DEP_1) | instskip(NEXT) | instid1(VALU_DEP_1)
	v_or3_b32 v162, v164, v162, v165
	v_cndmask_b32_e32 v161, 0, v162, vcc_lo
.LBB4_552:                              ;   in Loop: Header=BB4_393 Depth=4
	s_or_b32 exec_lo, exec_lo, s31
.LBB4_553:                              ;   in Loop: Header=BB4_393 Depth=4
	s_delay_alu instid0(SALU_CYCLE_1) | instskip(SKIP_3) | instid1(VALU_DEP_1)
	s_or_b32 exec_lo, exec_lo, s29
	v_lshrrev_b32_e32 v163, 16, v22
	s_mov_b32 s13, 0
	s_mov_b32 s31, exec_lo
                                        ; implicit-def: $sgpr29
	v_and_b32_e32 v164, 0xff, v163
	s_delay_alu instid0(VALU_DEP_1)
	v_cmpx_lt_i16_e64 0x7f, v164
	s_xor_b32 s31, exec_lo, s31
	s_cbranch_execnz .LBB4_983
; %bb.554:                              ;   in Loop: Header=BB4_393 Depth=4
	s_or_saveexec_b32 s31, s31
	v_mov_b32_e32 v162, s29
	s_xor_b32 exec_lo, exec_lo, s31
	s_cbranch_execnz .LBB4_986
.LBB4_555:                              ;   in Loop: Header=BB4_393 Depth=4
	s_or_b32 exec_lo, exec_lo, s31
	s_and_saveexec_b32 s29, s13
	s_cbranch_execz .LBB4_557
.LBB4_556:                              ;   in Loop: Header=BB4_393 Depth=4
	v_bfe_u32 v162, v22, 16, 3
	v_lshlrev_b32_e32 v166, 8, v22
	s_delay_alu instid0(VALU_DEP_2) | instskip(NEXT) | instid1(VALU_DEP_1)
	v_clz_i32_u32_e32 v164, v162
	v_min_u32_e32 v164, 32, v164
	s_delay_alu instid0(VALU_DEP_1) | instskip(SKIP_1) | instid1(VALU_DEP_2)
	v_subrev_nc_u32_e32 v165, 28, v164
	v_sub_nc_u32_e32 v164, 29, v164
	v_lshlrev_b32_e32 v163, v165, v163
	v_bfe_u32 v165, v22, 19, 4
	s_delay_alu instid0(VALU_DEP_1) | instskip(NEXT) | instid1(VALU_DEP_3)
	v_cmp_eq_u32_e32 vcc_lo, 0, v165
	v_dual_cndmask_b32 v164, v165, v164 :: v_dual_and_b32 v163, 7, v163
	s_delay_alu instid0(VALU_DEP_1) | instskip(NEXT) | instid1(VALU_DEP_2)
	v_dual_cndmask_b32 v162, v162, v163 :: v_dual_and_b32 v163, 0x80000000, v166
	v_lshl_add_u32 v164, v164, 23, 0x3b800000
	s_delay_alu instid0(VALU_DEP_2) | instskip(NEXT) | instid1(VALU_DEP_1)
	v_lshlrev_b32_e32 v162, 20, v162
	v_or3_b32 v162, v163, v164, v162
.LBB4_557:                              ;   in Loop: Header=BB4_393 Depth=4
	s_or_b32 exec_lo, exec_lo, s29
	v_lshrrev_b32_e32 v163, 16, v18
	s_mov_b32 s13, 0
	s_mov_b32 s31, exec_lo
                                        ; implicit-def: $sgpr29
	s_delay_alu instid0(VALU_DEP_1) | instskip(NEXT) | instid1(VALU_DEP_1)
	v_and_b32_e32 v165, 0xff, v163
	v_cmpx_lt_i16_e64 0x7f, v165
	s_xor_b32 s31, exec_lo, s31
	s_cbranch_execnz .LBB4_987
; %bb.558:                              ;   in Loop: Header=BB4_393 Depth=4
	s_or_saveexec_b32 s31, s31
	v_mov_b32_e32 v164, s29
	s_xor_b32 exec_lo, exec_lo, s31
	s_cbranch_execnz .LBB4_990
.LBB4_559:                              ;   in Loop: Header=BB4_393 Depth=4
	s_or_b32 exec_lo, exec_lo, s31
	s_and_saveexec_b32 s29, s13
	s_cbranch_execz .LBB4_561
.LBB4_560:                              ;   in Loop: Header=BB4_393 Depth=4
	v_bfe_u32 v164, v18, 16, 3
	v_lshlrev_b32_e32 v167, 8, v18
	s_delay_alu instid0(VALU_DEP_2) | instskip(NEXT) | instid1(VALU_DEP_1)
	v_clz_i32_u32_e32 v165, v164
	v_min_u32_e32 v165, 32, v165
	s_delay_alu instid0(VALU_DEP_1) | instskip(SKIP_1) | instid1(VALU_DEP_2)
	v_subrev_nc_u32_e32 v166, 28, v165
	v_sub_nc_u32_e32 v165, 29, v165
	v_lshlrev_b32_e32 v163, v166, v163
	v_bfe_u32 v166, v18, 19, 4
	s_delay_alu instid0(VALU_DEP_2) | instskip(NEXT) | instid1(VALU_DEP_2)
	v_and_b32_e32 v163, 7, v163
	v_cmp_eq_u32_e32 vcc_lo, 0, v166
	v_cndmask_b32_e32 v165, v166, v165, vcc_lo
	s_delay_alu instid0(VALU_DEP_3) | instskip(SKIP_1) | instid1(VALU_DEP_3)
	v_cndmask_b32_e32 v163, v164, v163, vcc_lo
	v_and_b32_e32 v164, 0x80000000, v167
	v_lshl_add_u32 v165, v165, 23, 0x3b800000
	s_delay_alu instid0(VALU_DEP_3) | instskip(NEXT) | instid1(VALU_DEP_1)
	v_lshlrev_b32_e32 v163, 20, v163
	v_or3_b32 v164, v164, v165, v163
.LBB4_561:                              ;   in Loop: Header=BB4_393 Depth=4
	s_or_b32 exec_lo, exec_lo, s29
	s_delay_alu instid0(VALU_DEP_1) | instskip(NEXT) | instid1(VALU_DEP_1)
	v_add_f32_e32 v163, v162, v164
	v_and_b32_e32 v162, 0x7f800000, v163
	s_delay_alu instid0(VALU_DEP_1)
	v_cmp_ne_u32_e32 vcc_lo, 0x7f800000, v162
	v_mov_b32_e32 v162, 0x80
	s_and_saveexec_b32 s29, vcc_lo
	s_cbranch_execz .LBB4_569
; %bb.562:                              ;   in Loop: Header=BB4_393 Depth=4
	v_mov_b32_e32 v162, 0
	s_mov_b32 s31, exec_lo
	v_cmpx_ne_u32_e32 0, v163
	s_cbranch_execz .LBB4_568
; %bb.563:                              ;   in Loop: Header=BB4_393 Depth=4
	v_bfe_u32 v162, v163, 23, 8
	s_delay_alu instid0(VALU_DEP_1) | instskip(SKIP_1) | instid1(VALU_DEP_2)
	v_sub_nc_u32_e32 v165, 0x78, v162
	v_cmp_gt_u32_e32 vcc_lo, 0x79, v162
	v_dual_cndmask_b32 v165, 0, v165 :: v_dual_and_b32 v164, 0x7fffff, v163
	s_delay_alu instid0(VALU_DEP_1) | instskip(SKIP_2) | instid1(VALU_DEP_4)
	v_or_b32_e32 v166, 0x800000, v164
	v_cmp_eq_u32_e32 vcc_lo, 0, v162
	v_add_nc_u32_e32 v162, 0xffffff89, v162
	v_cndmask_b32_e64 v165, v165, 0x77, vcc_lo
	s_delay_alu instid0(VALU_DEP_2) | instskip(SKIP_1) | instid1(VALU_DEP_3)
	v_cndmask_b32_e64 v162, v162, 0xffffff8a, vcc_lo
	v_cndmask_b32_e32 v164, v166, v164, vcc_lo
	v_lshl_add_u32 v166, 0x100000, v165, -1
	v_lshlrev_b32_e64 v177, v165, 0x80000
	s_delay_alu instid0(VALU_DEP_3) | instskip(SKIP_1) | instid1(VALU_DEP_4)
	v_lshrrev_b32_e32 v167, v165, v164
	v_add_nc_u32_e32 v165, v165, v162
	v_and_b32_e32 v164, v166, v164
	s_delay_alu instid0(VALU_DEP_3) | instskip(NEXT) | instid1(VALU_DEP_2)
	v_bfe_u32 v176, v167, 20, 1
	v_cmp_eq_u32_e64 s13, v164, v177
	s_delay_alu instid0(VALU_DEP_2) | instskip(NEXT) | instid1(VALU_DEP_1)
	v_add_nc_u32_e32 v166, -1, v176
	v_cndmask_b32_e64 v164, 0, v166, s13
	v_lshrrev_b32_e32 v166, 23, v167
	s_mov_b32 s13, exec_lo
	s_delay_alu instid0(VALU_DEP_2) | instskip(NEXT) | instid1(VALU_DEP_2)
	v_add_nc_u32_e32 v164, v164, v167
	v_xor_b32_e32 v166, 1, v166
	s_delay_alu instid0(VALU_DEP_2) | instskip(NEXT) | instid1(VALU_DEP_1)
	v_and_b32_e32 v162, 0xfffff, v164
	v_add_nc_u32_e32 v164, v162, v167
                                        ; implicit-def: $vgpr162
	s_delay_alu instid0(VALU_DEP_3)
	v_cmpx_ne_u32_e64 v165, v166
	s_xor_b32 s13, exec_lo, s13
; %bb.564:                              ;   in Loop: Header=BB4_393 Depth=4
	s_delay_alu instid0(VALU_DEP_2) | instskip(SKIP_2) | instid1(VALU_DEP_2)
	v_cmp_lt_u32_e32 vcc_lo, 0xffffff, v164
	v_sub_nc_u32_e32 v162, v165, v166
	v_cndmask_b32_e64 v165, 0, 1, vcc_lo
	v_add_co_ci_u32_e32 v162, vcc_lo, 0, v162, vcc_lo
	s_delay_alu instid0(VALU_DEP_2)
	v_lshrrev_b32_e32 v164, v165, v164
; %bb.565:                              ;   in Loop: Header=BB4_393 Depth=4
	s_and_not1_saveexec_b32 s13, s13
; %bb.566:                              ;   in Loop: Header=BB4_393 Depth=4
	s_delay_alu instid0(VALU_DEP_1)
	v_bfe_u32 v162, v164, 23, 1
; %bb.567:                              ;   in Loop: Header=BB4_393 Depth=4
	s_or_b32 exec_lo, exec_lo, s13
	v_lshrrev_b32_e32 v164, 20, v164
	s_delay_alu instid0(VALU_DEP_2) | instskip(SKIP_2) | instid1(VALU_DEP_2)
	v_cmp_gt_i32_e32 vcc_lo, 16, v162
	v_lshrrev_b32_e32 v163, 24, v163
	v_min_i32_e32 v165, 15, v162
	v_dual_cndmask_b32 v164, 7, v164 :: v_dual_and_b32 v163, 0x80, v163
	s_delay_alu instid0(VALU_DEP_1) | instskip(SKIP_1) | instid1(VALU_DEP_2)
	v_or_b32_e32 v162, v162, v164
	v_and_b32_e32 v166, 7, v164
	v_cmp_ne_u32_e32 vcc_lo, 0, v162
	v_lshlrev_b32_e32 v165, 3, v165
	s_delay_alu instid0(VALU_DEP_1) | instskip(NEXT) | instid1(VALU_DEP_1)
	v_or3_b32 v163, v165, v163, v166
	v_cndmask_b32_e32 v162, 0, v163, vcc_lo
.LBB4_568:                              ;   in Loop: Header=BB4_393 Depth=4
	s_or_b32 exec_lo, exec_lo, s31
.LBB4_569:                              ;   in Loop: Header=BB4_393 Depth=4
	s_delay_alu instid0(SALU_CYCLE_1) | instskip(SKIP_3) | instid1(VALU_DEP_1)
	s_or_b32 exec_lo, exec_lo, s29
	v_lshrrev_b32_e32 v164, 24, v22
	s_mov_b32 s13, 0
	s_mov_b32 s31, exec_lo
                                        ; implicit-def: $sgpr29
	v_cmpx_lt_i16_e64 0x7f, v164
	s_xor_b32 s31, exec_lo, s31
	s_cbranch_execnz .LBB4_991
; %bb.570:                              ;   in Loop: Header=BB4_393 Depth=4
	s_or_saveexec_b32 s31, s31
	v_mov_b32_e32 v163, s29
	s_xor_b32 exec_lo, exec_lo, s31
	s_cbranch_execnz .LBB4_994
.LBB4_571:                              ;   in Loop: Header=BB4_393 Depth=4
	s_or_b32 exec_lo, exec_lo, s31
	s_and_saveexec_b32 s29, s13
	s_cbranch_execz .LBB4_573
.LBB4_572:                              ;   in Loop: Header=BB4_393 Depth=4
	v_bfe_u32 v163, v22, 24, 3
	s_delay_alu instid0(VALU_DEP_1) | instskip(NEXT) | instid1(VALU_DEP_1)
	v_clz_i32_u32_e32 v165, v163
	v_min_u32_e32 v165, 32, v165
	s_delay_alu instid0(VALU_DEP_1) | instskip(SKIP_1) | instid1(VALU_DEP_2)
	v_subrev_nc_u32_e32 v166, 28, v165
	v_sub_nc_u32_e32 v165, 29, v165
	v_lshlrev_b32_e32 v164, v166, v164
	v_bfe_u32 v166, v22, 27, 4
	v_and_b32_e32 v22, 0x80000000, v22
	s_delay_alu instid0(VALU_DEP_2) | instskip(NEXT) | instid1(VALU_DEP_4)
	v_cmp_eq_u32_e32 vcc_lo, 0, v166
	v_dual_cndmask_b32 v165, v166, v165 :: v_dual_and_b32 v164, 7, v164
	s_delay_alu instid0(VALU_DEP_1) | instskip(NEXT) | instid1(VALU_DEP_2)
	v_cndmask_b32_e32 v163, v163, v164, vcc_lo
	v_lshl_add_u32 v164, v165, 23, 0x3b800000
	s_delay_alu instid0(VALU_DEP_2) | instskip(NEXT) | instid1(VALU_DEP_1)
	v_lshlrev_b32_e32 v163, 20, v163
	v_or3_b32 v163, v22, v164, v163
.LBB4_573:                              ;   in Loop: Header=BB4_393 Depth=4
	s_or_b32 exec_lo, exec_lo, s29
	v_lshrrev_b32_e32 v22, 24, v18
	s_mov_b32 s13, 0
	s_mov_b32 s31, exec_lo
                                        ; implicit-def: $sgpr29
	s_delay_alu instid0(VALU_DEP_1)
	v_cmpx_lt_i16_e32 0x7f, v22
	s_xor_b32 s31, exec_lo, s31
	s_cbranch_execnz .LBB4_995
; %bb.574:                              ;   in Loop: Header=BB4_393 Depth=4
	s_or_saveexec_b32 s31, s31
	v_mov_b32_e32 v164, s29
	s_xor_b32 exec_lo, exec_lo, s31
	s_cbranch_execnz .LBB4_998
.LBB4_575:                              ;   in Loop: Header=BB4_393 Depth=4
	s_or_b32 exec_lo, exec_lo, s31
	s_and_saveexec_b32 s29, s13
	s_cbranch_execz .LBB4_577
.LBB4_576:                              ;   in Loop: Header=BB4_393 Depth=4
	v_bfe_u32 v164, v18, 24, 3
	s_delay_alu instid0(VALU_DEP_1) | instskip(NEXT) | instid1(VALU_DEP_1)
	v_clz_i32_u32_e32 v165, v164
	v_min_u32_e32 v165, 32, v165
	s_delay_alu instid0(VALU_DEP_1) | instskip(SKIP_1) | instid1(VALU_DEP_2)
	v_subrev_nc_u32_e32 v166, 28, v165
	v_sub_nc_u32_e32 v165, 29, v165
	v_lshlrev_b32_e32 v22, v166, v22
	v_bfe_u32 v166, v18, 27, 4
	v_and_b32_e32 v18, 0x80000000, v18
	s_delay_alu instid0(VALU_DEP_2) | instskip(NEXT) | instid1(VALU_DEP_4)
	v_cmp_eq_u32_e32 vcc_lo, 0, v166
	v_dual_cndmask_b32 v165, v166, v165 :: v_dual_and_b32 v22, 7, v22
	s_delay_alu instid0(VALU_DEP_1) | instskip(NEXT) | instid1(VALU_DEP_2)
	v_cndmask_b32_e32 v22, v164, v22, vcc_lo
	v_lshl_add_u32 v164, v165, 23, 0x3b800000
	s_delay_alu instid0(VALU_DEP_2) | instskip(NEXT) | instid1(VALU_DEP_1)
	v_lshlrev_b32_e32 v22, 20, v22
	v_or3_b32 v164, v18, v164, v22
.LBB4_577:                              ;   in Loop: Header=BB4_393 Depth=4
	s_or_b32 exec_lo, exec_lo, s29
	s_delay_alu instid0(VALU_DEP_1) | instskip(NEXT) | instid1(VALU_DEP_1)
	v_add_f32_e32 v22, v163, v164
	v_and_b32_e32 v18, 0x7f800000, v22
	s_delay_alu instid0(VALU_DEP_1)
	v_cmp_ne_u32_e32 vcc_lo, 0x7f800000, v18
	v_mov_b32_e32 v18, 0x80
	s_and_saveexec_b32 s29, vcc_lo
	s_cbranch_execz .LBB4_585
; %bb.578:                              ;   in Loop: Header=BB4_393 Depth=4
	v_mov_b32_e32 v18, 0
	s_mov_b32 s31, exec_lo
	v_cmpx_ne_u32_e32 0, v22
	s_cbranch_execz .LBB4_584
; %bb.579:                              ;   in Loop: Header=BB4_393 Depth=4
	v_bfe_u32 v18, v22, 23, 8
	s_delay_alu instid0(VALU_DEP_1) | instskip(SKIP_1) | instid1(VALU_DEP_2)
	v_sub_nc_u32_e32 v164, 0x78, v18
	v_cmp_gt_u32_e32 vcc_lo, 0x79, v18
	v_dual_cndmask_b32 v164, 0, v164 :: v_dual_and_b32 v163, 0x7fffff, v22
	s_delay_alu instid0(VALU_DEP_1) | instskip(SKIP_2) | instid1(VALU_DEP_4)
	v_or_b32_e32 v165, 0x800000, v163
	v_cmp_eq_u32_e32 vcc_lo, 0, v18
	v_add_nc_u32_e32 v18, 0xffffff89, v18
	v_cndmask_b32_e64 v164, v164, 0x77, vcc_lo
	s_delay_alu instid0(VALU_DEP_4) | instskip(NEXT) | instid1(VALU_DEP_3)
	v_cndmask_b32_e32 v163, v165, v163, vcc_lo
	v_cndmask_b32_e64 v18, v18, 0xffffff8a, vcc_lo
	s_delay_alu instid0(VALU_DEP_3) | instskip(NEXT) | instid1(VALU_DEP_3)
	v_lshl_add_u32 v165, 0x100000, v164, -1
	v_lshrrev_b32_e32 v166, v164, v163
	v_lshlrev_b32_e64 v176, v164, 0x80000
	s_delay_alu instid0(VALU_DEP_4) | instskip(NEXT) | instid1(VALU_DEP_4)
	v_add_nc_u32_e32 v164, v164, v18
	v_and_b32_e32 v163, v165, v163
	s_delay_alu instid0(VALU_DEP_4) | instskip(NEXT) | instid1(VALU_DEP_2)
	v_bfe_u32 v167, v166, 20, 1
	v_cmp_eq_u32_e64 s13, v163, v176
	s_delay_alu instid0(VALU_DEP_2) | instskip(NEXT) | instid1(VALU_DEP_1)
	v_add_nc_u32_e32 v165, -1, v167
	v_cndmask_b32_e64 v163, 0, v165, s13
	v_lshrrev_b32_e32 v165, 23, v166
	s_mov_b32 s13, exec_lo
	s_delay_alu instid0(VALU_DEP_2) | instskip(NEXT) | instid1(VALU_DEP_2)
	v_add_nc_u32_e32 v163, v163, v166
	v_xor_b32_e32 v165, 1, v165
	s_delay_alu instid0(VALU_DEP_2) | instskip(NEXT) | instid1(VALU_DEP_1)
	v_and_b32_e32 v18, 0xfffff, v163
	v_add_nc_u32_e32 v163, v18, v166
                                        ; implicit-def: $vgpr18
	s_delay_alu instid0(VALU_DEP_3)
	v_cmpx_ne_u32_e64 v164, v165
	s_xor_b32 s13, exec_lo, s13
; %bb.580:                              ;   in Loop: Header=BB4_393 Depth=4
	s_delay_alu instid0(VALU_DEP_2) | instskip(SKIP_2) | instid1(VALU_DEP_2)
	v_cmp_lt_u32_e32 vcc_lo, 0xffffff, v163
	v_sub_nc_u32_e32 v18, v164, v165
	v_cndmask_b32_e64 v164, 0, 1, vcc_lo
	v_add_co_ci_u32_e32 v18, vcc_lo, 0, v18, vcc_lo
	s_delay_alu instid0(VALU_DEP_2)
	v_lshrrev_b32_e32 v163, v164, v163
; %bb.581:                              ;   in Loop: Header=BB4_393 Depth=4
	s_and_not1_saveexec_b32 s13, s13
; %bb.582:                              ;   in Loop: Header=BB4_393 Depth=4
	s_delay_alu instid0(VALU_DEP_1)
	v_bfe_u32 v18, v163, 23, 1
; %bb.583:                              ;   in Loop: Header=BB4_393 Depth=4
	s_or_b32 exec_lo, exec_lo, s13
	v_lshrrev_b32_e32 v163, 20, v163
	s_delay_alu instid0(VALU_DEP_2) | instskip(SKIP_2) | instid1(VALU_DEP_2)
	v_cmp_gt_i32_e32 vcc_lo, 16, v18
	v_lshrrev_b32_e32 v22, 24, v22
	v_min_i32_e32 v164, 15, v18
	v_dual_cndmask_b32 v163, 7, v163 :: v_dual_and_b32 v22, 0x80, v22
	s_delay_alu instid0(VALU_DEP_2) | instskip(NEXT) | instid1(VALU_DEP_2)
	v_lshlrev_b32_e32 v164, 3, v164
	v_or_b32_e32 v18, v18, v163
	s_delay_alu instid0(VALU_DEP_1) | instskip(SKIP_1) | instid1(VALU_DEP_1)
	v_cmp_ne_u32_e32 vcc_lo, 0, v18
	v_and_b32_e32 v165, 7, v163
	v_or3_b32 v22, v164, v22, v165
	s_delay_alu instid0(VALU_DEP_1)
	v_cndmask_b32_e32 v18, 0, v22, vcc_lo
.LBB4_584:                              ;   in Loop: Header=BB4_393 Depth=4
	s_or_b32 exec_lo, exec_lo, s31
.LBB4_585:                              ;   in Loop: Header=BB4_393 Depth=4
	s_delay_alu instid0(SALU_CYCLE_1) | instskip(SKIP_3) | instid1(VALU_DEP_1)
	s_or_b32 exec_lo, exec_lo, s29
	v_and_b32_e32 v163, 0xff, v23
	s_mov_b32 s13, 0
	s_mov_b32 s31, exec_lo
                                        ; implicit-def: $sgpr29
	v_cmpx_lt_i16_e64 0x7f, v163
	s_xor_b32 s31, exec_lo, s31
	s_cbranch_execnz .LBB4_999
; %bb.586:                              ;   in Loop: Header=BB4_393 Depth=4
	s_or_saveexec_b32 s31, s31
	v_mov_b32_e32 v22, s29
	s_xor_b32 exec_lo, exec_lo, s31
	s_cbranch_execnz .LBB4_1002
.LBB4_587:                              ;   in Loop: Header=BB4_393 Depth=4
	s_or_b32 exec_lo, exec_lo, s31
	s_and_saveexec_b32 s29, s13
	s_cbranch_execz .LBB4_589
.LBB4_588:                              ;   in Loop: Header=BB4_393 Depth=4
	v_and_b32_e32 v22, 7, v23
	v_bfe_u32 v165, v23, 3, 4
	v_lshlrev_b32_e32 v166, 24, v23
	s_delay_alu instid0(VALU_DEP_3) | instskip(NEXT) | instid1(VALU_DEP_3)
	v_clz_i32_u32_e32 v163, v22
	v_cmp_eq_u32_e32 vcc_lo, 0, v165
	s_delay_alu instid0(VALU_DEP_2) | instskip(NEXT) | instid1(VALU_DEP_1)
	v_min_u32_e32 v163, 32, v163
	v_subrev_nc_u32_e32 v164, 28, v163
	v_sub_nc_u32_e32 v163, 29, v163
	s_delay_alu instid0(VALU_DEP_2) | instskip(NEXT) | instid1(VALU_DEP_1)
	v_lshlrev_b32_e32 v164, v164, v23
	v_dual_cndmask_b32 v163, v165, v163 :: v_dual_and_b32 v164, 7, v164
	s_delay_alu instid0(VALU_DEP_1) | instskip(NEXT) | instid1(VALU_DEP_2)
	v_lshl_add_u32 v163, v163, 23, 0x3b800000
	v_cndmask_b32_e32 v22, v22, v164, vcc_lo
	v_and_b32_e32 v164, 0x80000000, v166
	s_delay_alu instid0(VALU_DEP_2) | instskip(NEXT) | instid1(VALU_DEP_1)
	v_lshlrev_b32_e32 v22, 20, v22
	v_or3_b32 v22, v164, v163, v22
.LBB4_589:                              ;   in Loop: Header=BB4_393 Depth=4
	s_or_b32 exec_lo, exec_lo, s29
	v_and_b32_e32 v164, 0xff, v19
	s_mov_b32 s13, 0
	s_mov_b32 s31, exec_lo
                                        ; implicit-def: $sgpr29
	s_delay_alu instid0(VALU_DEP_1)
	v_cmpx_lt_i16_e64 0x7f, v164
	s_xor_b32 s31, exec_lo, s31
	s_cbranch_execnz .LBB4_1003
; %bb.590:                              ;   in Loop: Header=BB4_393 Depth=4
	s_or_saveexec_b32 s31, s31
	v_mov_b32_e32 v163, s29
	s_xor_b32 exec_lo, exec_lo, s31
	s_cbranch_execnz .LBB4_1006
.LBB4_591:                              ;   in Loop: Header=BB4_393 Depth=4
	s_or_b32 exec_lo, exec_lo, s31
	s_and_saveexec_b32 s29, s13
	s_cbranch_execz .LBB4_593
.LBB4_592:                              ;   in Loop: Header=BB4_393 Depth=4
	v_bfe_u32 v166, v19, 3, 4
	v_lshlrev_b32_e32 v167, 24, v19
	s_delay_alu instid0(VALU_DEP_2) | instskip(SKIP_1) | instid1(VALU_DEP_1)
	v_cmp_eq_u32_e32 vcc_lo, 0, v166
	v_and_b32_e32 v163, 7, v19
	v_clz_i32_u32_e32 v164, v163
	s_delay_alu instid0(VALU_DEP_1) | instskip(NEXT) | instid1(VALU_DEP_1)
	v_min_u32_e32 v164, 32, v164
	v_subrev_nc_u32_e32 v165, 28, v164
	v_sub_nc_u32_e32 v164, 29, v164
	s_delay_alu instid0(VALU_DEP_1) | instskip(NEXT) | instid1(VALU_DEP_1)
	v_dual_cndmask_b32 v164, v166, v164 :: v_dual_lshlrev_b32 v165, v165, v19
	v_and_b32_e32 v165, 7, v165
	s_delay_alu instid0(VALU_DEP_2) | instskip(NEXT) | instid1(VALU_DEP_2)
	v_lshl_add_u32 v164, v164, 23, 0x3b800000
	v_cndmask_b32_e32 v163, v163, v165, vcc_lo
	v_and_b32_e32 v165, 0x80000000, v167
	s_delay_alu instid0(VALU_DEP_2) | instskip(NEXT) | instid1(VALU_DEP_1)
	v_lshlrev_b32_e32 v163, 20, v163
	v_or3_b32 v163, v165, v164, v163
.LBB4_593:                              ;   in Loop: Header=BB4_393 Depth=4
	s_or_b32 exec_lo, exec_lo, s29
	s_delay_alu instid0(VALU_DEP_1) | instskip(NEXT) | instid1(VALU_DEP_1)
	v_add_f32_e32 v163, v22, v163
	v_and_b32_e32 v22, 0x7f800000, v163
	s_delay_alu instid0(VALU_DEP_1)
	v_cmp_ne_u32_e32 vcc_lo, 0x7f800000, v22
	v_mov_b32_e32 v22, 0x80
	s_and_saveexec_b32 s29, vcc_lo
	s_cbranch_execz .LBB4_601
; %bb.594:                              ;   in Loop: Header=BB4_393 Depth=4
	v_mov_b32_e32 v22, 0
	s_mov_b32 s31, exec_lo
	v_cmpx_ne_u32_e32 0, v163
	s_cbranch_execz .LBB4_600
; %bb.595:                              ;   in Loop: Header=BB4_393 Depth=4
	v_bfe_u32 v22, v163, 23, 8
	s_delay_alu instid0(VALU_DEP_1) | instskip(SKIP_1) | instid1(VALU_DEP_2)
	v_sub_nc_u32_e32 v165, 0x78, v22
	v_cmp_gt_u32_e32 vcc_lo, 0x79, v22
	v_dual_cndmask_b32 v165, 0, v165 :: v_dual_and_b32 v164, 0x7fffff, v163
	s_delay_alu instid0(VALU_DEP_1) | instskip(SKIP_2) | instid1(VALU_DEP_4)
	v_or_b32_e32 v166, 0x800000, v164
	v_cmp_eq_u32_e32 vcc_lo, 0, v22
	v_add_nc_u32_e32 v22, 0xffffff89, v22
	v_cndmask_b32_e64 v165, v165, 0x77, vcc_lo
	s_delay_alu instid0(VALU_DEP_2) | instskip(SKIP_1) | instid1(VALU_DEP_3)
	v_cndmask_b32_e64 v22, v22, 0xffffff8a, vcc_lo
	v_cndmask_b32_e32 v164, v166, v164, vcc_lo
	v_lshl_add_u32 v166, 0x100000, v165, -1
	v_lshlrev_b32_e64 v177, v165, 0x80000
	s_delay_alu instid0(VALU_DEP_3) | instskip(SKIP_1) | instid1(VALU_DEP_4)
	v_lshrrev_b32_e32 v167, v165, v164
	v_add_nc_u32_e32 v165, v165, v22
	v_and_b32_e32 v164, v166, v164
	s_delay_alu instid0(VALU_DEP_3) | instskip(NEXT) | instid1(VALU_DEP_2)
	v_bfe_u32 v176, v167, 20, 1
	v_cmp_eq_u32_e64 s13, v164, v177
	s_delay_alu instid0(VALU_DEP_2) | instskip(NEXT) | instid1(VALU_DEP_1)
	v_add_nc_u32_e32 v166, -1, v176
	v_cndmask_b32_e64 v164, 0, v166, s13
	v_lshrrev_b32_e32 v166, 23, v167
	s_mov_b32 s13, exec_lo
	s_delay_alu instid0(VALU_DEP_2) | instskip(NEXT) | instid1(VALU_DEP_2)
	v_add_nc_u32_e32 v164, v164, v167
	v_xor_b32_e32 v166, 1, v166
	s_delay_alu instid0(VALU_DEP_2) | instskip(NEXT) | instid1(VALU_DEP_1)
	v_and_b32_e32 v22, 0xfffff, v164
	v_add_nc_u32_e32 v164, v22, v167
                                        ; implicit-def: $vgpr22
	s_delay_alu instid0(VALU_DEP_3)
	v_cmpx_ne_u32_e64 v165, v166
	s_xor_b32 s13, exec_lo, s13
; %bb.596:                              ;   in Loop: Header=BB4_393 Depth=4
	s_delay_alu instid0(VALU_DEP_2) | instskip(SKIP_2) | instid1(VALU_DEP_2)
	v_cmp_lt_u32_e32 vcc_lo, 0xffffff, v164
	v_sub_nc_u32_e32 v22, v165, v166
	v_cndmask_b32_e64 v165, 0, 1, vcc_lo
	v_add_co_ci_u32_e32 v22, vcc_lo, 0, v22, vcc_lo
	s_delay_alu instid0(VALU_DEP_2)
	v_lshrrev_b32_e32 v164, v165, v164
; %bb.597:                              ;   in Loop: Header=BB4_393 Depth=4
	s_and_not1_saveexec_b32 s13, s13
; %bb.598:                              ;   in Loop: Header=BB4_393 Depth=4
	s_delay_alu instid0(VALU_DEP_1)
	v_bfe_u32 v22, v164, 23, 1
; %bb.599:                              ;   in Loop: Header=BB4_393 Depth=4
	s_or_b32 exec_lo, exec_lo, s13
	v_lshrrev_b32_e32 v164, 20, v164
	s_delay_alu instid0(VALU_DEP_2) | instskip(SKIP_2) | instid1(VALU_DEP_2)
	v_cmp_gt_i32_e32 vcc_lo, 16, v22
	v_lshrrev_b32_e32 v163, 24, v163
	v_min_i32_e32 v165, 15, v22
	v_dual_cndmask_b32 v164, 7, v164 :: v_dual_and_b32 v163, 0x80, v163
	s_delay_alu instid0(VALU_DEP_1) | instskip(SKIP_1) | instid1(VALU_DEP_2)
	v_or_b32_e32 v22, v22, v164
	v_and_b32_e32 v166, 7, v164
	v_cmp_ne_u32_e32 vcc_lo, 0, v22
	v_lshlrev_b32_e32 v165, 3, v165
	s_delay_alu instid0(VALU_DEP_1) | instskip(NEXT) | instid1(VALU_DEP_1)
	v_or3_b32 v163, v165, v163, v166
	v_cndmask_b32_e32 v22, 0, v163, vcc_lo
.LBB4_600:                              ;   in Loop: Header=BB4_393 Depth=4
	s_or_b32 exec_lo, exec_lo, s31
.LBB4_601:                              ;   in Loop: Header=BB4_393 Depth=4
	s_delay_alu instid0(SALU_CYCLE_1) | instskip(SKIP_3) | instid1(VALU_DEP_1)
	s_or_b32 exec_lo, exec_lo, s29
	v_lshrrev_b16 v164, 8, v23
	s_mov_b32 s13, 0
	s_mov_b32 s31, exec_lo
                                        ; implicit-def: $sgpr29
	v_cmpx_lt_i16_e64 0x7f, v164
	s_xor_b32 s31, exec_lo, s31
	s_cbranch_execnz .LBB4_1007
; %bb.602:                              ;   in Loop: Header=BB4_393 Depth=4
	s_or_saveexec_b32 s31, s31
	v_mov_b32_e32 v163, s29
	s_xor_b32 exec_lo, exec_lo, s31
	s_cbranch_execnz .LBB4_1010
.LBB4_603:                              ;   in Loop: Header=BB4_393 Depth=4
	s_or_b32 exec_lo, exec_lo, s31
	s_and_saveexec_b32 s29, s13
	s_cbranch_execz .LBB4_605
.LBB4_604:                              ;   in Loop: Header=BB4_393 Depth=4
	v_and_b32_e32 v163, 0xffff, v164
	s_delay_alu instid0(VALU_DEP_1) | instskip(NEXT) | instid1(VALU_DEP_1)
	v_and_b32_e32 v165, 7, v163
	v_clz_i32_u32_e32 v166, v165
	s_delay_alu instid0(VALU_DEP_1) | instskip(NEXT) | instid1(VALU_DEP_1)
	v_min_u32_e32 v166, 32, v166
	v_subrev_nc_u32_e32 v167, 28, v166
	v_sub_nc_u32_e32 v166, 29, v166
	s_delay_alu instid0(VALU_DEP_2) | instskip(SKIP_1) | instid1(VALU_DEP_2)
	v_lshlrev_b32_e32 v167, v167, v163
	v_bfe_u32 v163, v163, 3, 4
	v_and_b32_e32 v167, 7, v167
	s_delay_alu instid0(VALU_DEP_2) | instskip(SKIP_1) | instid1(VALU_DEP_1)
	v_cmp_eq_u32_e32 vcc_lo, 0, v163
	v_dual_cndmask_b32 v163, v163, v166 :: v_dual_lshlrev_b32 v164, 24, v164
	v_dual_cndmask_b32 v165, v165, v167 :: v_dual_and_b32 v164, 0x80000000, v164
	s_delay_alu instid0(VALU_DEP_2) | instskip(NEXT) | instid1(VALU_DEP_2)
	v_lshl_add_u32 v163, v163, 23, 0x3b800000
	v_lshlrev_b32_e32 v165, 20, v165
	s_delay_alu instid0(VALU_DEP_1)
	v_or3_b32 v163, v164, v163, v165
.LBB4_605:                              ;   in Loop: Header=BB4_393 Depth=4
	s_or_b32 exec_lo, exec_lo, s29
	v_lshrrev_b16 v164, 8, v19
	s_mov_b32 s13, 0
	s_mov_b32 s31, exec_lo
                                        ; implicit-def: $sgpr29
	s_delay_alu instid0(VALU_DEP_1)
	v_cmpx_lt_i16_e64 0x7f, v164
	s_xor_b32 s31, exec_lo, s31
	s_cbranch_execnz .LBB4_1011
; %bb.606:                              ;   in Loop: Header=BB4_393 Depth=4
	s_or_saveexec_b32 s31, s31
	v_mov_b32_e32 v165, s29
	s_xor_b32 exec_lo, exec_lo, s31
	s_cbranch_execnz .LBB4_1014
.LBB4_607:                              ;   in Loop: Header=BB4_393 Depth=4
	s_or_b32 exec_lo, exec_lo, s31
	s_and_saveexec_b32 s29, s13
	s_cbranch_execz .LBB4_609
.LBB4_608:                              ;   in Loop: Header=BB4_393 Depth=4
	v_and_b32_e32 v165, 0xffff, v164
	v_lshlrev_b32_e32 v164, 24, v164
	s_delay_alu instid0(VALU_DEP_2) | instskip(NEXT) | instid1(VALU_DEP_2)
	v_and_b32_e32 v166, 7, v165
	v_and_b32_e32 v164, 0x80000000, v164
	s_delay_alu instid0(VALU_DEP_2) | instskip(NEXT) | instid1(VALU_DEP_1)
	v_clz_i32_u32_e32 v167, v166
	v_min_u32_e32 v167, 32, v167
	s_delay_alu instid0(VALU_DEP_1) | instskip(SKIP_1) | instid1(VALU_DEP_2)
	v_subrev_nc_u32_e32 v176, 28, v167
	v_sub_nc_u32_e32 v167, 29, v167
	v_lshlrev_b32_e32 v176, v176, v165
	v_bfe_u32 v165, v165, 3, 4
	s_delay_alu instid0(VALU_DEP_2) | instskip(NEXT) | instid1(VALU_DEP_2)
	v_and_b32_e32 v176, 7, v176
	v_cmp_eq_u32_e32 vcc_lo, 0, v165
	s_delay_alu instid0(VALU_DEP_2) | instskip(NEXT) | instid1(VALU_DEP_1)
	v_dual_cndmask_b32 v165, v165, v167 :: v_dual_cndmask_b32 v166, v166, v176
	v_lshl_add_u32 v165, v165, 23, 0x3b800000
	s_delay_alu instid0(VALU_DEP_2) | instskip(NEXT) | instid1(VALU_DEP_1)
	v_lshlrev_b32_e32 v166, 20, v166
	v_or3_b32 v165, v164, v165, v166
.LBB4_609:                              ;   in Loop: Header=BB4_393 Depth=4
	s_or_b32 exec_lo, exec_lo, s29
	s_delay_alu instid0(VALU_DEP_1) | instskip(NEXT) | instid1(VALU_DEP_1)
	v_add_f32_e32 v164, v163, v165
	v_and_b32_e32 v163, 0x7f800000, v164
	s_delay_alu instid0(VALU_DEP_1)
	v_cmp_ne_u32_e32 vcc_lo, 0x7f800000, v163
	v_mov_b32_e32 v163, 0x8000
	s_and_saveexec_b32 s29, vcc_lo
	s_cbranch_execz .LBB4_617
; %bb.610:                              ;   in Loop: Header=BB4_393 Depth=4
	v_mov_b32_e32 v163, 0
	s_mov_b32 s31, exec_lo
	v_cmpx_ne_u32_e32 0, v164
	s_cbranch_execz .LBB4_616
; %bb.611:                              ;   in Loop: Header=BB4_393 Depth=4
	v_bfe_u32 v163, v164, 23, 8
	s_delay_alu instid0(VALU_DEP_1) | instskip(SKIP_1) | instid1(VALU_DEP_2)
	v_sub_nc_u32_e32 v166, 0x78, v163
	v_cmp_gt_u32_e32 vcc_lo, 0x79, v163
	v_dual_cndmask_b32 v166, 0, v166 :: v_dual_and_b32 v165, 0x7fffff, v164
	s_delay_alu instid0(VALU_DEP_1) | instskip(SKIP_2) | instid1(VALU_DEP_4)
	v_or_b32_e32 v167, 0x800000, v165
	v_cmp_eq_u32_e32 vcc_lo, 0, v163
	v_add_nc_u32_e32 v163, 0xffffff89, v163
	v_cndmask_b32_e64 v166, v166, 0x77, vcc_lo
	s_delay_alu instid0(VALU_DEP_2) | instskip(SKIP_1) | instid1(VALU_DEP_3)
	v_cndmask_b32_e64 v163, v163, 0xffffff8a, vcc_lo
	v_cndmask_b32_e32 v165, v167, v165, vcc_lo
	v_lshl_add_u32 v167, 0x100000, v166, -1
	v_lshlrev_b32_e64 v178, v166, 0x80000
	s_delay_alu instid0(VALU_DEP_3) | instskip(SKIP_1) | instid1(VALU_DEP_4)
	v_lshrrev_b32_e32 v176, v166, v165
	v_add_nc_u32_e32 v166, v166, v163
	v_and_b32_e32 v165, v167, v165
	s_delay_alu instid0(VALU_DEP_3) | instskip(NEXT) | instid1(VALU_DEP_2)
	v_bfe_u32 v177, v176, 20, 1
	v_cmp_eq_u32_e64 s13, v165, v178
	s_delay_alu instid0(VALU_DEP_2) | instskip(NEXT) | instid1(VALU_DEP_1)
	v_add_nc_u32_e32 v167, -1, v177
	v_cndmask_b32_e64 v165, 0, v167, s13
	v_lshrrev_b32_e32 v167, 23, v176
	s_mov_b32 s13, exec_lo
	s_delay_alu instid0(VALU_DEP_2) | instskip(NEXT) | instid1(VALU_DEP_2)
	v_add_nc_u32_e32 v165, v165, v176
	v_xor_b32_e32 v167, 1, v167
	s_delay_alu instid0(VALU_DEP_2) | instskip(NEXT) | instid1(VALU_DEP_1)
	v_and_b32_e32 v163, 0xfffff, v165
	v_add_nc_u32_e32 v165, v163, v176
                                        ; implicit-def: $vgpr163
	s_delay_alu instid0(VALU_DEP_3)
	v_cmpx_ne_u32_e64 v166, v167
	s_xor_b32 s13, exec_lo, s13
; %bb.612:                              ;   in Loop: Header=BB4_393 Depth=4
	s_delay_alu instid0(VALU_DEP_2) | instskip(SKIP_2) | instid1(VALU_DEP_2)
	v_cmp_lt_u32_e32 vcc_lo, 0xffffff, v165
	v_sub_nc_u32_e32 v163, v166, v167
	v_cndmask_b32_e64 v166, 0, 1, vcc_lo
	v_add_co_ci_u32_e32 v163, vcc_lo, 0, v163, vcc_lo
	s_delay_alu instid0(VALU_DEP_2)
	v_lshrrev_b32_e32 v165, v166, v165
; %bb.613:                              ;   in Loop: Header=BB4_393 Depth=4
	s_and_not1_saveexec_b32 s13, s13
; %bb.614:                              ;   in Loop: Header=BB4_393 Depth=4
	s_delay_alu instid0(VALU_DEP_1)
	v_bfe_u32 v163, v165, 23, 1
; %bb.615:                              ;   in Loop: Header=BB4_393 Depth=4
	s_or_b32 exec_lo, exec_lo, s13
	v_lshrrev_b32_e32 v165, 20, v165
	s_delay_alu instid0(VALU_DEP_2) | instskip(SKIP_2) | instid1(VALU_DEP_2)
	v_cmp_gt_i32_e32 vcc_lo, 16, v163
	v_min_i32_e32 v166, 15, v163
	v_lshrrev_b32_e32 v164, 24, v164
	v_dual_cndmask_b32 v165, 7, v165 :: v_dual_lshlrev_b32 v166, 3, v166
	s_delay_alu instid0(VALU_DEP_2) | instskip(NEXT) | instid1(VALU_DEP_2)
	v_and_b32_e32 v164, 0x80, v164
	v_or_b32_e32 v163, v163, v165
	v_and_b32_e32 v167, 7, v165
	s_delay_alu instid0(VALU_DEP_2) | instskip(SKIP_1) | instid1(VALU_DEP_1)
	v_cmp_ne_u32_e32 vcc_lo, 0, v163
	v_and_b32_e32 v166, 0xf8, v166
	v_or3_b32 v164, v164, v166, v167
	s_delay_alu instid0(VALU_DEP_1) | instskip(NEXT) | instid1(VALU_DEP_1)
	v_lshlrev_b32_e32 v164, 8, v164
	v_cndmask_b32_e32 v163, 0, v164, vcc_lo
.LBB4_616:                              ;   in Loop: Header=BB4_393 Depth=4
	s_or_b32 exec_lo, exec_lo, s31
.LBB4_617:                              ;   in Loop: Header=BB4_393 Depth=4
	s_delay_alu instid0(SALU_CYCLE_1) | instskip(SKIP_3) | instid1(VALU_DEP_1)
	s_or_b32 exec_lo, exec_lo, s29
	v_lshrrev_b32_e32 v165, 16, v23
	s_mov_b32 s13, 0
	s_mov_b32 s31, exec_lo
                                        ; implicit-def: $sgpr29
	v_and_b32_e32 v166, 0xff, v165
	s_delay_alu instid0(VALU_DEP_1)
	v_cmpx_lt_i16_e64 0x7f, v166
	s_xor_b32 s31, exec_lo, s31
	s_cbranch_execnz .LBB4_1015
; %bb.618:                              ;   in Loop: Header=BB4_393 Depth=4
	s_or_saveexec_b32 s31, s31
	v_mov_b32_e32 v164, s29
	s_xor_b32 exec_lo, exec_lo, s31
	s_cbranch_execnz .LBB4_1018
.LBB4_619:                              ;   in Loop: Header=BB4_393 Depth=4
	s_or_b32 exec_lo, exec_lo, s31
	s_and_saveexec_b32 s29, s13
	s_cbranch_execz .LBB4_621
.LBB4_620:                              ;   in Loop: Header=BB4_393 Depth=4
	v_bfe_u32 v164, v23, 16, 3
	v_lshlrev_b32_e32 v176, 8, v23
	s_delay_alu instid0(VALU_DEP_2) | instskip(NEXT) | instid1(VALU_DEP_1)
	v_clz_i32_u32_e32 v166, v164
	v_min_u32_e32 v166, 32, v166
	s_delay_alu instid0(VALU_DEP_1) | instskip(SKIP_1) | instid1(VALU_DEP_2)
	v_subrev_nc_u32_e32 v167, 28, v166
	v_sub_nc_u32_e32 v166, 29, v166
	v_lshlrev_b32_e32 v165, v167, v165
	v_bfe_u32 v167, v23, 19, 4
	s_delay_alu instid0(VALU_DEP_1) | instskip(NEXT) | instid1(VALU_DEP_3)
	v_cmp_eq_u32_e32 vcc_lo, 0, v167
	v_dual_cndmask_b32 v166, v167, v166 :: v_dual_and_b32 v165, 7, v165
	s_delay_alu instid0(VALU_DEP_1) | instskip(NEXT) | instid1(VALU_DEP_2)
	v_dual_cndmask_b32 v164, v164, v165 :: v_dual_and_b32 v165, 0x80000000, v176
	v_lshl_add_u32 v166, v166, 23, 0x3b800000
	s_delay_alu instid0(VALU_DEP_2) | instskip(NEXT) | instid1(VALU_DEP_1)
	v_lshlrev_b32_e32 v164, 20, v164
	v_or3_b32 v164, v165, v166, v164
.LBB4_621:                              ;   in Loop: Header=BB4_393 Depth=4
	s_or_b32 exec_lo, exec_lo, s29
	v_lshrrev_b32_e32 v165, 16, v19
	s_mov_b32 s13, 0
	s_mov_b32 s31, exec_lo
                                        ; implicit-def: $sgpr29
	s_delay_alu instid0(VALU_DEP_1) | instskip(NEXT) | instid1(VALU_DEP_1)
	v_and_b32_e32 v167, 0xff, v165
	v_cmpx_lt_i16_e64 0x7f, v167
	s_xor_b32 s31, exec_lo, s31
	s_cbranch_execnz .LBB4_1019
; %bb.622:                              ;   in Loop: Header=BB4_393 Depth=4
	s_or_saveexec_b32 s31, s31
	v_mov_b32_e32 v166, s29
	s_xor_b32 exec_lo, exec_lo, s31
	s_cbranch_execnz .LBB4_1022
.LBB4_623:                              ;   in Loop: Header=BB4_393 Depth=4
	s_or_b32 exec_lo, exec_lo, s31
	s_and_saveexec_b32 s29, s13
	s_cbranch_execz .LBB4_625
.LBB4_624:                              ;   in Loop: Header=BB4_393 Depth=4
	v_bfe_u32 v166, v19, 16, 3
	v_lshlrev_b32_e32 v177, 8, v19
	s_delay_alu instid0(VALU_DEP_2) | instskip(NEXT) | instid1(VALU_DEP_1)
	v_clz_i32_u32_e32 v167, v166
	v_min_u32_e32 v167, 32, v167
	s_delay_alu instid0(VALU_DEP_1) | instskip(SKIP_1) | instid1(VALU_DEP_2)
	v_subrev_nc_u32_e32 v176, 28, v167
	v_sub_nc_u32_e32 v167, 29, v167
	v_lshlrev_b32_e32 v165, v176, v165
	v_bfe_u32 v176, v19, 19, 4
	s_delay_alu instid0(VALU_DEP_2) | instskip(NEXT) | instid1(VALU_DEP_2)
	v_and_b32_e32 v165, 7, v165
	v_cmp_eq_u32_e32 vcc_lo, 0, v176
	v_cndmask_b32_e32 v167, v176, v167, vcc_lo
	s_delay_alu instid0(VALU_DEP_3) | instskip(SKIP_1) | instid1(VALU_DEP_3)
	v_cndmask_b32_e32 v165, v166, v165, vcc_lo
	v_and_b32_e32 v166, 0x80000000, v177
	v_lshl_add_u32 v167, v167, 23, 0x3b800000
	s_delay_alu instid0(VALU_DEP_3) | instskip(NEXT) | instid1(VALU_DEP_1)
	v_lshlrev_b32_e32 v165, 20, v165
	v_or3_b32 v166, v166, v167, v165
.LBB4_625:                              ;   in Loop: Header=BB4_393 Depth=4
	s_or_b32 exec_lo, exec_lo, s29
	s_delay_alu instid0(VALU_DEP_1) | instskip(NEXT) | instid1(VALU_DEP_1)
	v_add_f32_e32 v165, v164, v166
	v_and_b32_e32 v164, 0x7f800000, v165
	s_delay_alu instid0(VALU_DEP_1)
	v_cmp_ne_u32_e32 vcc_lo, 0x7f800000, v164
	v_mov_b32_e32 v164, 0x80
	s_and_saveexec_b32 s29, vcc_lo
	s_cbranch_execz .LBB4_633
; %bb.626:                              ;   in Loop: Header=BB4_393 Depth=4
	v_mov_b32_e32 v164, 0
	s_mov_b32 s31, exec_lo
	v_cmpx_ne_u32_e32 0, v165
	s_cbranch_execz .LBB4_632
; %bb.627:                              ;   in Loop: Header=BB4_393 Depth=4
	v_bfe_u32 v164, v165, 23, 8
	s_delay_alu instid0(VALU_DEP_1) | instskip(SKIP_1) | instid1(VALU_DEP_2)
	v_sub_nc_u32_e32 v167, 0x78, v164
	v_cmp_gt_u32_e32 vcc_lo, 0x79, v164
	v_dual_cndmask_b32 v167, 0, v167 :: v_dual_and_b32 v166, 0x7fffff, v165
	s_delay_alu instid0(VALU_DEP_1) | instskip(SKIP_2) | instid1(VALU_DEP_4)
	v_or_b32_e32 v176, 0x800000, v166
	v_cmp_eq_u32_e32 vcc_lo, 0, v164
	v_add_nc_u32_e32 v164, 0xffffff89, v164
	v_cndmask_b32_e64 v167, v167, 0x77, vcc_lo
	s_delay_alu instid0(VALU_DEP_2) | instskip(SKIP_1) | instid1(VALU_DEP_3)
	v_cndmask_b32_e64 v164, v164, 0xffffff8a, vcc_lo
	v_cndmask_b32_e32 v166, v176, v166, vcc_lo
	v_lshl_add_u32 v176, 0x100000, v167, -1
	v_lshlrev_b32_e64 v179, v167, 0x80000
	s_delay_alu instid0(VALU_DEP_3) | instskip(SKIP_1) | instid1(VALU_DEP_4)
	v_lshrrev_b32_e32 v177, v167, v166
	v_add_nc_u32_e32 v167, v167, v164
	v_and_b32_e32 v166, v176, v166
	s_delay_alu instid0(VALU_DEP_3) | instskip(NEXT) | instid1(VALU_DEP_2)
	v_bfe_u32 v178, v177, 20, 1
	v_cmp_eq_u32_e64 s13, v166, v179
	s_delay_alu instid0(VALU_DEP_2) | instskip(NEXT) | instid1(VALU_DEP_1)
	v_add_nc_u32_e32 v176, -1, v178
	v_cndmask_b32_e64 v166, 0, v176, s13
	v_lshrrev_b32_e32 v176, 23, v177
	s_mov_b32 s13, exec_lo
	s_delay_alu instid0(VALU_DEP_2) | instskip(NEXT) | instid1(VALU_DEP_2)
	v_add_nc_u32_e32 v166, v166, v177
	v_xor_b32_e32 v176, 1, v176
	s_delay_alu instid0(VALU_DEP_2) | instskip(NEXT) | instid1(VALU_DEP_1)
	v_and_b32_e32 v164, 0xfffff, v166
	v_add_nc_u32_e32 v166, v164, v177
                                        ; implicit-def: $vgpr164
	s_delay_alu instid0(VALU_DEP_3)
	v_cmpx_ne_u32_e64 v167, v176
	s_xor_b32 s13, exec_lo, s13
; %bb.628:                              ;   in Loop: Header=BB4_393 Depth=4
	s_delay_alu instid0(VALU_DEP_2) | instskip(SKIP_2) | instid1(VALU_DEP_2)
	v_cmp_lt_u32_e32 vcc_lo, 0xffffff, v166
	v_sub_nc_u32_e32 v164, v167, v176
	v_cndmask_b32_e64 v167, 0, 1, vcc_lo
	v_add_co_ci_u32_e32 v164, vcc_lo, 0, v164, vcc_lo
	s_delay_alu instid0(VALU_DEP_2)
	v_lshrrev_b32_e32 v166, v167, v166
; %bb.629:                              ;   in Loop: Header=BB4_393 Depth=4
	s_and_not1_saveexec_b32 s13, s13
; %bb.630:                              ;   in Loop: Header=BB4_393 Depth=4
	s_delay_alu instid0(VALU_DEP_1)
	v_bfe_u32 v164, v166, 23, 1
; %bb.631:                              ;   in Loop: Header=BB4_393 Depth=4
	s_or_b32 exec_lo, exec_lo, s13
	v_lshrrev_b32_e32 v166, 20, v166
	s_delay_alu instid0(VALU_DEP_2) | instskip(SKIP_2) | instid1(VALU_DEP_2)
	v_cmp_gt_i32_e32 vcc_lo, 16, v164
	v_min_i32_e32 v167, 15, v164
	v_lshrrev_b32_e32 v165, 24, v165
	v_dual_cndmask_b32 v166, 7, v166 :: v_dual_lshlrev_b32 v167, 3, v167
	s_delay_alu instid0(VALU_DEP_2) | instskip(NEXT) | instid1(VALU_DEP_2)
	v_and_b32_e32 v165, 0x80, v165
	v_or_b32_e32 v164, v164, v166
	v_and_b32_e32 v176, 7, v166
	s_delay_alu instid0(VALU_DEP_2) | instskip(SKIP_1) | instid1(VALU_DEP_1)
	v_cmp_ne_u32_e32 vcc_lo, 0, v164
	v_and_b32_e32 v167, 0xf8, v167
	v_or3_b32 v165, v167, v165, v176
	s_delay_alu instid0(VALU_DEP_1)
	v_cndmask_b32_e32 v164, 0, v165, vcc_lo
.LBB4_632:                              ;   in Loop: Header=BB4_393 Depth=4
	s_or_b32 exec_lo, exec_lo, s31
.LBB4_633:                              ;   in Loop: Header=BB4_393 Depth=4
	s_delay_alu instid0(SALU_CYCLE_1) | instskip(SKIP_3) | instid1(VALU_DEP_1)
	s_or_b32 exec_lo, exec_lo, s29
	v_lshrrev_b32_e32 v166, 24, v23
	s_mov_b32 s13, 0
	s_mov_b32 s31, exec_lo
                                        ; implicit-def: $sgpr29
	v_cmpx_lt_i16_e64 0x7f, v166
	s_xor_b32 s31, exec_lo, s31
	s_cbranch_execnz .LBB4_1023
; %bb.634:                              ;   in Loop: Header=BB4_393 Depth=4
	s_or_saveexec_b32 s31, s31
	v_mov_b32_e32 v165, s29
	s_xor_b32 exec_lo, exec_lo, s31
	s_cbranch_execnz .LBB4_1026
.LBB4_635:                              ;   in Loop: Header=BB4_393 Depth=4
	s_or_b32 exec_lo, exec_lo, s31
	s_and_saveexec_b32 s29, s13
	s_cbranch_execz .LBB4_637
.LBB4_636:                              ;   in Loop: Header=BB4_393 Depth=4
	v_bfe_u32 v165, v23, 24, 3
	s_delay_alu instid0(VALU_DEP_1) | instskip(NEXT) | instid1(VALU_DEP_1)
	v_clz_i32_u32_e32 v167, v165
	v_min_u32_e32 v167, 32, v167
	s_delay_alu instid0(VALU_DEP_1) | instskip(SKIP_1) | instid1(VALU_DEP_2)
	v_subrev_nc_u32_e32 v176, 28, v167
	v_sub_nc_u32_e32 v167, 29, v167
	v_lshlrev_b32_e32 v166, v176, v166
	v_bfe_u32 v176, v23, 27, 4
	v_and_b32_e32 v23, 0x80000000, v23
	s_delay_alu instid0(VALU_DEP_2) | instskip(NEXT) | instid1(VALU_DEP_4)
	v_cmp_eq_u32_e32 vcc_lo, 0, v176
	v_dual_cndmask_b32 v167, v176, v167 :: v_dual_and_b32 v166, 7, v166
	s_delay_alu instid0(VALU_DEP_1) | instskip(NEXT) | instid1(VALU_DEP_2)
	v_cndmask_b32_e32 v165, v165, v166, vcc_lo
	v_lshl_add_u32 v166, v167, 23, 0x3b800000
	s_delay_alu instid0(VALU_DEP_2) | instskip(NEXT) | instid1(VALU_DEP_1)
	v_lshlrev_b32_e32 v165, 20, v165
	v_or3_b32 v165, v23, v166, v165
.LBB4_637:                              ;   in Loop: Header=BB4_393 Depth=4
	s_or_b32 exec_lo, exec_lo, s29
	v_lshrrev_b32_e32 v23, 24, v19
	s_mov_b32 s13, 0
	s_mov_b32 s31, exec_lo
                                        ; implicit-def: $sgpr29
	s_delay_alu instid0(VALU_DEP_1)
	v_cmpx_lt_i16_e32 0x7f, v23
	s_xor_b32 s31, exec_lo, s31
	s_cbranch_execnz .LBB4_1027
; %bb.638:                              ;   in Loop: Header=BB4_393 Depth=4
	s_or_saveexec_b32 s31, s31
	v_mov_b32_e32 v166, s29
	s_xor_b32 exec_lo, exec_lo, s31
	s_cbranch_execnz .LBB4_1030
.LBB4_639:                              ;   in Loop: Header=BB4_393 Depth=4
	s_or_b32 exec_lo, exec_lo, s31
	s_and_saveexec_b32 s29, s13
	s_cbranch_execz .LBB4_641
.LBB4_640:                              ;   in Loop: Header=BB4_393 Depth=4
	v_bfe_u32 v166, v19, 24, 3
	s_delay_alu instid0(VALU_DEP_1) | instskip(NEXT) | instid1(VALU_DEP_1)
	v_clz_i32_u32_e32 v167, v166
	v_min_u32_e32 v167, 32, v167
	s_delay_alu instid0(VALU_DEP_1) | instskip(SKIP_1) | instid1(VALU_DEP_2)
	v_subrev_nc_u32_e32 v176, 28, v167
	v_sub_nc_u32_e32 v167, 29, v167
	v_lshlrev_b32_e32 v23, v176, v23
	v_bfe_u32 v176, v19, 27, 4
	v_and_b32_e32 v19, 0x80000000, v19
	s_delay_alu instid0(VALU_DEP_3) | instskip(NEXT) | instid1(VALU_DEP_3)
	v_and_b32_e32 v23, 7, v23
	v_cmp_eq_u32_e32 vcc_lo, 0, v176
	v_cndmask_b32_e32 v167, v176, v167, vcc_lo
	s_delay_alu instid0(VALU_DEP_3) | instskip(NEXT) | instid1(VALU_DEP_2)
	v_cndmask_b32_e32 v23, v166, v23, vcc_lo
	v_lshl_add_u32 v166, v167, 23, 0x3b800000
	s_delay_alu instid0(VALU_DEP_2) | instskip(NEXT) | instid1(VALU_DEP_1)
	v_lshlrev_b32_e32 v23, 20, v23
	v_or3_b32 v166, v19, v166, v23
.LBB4_641:                              ;   in Loop: Header=BB4_393 Depth=4
	s_or_b32 exec_lo, exec_lo, s29
	s_delay_alu instid0(VALU_DEP_1) | instskip(NEXT) | instid1(VALU_DEP_1)
	v_add_f32_e32 v23, v165, v166
	v_and_b32_e32 v19, 0x7f800000, v23
	s_delay_alu instid0(VALU_DEP_1)
	v_cmp_ne_u32_e32 vcc_lo, 0x7f800000, v19
	v_mov_b32_e32 v19, 0x8000
	s_and_saveexec_b32 s29, vcc_lo
	s_cbranch_execz .LBB4_649
; %bb.642:                              ;   in Loop: Header=BB4_393 Depth=4
	v_mov_b32_e32 v19, 0
	s_mov_b32 s31, exec_lo
	v_cmpx_ne_u32_e32 0, v23
	s_cbranch_execz .LBB4_648
; %bb.643:                              ;   in Loop: Header=BB4_393 Depth=4
	v_bfe_u32 v19, v23, 23, 8
	s_delay_alu instid0(VALU_DEP_1) | instskip(SKIP_1) | instid1(VALU_DEP_2)
	v_sub_nc_u32_e32 v166, 0x78, v19
	v_cmp_gt_u32_e32 vcc_lo, 0x79, v19
	v_dual_cndmask_b32 v166, 0, v166 :: v_dual_and_b32 v165, 0x7fffff, v23
	s_delay_alu instid0(VALU_DEP_1) | instskip(SKIP_2) | instid1(VALU_DEP_4)
	v_or_b32_e32 v167, 0x800000, v165
	v_cmp_eq_u32_e32 vcc_lo, 0, v19
	v_add_nc_u32_e32 v19, 0xffffff89, v19
	v_cndmask_b32_e64 v166, v166, 0x77, vcc_lo
	s_delay_alu instid0(VALU_DEP_2) | instskip(SKIP_1) | instid1(VALU_DEP_3)
	v_cndmask_b32_e64 v19, v19, 0xffffff8a, vcc_lo
	v_cndmask_b32_e32 v165, v167, v165, vcc_lo
	v_lshl_add_u32 v167, 0x100000, v166, -1
	v_lshlrev_b32_e64 v178, v166, 0x80000
	s_delay_alu instid0(VALU_DEP_3) | instskip(SKIP_1) | instid1(VALU_DEP_4)
	v_lshrrev_b32_e32 v176, v166, v165
	v_add_nc_u32_e32 v166, v166, v19
	v_and_b32_e32 v165, v167, v165
	s_delay_alu instid0(VALU_DEP_3) | instskip(NEXT) | instid1(VALU_DEP_2)
	v_bfe_u32 v177, v176, 20, 1
	v_cmp_eq_u32_e64 s13, v165, v178
	s_delay_alu instid0(VALU_DEP_2) | instskip(NEXT) | instid1(VALU_DEP_1)
	v_add_nc_u32_e32 v167, -1, v177
	v_cndmask_b32_e64 v165, 0, v167, s13
	v_lshrrev_b32_e32 v167, 23, v176
	s_mov_b32 s13, exec_lo
	s_delay_alu instid0(VALU_DEP_2) | instskip(NEXT) | instid1(VALU_DEP_2)
	v_add_nc_u32_e32 v165, v165, v176
	v_xor_b32_e32 v167, 1, v167
	s_delay_alu instid0(VALU_DEP_2) | instskip(NEXT) | instid1(VALU_DEP_1)
	v_and_b32_e32 v19, 0xfffff, v165
	v_add_nc_u32_e32 v165, v19, v176
                                        ; implicit-def: $vgpr19
	s_delay_alu instid0(VALU_DEP_3)
	v_cmpx_ne_u32_e64 v166, v167
	s_xor_b32 s13, exec_lo, s13
; %bb.644:                              ;   in Loop: Header=BB4_393 Depth=4
	s_delay_alu instid0(VALU_DEP_2) | instskip(SKIP_2) | instid1(VALU_DEP_2)
	v_cmp_lt_u32_e32 vcc_lo, 0xffffff, v165
	v_sub_nc_u32_e32 v19, v166, v167
	v_cndmask_b32_e64 v166, 0, 1, vcc_lo
	v_add_co_ci_u32_e32 v19, vcc_lo, 0, v19, vcc_lo
	s_delay_alu instid0(VALU_DEP_2)
	v_lshrrev_b32_e32 v165, v166, v165
; %bb.645:                              ;   in Loop: Header=BB4_393 Depth=4
	s_and_not1_saveexec_b32 s13, s13
; %bb.646:                              ;   in Loop: Header=BB4_393 Depth=4
	s_delay_alu instid0(VALU_DEP_1)
	v_bfe_u32 v19, v165, 23, 1
; %bb.647:                              ;   in Loop: Header=BB4_393 Depth=4
	s_or_b32 exec_lo, exec_lo, s13
	v_lshrrev_b32_e32 v165, 20, v165
	s_delay_alu instid0(VALU_DEP_2) | instskip(SKIP_2) | instid1(VALU_DEP_2)
	v_cmp_gt_i32_e32 vcc_lo, 16, v19
	v_min_i32_e32 v166, 15, v19
	v_lshrrev_b32_e32 v23, 24, v23
	v_dual_cndmask_b32 v165, 7, v165 :: v_dual_lshlrev_b32 v166, 3, v166
	s_delay_alu instid0(VALU_DEP_2) | instskip(NEXT) | instid1(VALU_DEP_2)
	v_and_b32_e32 v23, 0x80, v23
	v_or_b32_e32 v19, v19, v165
	v_and_b32_e32 v167, 7, v165
	s_delay_alu instid0(VALU_DEP_2) | instskip(SKIP_1) | instid1(VALU_DEP_1)
	v_cmp_ne_u32_e32 vcc_lo, 0, v19
	v_and_b32_e32 v166, 0xf8, v166
	v_or3_b32 v23, v23, v166, v167
	s_delay_alu instid0(VALU_DEP_1) | instskip(NEXT) | instid1(VALU_DEP_1)
	v_lshlrev_b32_e32 v23, 8, v23
	v_cndmask_b32_e32 v19, 0, v23, vcc_lo
.LBB4_648:                              ;   in Loop: Header=BB4_393 Depth=4
	s_or_b32 exec_lo, exec_lo, s31
.LBB4_649:                              ;   in Loop: Header=BB4_393 Depth=4
	s_delay_alu instid0(SALU_CYCLE_1) | instskip(SKIP_3) | instid1(VALU_DEP_1)
	s_or_b32 exec_lo, exec_lo, s29
	v_and_b32_e32 v165, 0xff, v12
	s_mov_b32 s13, 0
	s_mov_b32 s31, exec_lo
                                        ; implicit-def: $sgpr29
	v_cmpx_lt_i16_e64 0x7f, v165
	s_xor_b32 s31, exec_lo, s31
	s_cbranch_execnz .LBB4_1031
; %bb.650:                              ;   in Loop: Header=BB4_393 Depth=4
	s_or_saveexec_b32 s31, s31
	v_mov_b32_e32 v23, s29
	s_xor_b32 exec_lo, exec_lo, s31
	s_cbranch_execnz .LBB4_1034
.LBB4_651:                              ;   in Loop: Header=BB4_393 Depth=4
	s_or_b32 exec_lo, exec_lo, s31
	s_and_saveexec_b32 s29, s13
	s_cbranch_execz .LBB4_653
.LBB4_652:                              ;   in Loop: Header=BB4_393 Depth=4
	v_and_b32_e32 v23, 7, v12
	v_bfe_u32 v167, v12, 3, 4
	s_delay_alu instid0(VALU_DEP_2) | instskip(NEXT) | instid1(VALU_DEP_2)
	v_clz_i32_u32_e32 v165, v23
	v_cmp_eq_u32_e32 vcc_lo, 0, v167
	s_delay_alu instid0(VALU_DEP_2) | instskip(NEXT) | instid1(VALU_DEP_1)
	v_min_u32_e32 v165, 32, v165
	v_subrev_nc_u32_e32 v166, 28, v165
	v_sub_nc_u32_e32 v165, 29, v165
	s_delay_alu instid0(VALU_DEP_1) | instskip(NEXT) | instid1(VALU_DEP_1)
	v_dual_cndmask_b32 v165, v167, v165 :: v_dual_lshlrev_b32 v166, v166, v12
	v_and_b32_e32 v166, 7, v166
	v_lshlrev_b32_e32 v176, 24, v12
	s_delay_alu instid0(VALU_DEP_3) | instskip(NEXT) | instid1(VALU_DEP_2)
	v_lshl_add_u32 v165, v165, 23, 0x3b800000
	v_dual_cndmask_b32 v23, v23, v166 :: v_dual_and_b32 v166, 0x80000000, v176
	s_delay_alu instid0(VALU_DEP_1) | instskip(NEXT) | instid1(VALU_DEP_1)
	v_lshlrev_b32_e32 v23, 20, v23
	v_or3_b32 v23, v166, v165, v23
.LBB4_653:                              ;   in Loop: Header=BB4_393 Depth=4
	s_or_b32 exec_lo, exec_lo, s29
	s_waitcnt vmcnt(0)
	v_and_b32_e32 v166, 0xff, v8
	s_mov_b32 s13, 0
	s_mov_b32 s31, exec_lo
                                        ; implicit-def: $sgpr29
	s_delay_alu instid0(VALU_DEP_1)
	v_cmpx_lt_i16_e64 0x7f, v166
	s_xor_b32 s31, exec_lo, s31
	s_cbranch_execnz .LBB4_1035
; %bb.654:                              ;   in Loop: Header=BB4_393 Depth=4
	s_or_saveexec_b32 s31, s31
	v_mov_b32_e32 v165, s29
	s_xor_b32 exec_lo, exec_lo, s31
	s_cbranch_execnz .LBB4_1038
.LBB4_655:                              ;   in Loop: Header=BB4_393 Depth=4
	s_or_b32 exec_lo, exec_lo, s31
	s_and_saveexec_b32 s29, s13
	s_cbranch_execz .LBB4_657
.LBB4_656:                              ;   in Loop: Header=BB4_393 Depth=4
	v_bfe_u32 v176, v8, 3, 4
	v_lshlrev_b32_e32 v177, 24, v8
	s_delay_alu instid0(VALU_DEP_2) | instskip(SKIP_1) | instid1(VALU_DEP_1)
	v_cmp_eq_u32_e32 vcc_lo, 0, v176
	v_and_b32_e32 v165, 7, v8
	v_clz_i32_u32_e32 v166, v165
	s_delay_alu instid0(VALU_DEP_1) | instskip(NEXT) | instid1(VALU_DEP_1)
	v_min_u32_e32 v166, 32, v166
	v_subrev_nc_u32_e32 v167, 28, v166
	v_sub_nc_u32_e32 v166, 29, v166
	s_delay_alu instid0(VALU_DEP_1) | instskip(NEXT) | instid1(VALU_DEP_1)
	v_dual_cndmask_b32 v166, v176, v166 :: v_dual_lshlrev_b32 v167, v167, v8
	v_and_b32_e32 v167, 7, v167
	s_delay_alu instid0(VALU_DEP_2) | instskip(NEXT) | instid1(VALU_DEP_2)
	v_lshl_add_u32 v166, v166, 23, 0x3b800000
	v_cndmask_b32_e32 v165, v165, v167, vcc_lo
	v_and_b32_e32 v167, 0x80000000, v177
	s_delay_alu instid0(VALU_DEP_2) | instskip(NEXT) | instid1(VALU_DEP_1)
	v_lshlrev_b32_e32 v165, 20, v165
	v_or3_b32 v165, v167, v166, v165
.LBB4_657:                              ;   in Loop: Header=BB4_393 Depth=4
	s_or_b32 exec_lo, exec_lo, s29
	s_delay_alu instid0(VALU_DEP_1) | instskip(NEXT) | instid1(VALU_DEP_1)
	v_add_f32_e32 v165, v23, v165
	v_and_b32_e32 v23, 0x7f800000, v165
	s_delay_alu instid0(VALU_DEP_1)
	v_cmp_ne_u32_e32 vcc_lo, 0x7f800000, v23
	v_mov_b32_e32 v23, 0x80
	s_and_saveexec_b32 s29, vcc_lo
	s_cbranch_execz .LBB4_665
; %bb.658:                              ;   in Loop: Header=BB4_393 Depth=4
	v_mov_b32_e32 v23, 0
	s_mov_b32 s31, exec_lo
	v_cmpx_ne_u32_e32 0, v165
	s_cbranch_execz .LBB4_664
; %bb.659:                              ;   in Loop: Header=BB4_393 Depth=4
	v_bfe_u32 v23, v165, 23, 8
	s_delay_alu instid0(VALU_DEP_1) | instskip(SKIP_1) | instid1(VALU_DEP_2)
	v_sub_nc_u32_e32 v167, 0x78, v23
	v_cmp_gt_u32_e32 vcc_lo, 0x79, v23
	v_dual_cndmask_b32 v167, 0, v167 :: v_dual_and_b32 v166, 0x7fffff, v165
	s_delay_alu instid0(VALU_DEP_1) | instskip(SKIP_2) | instid1(VALU_DEP_4)
	v_or_b32_e32 v176, 0x800000, v166
	v_cmp_eq_u32_e32 vcc_lo, 0, v23
	v_add_nc_u32_e32 v23, 0xffffff89, v23
	v_cndmask_b32_e64 v167, v167, 0x77, vcc_lo
	s_delay_alu instid0(VALU_DEP_4) | instskip(NEXT) | instid1(VALU_DEP_3)
	v_cndmask_b32_e32 v166, v176, v166, vcc_lo
	v_cndmask_b32_e64 v23, v23, 0xffffff8a, vcc_lo
	s_delay_alu instid0(VALU_DEP_3) | instskip(NEXT) | instid1(VALU_DEP_3)
	v_lshl_add_u32 v176, 0x100000, v167, -1
	v_lshrrev_b32_e32 v177, v167, v166
	v_lshlrev_b32_e64 v179, v167, 0x80000
	s_delay_alu instid0(VALU_DEP_4) | instskip(NEXT) | instid1(VALU_DEP_4)
	v_add_nc_u32_e32 v167, v167, v23
	v_and_b32_e32 v166, v176, v166
	s_delay_alu instid0(VALU_DEP_4) | instskip(NEXT) | instid1(VALU_DEP_2)
	v_bfe_u32 v178, v177, 20, 1
	v_cmp_eq_u32_e64 s13, v166, v179
	s_delay_alu instid0(VALU_DEP_2) | instskip(NEXT) | instid1(VALU_DEP_1)
	v_add_nc_u32_e32 v176, -1, v178
	v_cndmask_b32_e64 v166, 0, v176, s13
	v_lshrrev_b32_e32 v176, 23, v177
	s_mov_b32 s13, exec_lo
	s_delay_alu instid0(VALU_DEP_2) | instskip(NEXT) | instid1(VALU_DEP_2)
	v_add_nc_u32_e32 v166, v166, v177
	v_xor_b32_e32 v176, 1, v176
	s_delay_alu instid0(VALU_DEP_2) | instskip(NEXT) | instid1(VALU_DEP_1)
	v_and_b32_e32 v23, 0xfffff, v166
	v_add_nc_u32_e32 v166, v23, v177
                                        ; implicit-def: $vgpr23
	s_delay_alu instid0(VALU_DEP_3)
	v_cmpx_ne_u32_e64 v167, v176
	s_xor_b32 s13, exec_lo, s13
; %bb.660:                              ;   in Loop: Header=BB4_393 Depth=4
	s_delay_alu instid0(VALU_DEP_2) | instskip(SKIP_2) | instid1(VALU_DEP_2)
	v_cmp_lt_u32_e32 vcc_lo, 0xffffff, v166
	v_sub_nc_u32_e32 v23, v167, v176
	v_cndmask_b32_e64 v167, 0, 1, vcc_lo
	v_add_co_ci_u32_e32 v23, vcc_lo, 0, v23, vcc_lo
	s_delay_alu instid0(VALU_DEP_2)
	v_lshrrev_b32_e32 v166, v167, v166
; %bb.661:                              ;   in Loop: Header=BB4_393 Depth=4
	s_and_not1_saveexec_b32 s13, s13
; %bb.662:                              ;   in Loop: Header=BB4_393 Depth=4
	s_delay_alu instid0(VALU_DEP_1)
	v_bfe_u32 v23, v166, 23, 1
; %bb.663:                              ;   in Loop: Header=BB4_393 Depth=4
	s_or_b32 exec_lo, exec_lo, s13
	v_lshrrev_b32_e32 v166, 20, v166
	s_delay_alu instid0(VALU_DEP_2) | instskip(SKIP_2) | instid1(VALU_DEP_2)
	v_cmp_gt_i32_e32 vcc_lo, 16, v23
	v_lshrrev_b32_e32 v165, 24, v165
	v_min_i32_e32 v167, 15, v23
	v_dual_cndmask_b32 v166, 7, v166 :: v_dual_and_b32 v165, 0x80, v165
	s_delay_alu instid0(VALU_DEP_2) | instskip(NEXT) | instid1(VALU_DEP_2)
	v_lshlrev_b32_e32 v167, 3, v167
	v_or_b32_e32 v23, v23, v166
	s_delay_alu instid0(VALU_DEP_1) | instskip(SKIP_1) | instid1(VALU_DEP_1)
	v_cmp_ne_u32_e32 vcc_lo, 0, v23
	v_and_b32_e32 v176, 7, v166
	v_or3_b32 v165, v167, v165, v176
	s_delay_alu instid0(VALU_DEP_1)
	v_cndmask_b32_e32 v23, 0, v165, vcc_lo
.LBB4_664:                              ;   in Loop: Header=BB4_393 Depth=4
	s_or_b32 exec_lo, exec_lo, s31
.LBB4_665:                              ;   in Loop: Header=BB4_393 Depth=4
	s_delay_alu instid0(SALU_CYCLE_1) | instskip(SKIP_3) | instid1(VALU_DEP_1)
	s_or_b32 exec_lo, exec_lo, s29
	v_lshrrev_b16 v166, 8, v12
	s_mov_b32 s13, 0
	s_mov_b32 s31, exec_lo
                                        ; implicit-def: $sgpr29
	v_cmpx_lt_i16_e64 0x7f, v166
	s_xor_b32 s31, exec_lo, s31
	s_cbranch_execnz .LBB4_1039
; %bb.666:                              ;   in Loop: Header=BB4_393 Depth=4
	s_or_saveexec_b32 s31, s31
	v_mov_b32_e32 v165, s29
	s_xor_b32 exec_lo, exec_lo, s31
	s_cbranch_execnz .LBB4_1042
.LBB4_667:                              ;   in Loop: Header=BB4_393 Depth=4
	s_or_b32 exec_lo, exec_lo, s31
	s_and_saveexec_b32 s29, s13
	s_cbranch_execz .LBB4_669
.LBB4_668:                              ;   in Loop: Header=BB4_393 Depth=4
	v_and_b32_e32 v165, 0xffff, v166
	s_delay_alu instid0(VALU_DEP_1) | instskip(NEXT) | instid1(VALU_DEP_1)
	v_and_b32_e32 v167, 7, v165
	v_clz_i32_u32_e32 v176, v167
	s_delay_alu instid0(VALU_DEP_1) | instskip(NEXT) | instid1(VALU_DEP_1)
	v_min_u32_e32 v176, 32, v176
	v_subrev_nc_u32_e32 v177, 28, v176
	v_sub_nc_u32_e32 v176, 29, v176
	s_delay_alu instid0(VALU_DEP_2) | instskip(SKIP_1) | instid1(VALU_DEP_2)
	v_lshlrev_b32_e32 v177, v177, v165
	v_bfe_u32 v165, v165, 3, 4
	v_and_b32_e32 v177, 7, v177
	s_delay_alu instid0(VALU_DEP_2) | instskip(SKIP_1) | instid1(VALU_DEP_1)
	v_cmp_eq_u32_e32 vcc_lo, 0, v165
	v_dual_cndmask_b32 v165, v165, v176 :: v_dual_lshlrev_b32 v166, 24, v166
	v_dual_cndmask_b32 v167, v167, v177 :: v_dual_and_b32 v166, 0x80000000, v166
	s_delay_alu instid0(VALU_DEP_2) | instskip(NEXT) | instid1(VALU_DEP_2)
	v_lshl_add_u32 v165, v165, 23, 0x3b800000
	v_lshlrev_b32_e32 v167, 20, v167
	s_delay_alu instid0(VALU_DEP_1)
	v_or3_b32 v165, v166, v165, v167
.LBB4_669:                              ;   in Loop: Header=BB4_393 Depth=4
	s_or_b32 exec_lo, exec_lo, s29
	v_lshrrev_b16 v166, 8, v8
	s_mov_b32 s13, 0
	s_mov_b32 s31, exec_lo
                                        ; implicit-def: $sgpr29
	s_delay_alu instid0(VALU_DEP_1)
	v_cmpx_lt_i16_e64 0x7f, v166
	s_xor_b32 s31, exec_lo, s31
	s_cbranch_execnz .LBB4_1043
; %bb.670:                              ;   in Loop: Header=BB4_393 Depth=4
	s_or_saveexec_b32 s31, s31
	v_mov_b32_e32 v167, s29
	s_xor_b32 exec_lo, exec_lo, s31
	s_cbranch_execnz .LBB4_1046
.LBB4_671:                              ;   in Loop: Header=BB4_393 Depth=4
	s_or_b32 exec_lo, exec_lo, s31
	s_and_saveexec_b32 s29, s13
	s_cbranch_execz .LBB4_673
.LBB4_672:                              ;   in Loop: Header=BB4_393 Depth=4
	v_and_b32_e32 v167, 0xffff, v166
	v_lshlrev_b32_e32 v166, 24, v166
	s_delay_alu instid0(VALU_DEP_2) | instskip(NEXT) | instid1(VALU_DEP_2)
	v_and_b32_e32 v176, 7, v167
	v_and_b32_e32 v166, 0x80000000, v166
	s_delay_alu instid0(VALU_DEP_2) | instskip(NEXT) | instid1(VALU_DEP_1)
	v_clz_i32_u32_e32 v177, v176
	v_min_u32_e32 v177, 32, v177
	s_delay_alu instid0(VALU_DEP_1) | instskip(SKIP_1) | instid1(VALU_DEP_2)
	v_subrev_nc_u32_e32 v178, 28, v177
	v_sub_nc_u32_e32 v177, 29, v177
	v_lshlrev_b32_e32 v178, v178, v167
	v_bfe_u32 v167, v167, 3, 4
	s_delay_alu instid0(VALU_DEP_2) | instskip(NEXT) | instid1(VALU_DEP_2)
	v_and_b32_e32 v178, 7, v178
	v_cmp_eq_u32_e32 vcc_lo, 0, v167
	s_delay_alu instid0(VALU_DEP_2) | instskip(NEXT) | instid1(VALU_DEP_1)
	v_dual_cndmask_b32 v167, v167, v177 :: v_dual_cndmask_b32 v176, v176, v178
	v_lshl_add_u32 v167, v167, 23, 0x3b800000
	s_delay_alu instid0(VALU_DEP_2) | instskip(NEXT) | instid1(VALU_DEP_1)
	v_lshlrev_b32_e32 v176, 20, v176
	v_or3_b32 v167, v166, v167, v176
.LBB4_673:                              ;   in Loop: Header=BB4_393 Depth=4
	s_or_b32 exec_lo, exec_lo, s29
	s_delay_alu instid0(VALU_DEP_1) | instskip(NEXT) | instid1(VALU_DEP_1)
	v_add_f32_e32 v166, v165, v167
	v_and_b32_e32 v165, 0x7f800000, v166
	s_delay_alu instid0(VALU_DEP_1)
	v_cmp_ne_u32_e32 vcc_lo, 0x7f800000, v165
	v_mov_b32_e32 v165, 0x80
	s_and_saveexec_b32 s29, vcc_lo
	s_cbranch_execz .LBB4_681
; %bb.674:                              ;   in Loop: Header=BB4_393 Depth=4
	v_mov_b32_e32 v165, 0
	s_mov_b32 s31, exec_lo
	v_cmpx_ne_u32_e32 0, v166
	s_cbranch_execz .LBB4_680
; %bb.675:                              ;   in Loop: Header=BB4_393 Depth=4
	v_bfe_u32 v165, v166, 23, 8
	s_delay_alu instid0(VALU_DEP_1) | instskip(SKIP_1) | instid1(VALU_DEP_2)
	v_sub_nc_u32_e32 v176, 0x78, v165
	v_cmp_gt_u32_e32 vcc_lo, 0x79, v165
	v_dual_cndmask_b32 v176, 0, v176 :: v_dual_and_b32 v167, 0x7fffff, v166
	s_delay_alu instid0(VALU_DEP_1) | instskip(SKIP_2) | instid1(VALU_DEP_4)
	v_or_b32_e32 v177, 0x800000, v167
	v_cmp_eq_u32_e32 vcc_lo, 0, v165
	v_add_nc_u32_e32 v165, 0xffffff89, v165
	v_cndmask_b32_e64 v176, v176, 0x77, vcc_lo
	s_delay_alu instid0(VALU_DEP_2) | instskip(SKIP_1) | instid1(VALU_DEP_3)
	v_cndmask_b32_e64 v165, v165, 0xffffff8a, vcc_lo
	v_cndmask_b32_e32 v167, v177, v167, vcc_lo
	v_lshl_add_u32 v177, 0x100000, v176, -1
	v_lshlrev_b32_e64 v180, v176, 0x80000
	s_delay_alu instid0(VALU_DEP_3) | instskip(SKIP_1) | instid1(VALU_DEP_4)
	v_lshrrev_b32_e32 v178, v176, v167
	v_add_nc_u32_e32 v176, v176, v165
	v_and_b32_e32 v167, v177, v167
	s_delay_alu instid0(VALU_DEP_3) | instskip(NEXT) | instid1(VALU_DEP_2)
	v_bfe_u32 v179, v178, 20, 1
	v_cmp_eq_u32_e64 s13, v167, v180
	s_delay_alu instid0(VALU_DEP_2) | instskip(NEXT) | instid1(VALU_DEP_1)
	v_add_nc_u32_e32 v177, -1, v179
	v_cndmask_b32_e64 v167, 0, v177, s13
	v_lshrrev_b32_e32 v177, 23, v178
	s_mov_b32 s13, exec_lo
	s_delay_alu instid0(VALU_DEP_2) | instskip(NEXT) | instid1(VALU_DEP_2)
	v_add_nc_u32_e32 v167, v167, v178
	v_xor_b32_e32 v177, 1, v177
	s_delay_alu instid0(VALU_DEP_2) | instskip(NEXT) | instid1(VALU_DEP_1)
	v_and_b32_e32 v165, 0xfffff, v167
	v_add_nc_u32_e32 v167, v165, v178
                                        ; implicit-def: $vgpr165
	s_delay_alu instid0(VALU_DEP_3)
	v_cmpx_ne_u32_e64 v176, v177
	s_xor_b32 s13, exec_lo, s13
; %bb.676:                              ;   in Loop: Header=BB4_393 Depth=4
	s_delay_alu instid0(VALU_DEP_2) | instskip(SKIP_2) | instid1(VALU_DEP_2)
	v_cmp_lt_u32_e32 vcc_lo, 0xffffff, v167
	v_sub_nc_u32_e32 v165, v176, v177
	v_cndmask_b32_e64 v176, 0, 1, vcc_lo
	v_add_co_ci_u32_e32 v165, vcc_lo, 0, v165, vcc_lo
	s_delay_alu instid0(VALU_DEP_2)
	v_lshrrev_b32_e32 v167, v176, v167
; %bb.677:                              ;   in Loop: Header=BB4_393 Depth=4
	s_and_not1_saveexec_b32 s13, s13
; %bb.678:                              ;   in Loop: Header=BB4_393 Depth=4
	s_delay_alu instid0(VALU_DEP_1)
	v_bfe_u32 v165, v167, 23, 1
; %bb.679:                              ;   in Loop: Header=BB4_393 Depth=4
	s_or_b32 exec_lo, exec_lo, s13
	v_lshrrev_b32_e32 v167, 20, v167
	s_delay_alu instid0(VALU_DEP_2) | instskip(SKIP_2) | instid1(VALU_DEP_2)
	v_cmp_gt_i32_e32 vcc_lo, 16, v165
	v_lshrrev_b32_e32 v166, 24, v166
	v_min_i32_e32 v176, 15, v165
	v_dual_cndmask_b32 v167, 7, v167 :: v_dual_and_b32 v166, 0x80, v166
	s_delay_alu instid0(VALU_DEP_1) | instskip(SKIP_1) | instid1(VALU_DEP_2)
	v_or_b32_e32 v165, v165, v167
	v_and_b32_e32 v177, 7, v167
	v_cmp_ne_u32_e32 vcc_lo, 0, v165
	v_lshlrev_b32_e32 v176, 3, v176
	s_delay_alu instid0(VALU_DEP_1) | instskip(NEXT) | instid1(VALU_DEP_1)
	v_or3_b32 v166, v176, v166, v177
	v_cndmask_b32_e32 v165, 0, v166, vcc_lo
.LBB4_680:                              ;   in Loop: Header=BB4_393 Depth=4
	s_or_b32 exec_lo, exec_lo, s31
.LBB4_681:                              ;   in Loop: Header=BB4_393 Depth=4
	s_delay_alu instid0(SALU_CYCLE_1) | instskip(SKIP_3) | instid1(VALU_DEP_1)
	s_or_b32 exec_lo, exec_lo, s29
	v_lshrrev_b32_e32 v167, 16, v12
	s_mov_b32 s13, 0
	s_mov_b32 s31, exec_lo
                                        ; implicit-def: $sgpr29
	v_and_b32_e32 v176, 0xff, v167
	s_delay_alu instid0(VALU_DEP_1)
	v_cmpx_lt_i16_e64 0x7f, v176
	s_xor_b32 s31, exec_lo, s31
	s_cbranch_execnz .LBB4_1047
; %bb.682:                              ;   in Loop: Header=BB4_393 Depth=4
	s_or_saveexec_b32 s31, s31
	v_mov_b32_e32 v166, s29
	s_xor_b32 exec_lo, exec_lo, s31
	s_cbranch_execnz .LBB4_1050
.LBB4_683:                              ;   in Loop: Header=BB4_393 Depth=4
	s_or_b32 exec_lo, exec_lo, s31
	s_and_saveexec_b32 s29, s13
	s_cbranch_execz .LBB4_685
.LBB4_684:                              ;   in Loop: Header=BB4_393 Depth=4
	v_bfe_u32 v166, v12, 16, 3
	v_lshlrev_b32_e32 v178, 8, v12
	s_delay_alu instid0(VALU_DEP_2) | instskip(NEXT) | instid1(VALU_DEP_1)
	v_clz_i32_u32_e32 v176, v166
	v_min_u32_e32 v176, 32, v176
	s_delay_alu instid0(VALU_DEP_1) | instskip(SKIP_1) | instid1(VALU_DEP_2)
	v_subrev_nc_u32_e32 v177, 28, v176
	v_sub_nc_u32_e32 v176, 29, v176
	v_lshlrev_b32_e32 v167, v177, v167
	v_bfe_u32 v177, v12, 19, 4
	s_delay_alu instid0(VALU_DEP_1) | instskip(NEXT) | instid1(VALU_DEP_3)
	v_cmp_eq_u32_e32 vcc_lo, 0, v177
	v_dual_cndmask_b32 v176, v177, v176 :: v_dual_and_b32 v167, 7, v167
	s_delay_alu instid0(VALU_DEP_1) | instskip(NEXT) | instid1(VALU_DEP_2)
	v_dual_cndmask_b32 v166, v166, v167 :: v_dual_and_b32 v167, 0x80000000, v178
	v_lshl_add_u32 v176, v176, 23, 0x3b800000
	s_delay_alu instid0(VALU_DEP_2) | instskip(NEXT) | instid1(VALU_DEP_1)
	v_lshlrev_b32_e32 v166, 20, v166
	v_or3_b32 v166, v167, v176, v166
.LBB4_685:                              ;   in Loop: Header=BB4_393 Depth=4
	s_or_b32 exec_lo, exec_lo, s29
	v_lshrrev_b32_e32 v167, 16, v8
	s_mov_b32 s13, 0
	s_mov_b32 s31, exec_lo
                                        ; implicit-def: $sgpr29
	s_delay_alu instid0(VALU_DEP_1) | instskip(NEXT) | instid1(VALU_DEP_1)
	v_and_b32_e32 v177, 0xff, v167
	v_cmpx_lt_i16_e64 0x7f, v177
	s_xor_b32 s31, exec_lo, s31
	s_cbranch_execnz .LBB4_1051
; %bb.686:                              ;   in Loop: Header=BB4_393 Depth=4
	s_or_saveexec_b32 s31, s31
	v_mov_b32_e32 v176, s29
	s_xor_b32 exec_lo, exec_lo, s31
	s_cbranch_execnz .LBB4_1054
.LBB4_687:                              ;   in Loop: Header=BB4_393 Depth=4
	s_or_b32 exec_lo, exec_lo, s31
	s_and_saveexec_b32 s29, s13
	s_cbranch_execz .LBB4_689
.LBB4_688:                              ;   in Loop: Header=BB4_393 Depth=4
	v_bfe_u32 v176, v8, 16, 3
	v_lshlrev_b32_e32 v179, 8, v8
	s_delay_alu instid0(VALU_DEP_2) | instskip(NEXT) | instid1(VALU_DEP_1)
	v_clz_i32_u32_e32 v177, v176
	v_min_u32_e32 v177, 32, v177
	s_delay_alu instid0(VALU_DEP_1) | instskip(SKIP_1) | instid1(VALU_DEP_2)
	v_subrev_nc_u32_e32 v178, 28, v177
	v_sub_nc_u32_e32 v177, 29, v177
	v_lshlrev_b32_e32 v167, v178, v167
	v_bfe_u32 v178, v8, 19, 4
	s_delay_alu instid0(VALU_DEP_2) | instskip(NEXT) | instid1(VALU_DEP_2)
	v_and_b32_e32 v167, 7, v167
	v_cmp_eq_u32_e32 vcc_lo, 0, v178
	v_cndmask_b32_e32 v177, v178, v177, vcc_lo
	s_delay_alu instid0(VALU_DEP_3) | instskip(SKIP_1) | instid1(VALU_DEP_3)
	v_cndmask_b32_e32 v167, v176, v167, vcc_lo
	v_and_b32_e32 v176, 0x80000000, v179
	v_lshl_add_u32 v177, v177, 23, 0x3b800000
	s_delay_alu instid0(VALU_DEP_3) | instskip(NEXT) | instid1(VALU_DEP_1)
	v_lshlrev_b32_e32 v167, 20, v167
	v_or3_b32 v176, v176, v177, v167
.LBB4_689:                              ;   in Loop: Header=BB4_393 Depth=4
	s_or_b32 exec_lo, exec_lo, s29
	s_delay_alu instid0(VALU_DEP_1) | instskip(NEXT) | instid1(VALU_DEP_1)
	v_add_f32_e32 v167, v166, v176
	v_and_b32_e32 v166, 0x7f800000, v167
	s_delay_alu instid0(VALU_DEP_1)
	v_cmp_ne_u32_e32 vcc_lo, 0x7f800000, v166
	v_mov_b32_e32 v166, 0x80
	s_and_saveexec_b32 s29, vcc_lo
	s_cbranch_execz .LBB4_697
; %bb.690:                              ;   in Loop: Header=BB4_393 Depth=4
	v_mov_b32_e32 v166, 0
	s_mov_b32 s31, exec_lo
	v_cmpx_ne_u32_e32 0, v167
	s_cbranch_execz .LBB4_696
; %bb.691:                              ;   in Loop: Header=BB4_393 Depth=4
	v_bfe_u32 v166, v167, 23, 8
	s_delay_alu instid0(VALU_DEP_1) | instskip(SKIP_1) | instid1(VALU_DEP_2)
	v_sub_nc_u32_e32 v177, 0x78, v166
	v_cmp_gt_u32_e32 vcc_lo, 0x79, v166
	v_dual_cndmask_b32 v177, 0, v177 :: v_dual_and_b32 v176, 0x7fffff, v167
	s_delay_alu instid0(VALU_DEP_1) | instskip(SKIP_2) | instid1(VALU_DEP_4)
	v_or_b32_e32 v178, 0x800000, v176
	v_cmp_eq_u32_e32 vcc_lo, 0, v166
	v_add_nc_u32_e32 v166, 0xffffff89, v166
	v_cndmask_b32_e64 v177, v177, 0x77, vcc_lo
	s_delay_alu instid0(VALU_DEP_2) | instskip(SKIP_1) | instid1(VALU_DEP_3)
	v_cndmask_b32_e64 v166, v166, 0xffffff8a, vcc_lo
	v_cndmask_b32_e32 v176, v178, v176, vcc_lo
	v_lshl_add_u32 v178, 0x100000, v177, -1
	v_lshlrev_b32_e64 v181, v177, 0x80000
	s_delay_alu instid0(VALU_DEP_3) | instskip(SKIP_1) | instid1(VALU_DEP_4)
	v_lshrrev_b32_e32 v179, v177, v176
	v_add_nc_u32_e32 v177, v177, v166
	v_and_b32_e32 v176, v178, v176
	s_delay_alu instid0(VALU_DEP_3) | instskip(NEXT) | instid1(VALU_DEP_2)
	v_bfe_u32 v180, v179, 20, 1
	v_cmp_eq_u32_e64 s13, v176, v181
	s_delay_alu instid0(VALU_DEP_2) | instskip(NEXT) | instid1(VALU_DEP_1)
	v_add_nc_u32_e32 v178, -1, v180
	v_cndmask_b32_e64 v176, 0, v178, s13
	v_lshrrev_b32_e32 v178, 23, v179
	s_mov_b32 s13, exec_lo
	s_delay_alu instid0(VALU_DEP_2) | instskip(NEXT) | instid1(VALU_DEP_2)
	v_add_nc_u32_e32 v176, v176, v179
	v_xor_b32_e32 v178, 1, v178
	s_delay_alu instid0(VALU_DEP_2) | instskip(NEXT) | instid1(VALU_DEP_1)
	v_and_b32_e32 v166, 0xfffff, v176
	v_add_nc_u32_e32 v176, v166, v179
                                        ; implicit-def: $vgpr166
	s_delay_alu instid0(VALU_DEP_3)
	v_cmpx_ne_u32_e64 v177, v178
	s_xor_b32 s13, exec_lo, s13
; %bb.692:                              ;   in Loop: Header=BB4_393 Depth=4
	s_delay_alu instid0(VALU_DEP_2) | instskip(SKIP_2) | instid1(VALU_DEP_2)
	v_cmp_lt_u32_e32 vcc_lo, 0xffffff, v176
	v_sub_nc_u32_e32 v166, v177, v178
	v_cndmask_b32_e64 v177, 0, 1, vcc_lo
	v_add_co_ci_u32_e32 v166, vcc_lo, 0, v166, vcc_lo
	s_delay_alu instid0(VALU_DEP_2)
	v_lshrrev_b32_e32 v176, v177, v176
; %bb.693:                              ;   in Loop: Header=BB4_393 Depth=4
	s_and_not1_saveexec_b32 s13, s13
; %bb.694:                              ;   in Loop: Header=BB4_393 Depth=4
	s_delay_alu instid0(VALU_DEP_1)
	v_bfe_u32 v166, v176, 23, 1
; %bb.695:                              ;   in Loop: Header=BB4_393 Depth=4
	s_or_b32 exec_lo, exec_lo, s13
	v_lshrrev_b32_e32 v176, 20, v176
	s_delay_alu instid0(VALU_DEP_2) | instskip(SKIP_2) | instid1(VALU_DEP_2)
	v_cmp_gt_i32_e32 vcc_lo, 16, v166
	v_lshrrev_b32_e32 v167, 24, v167
	v_min_i32_e32 v177, 15, v166
	v_dual_cndmask_b32 v176, 7, v176 :: v_dual_and_b32 v167, 0x80, v167
	s_delay_alu instid0(VALU_DEP_1) | instskip(SKIP_1) | instid1(VALU_DEP_2)
	v_or_b32_e32 v166, v166, v176
	v_and_b32_e32 v178, 7, v176
	v_cmp_ne_u32_e32 vcc_lo, 0, v166
	v_lshlrev_b32_e32 v177, 3, v177
	s_delay_alu instid0(VALU_DEP_1) | instskip(NEXT) | instid1(VALU_DEP_1)
	v_or3_b32 v167, v177, v167, v178
	v_cndmask_b32_e32 v166, 0, v167, vcc_lo
.LBB4_696:                              ;   in Loop: Header=BB4_393 Depth=4
	s_or_b32 exec_lo, exec_lo, s31
.LBB4_697:                              ;   in Loop: Header=BB4_393 Depth=4
	s_delay_alu instid0(SALU_CYCLE_1) | instskip(SKIP_3) | instid1(VALU_DEP_1)
	s_or_b32 exec_lo, exec_lo, s29
	v_lshrrev_b32_e32 v176, 24, v12
	s_mov_b32 s13, 0
	s_mov_b32 s31, exec_lo
                                        ; implicit-def: $sgpr29
	v_cmpx_lt_i16_e64 0x7f, v176
	s_xor_b32 s31, exec_lo, s31
	s_cbranch_execnz .LBB4_1055
; %bb.698:                              ;   in Loop: Header=BB4_393 Depth=4
	s_or_saveexec_b32 s31, s31
	v_mov_b32_e32 v167, s29
	s_xor_b32 exec_lo, exec_lo, s31
	s_cbranch_execnz .LBB4_1058
.LBB4_699:                              ;   in Loop: Header=BB4_393 Depth=4
	s_or_b32 exec_lo, exec_lo, s31
	s_and_saveexec_b32 s29, s13
	s_cbranch_execz .LBB4_701
.LBB4_700:                              ;   in Loop: Header=BB4_393 Depth=4
	v_bfe_u32 v167, v12, 24, 3
	s_delay_alu instid0(VALU_DEP_1) | instskip(NEXT) | instid1(VALU_DEP_1)
	v_clz_i32_u32_e32 v177, v167
	v_min_u32_e32 v177, 32, v177
	s_delay_alu instid0(VALU_DEP_1) | instskip(SKIP_1) | instid1(VALU_DEP_2)
	v_subrev_nc_u32_e32 v178, 28, v177
	v_sub_nc_u32_e32 v177, 29, v177
	v_lshlrev_b32_e32 v176, v178, v176
	v_bfe_u32 v178, v12, 27, 4
	v_and_b32_e32 v12, 0x80000000, v12
	s_delay_alu instid0(VALU_DEP_2) | instskip(NEXT) | instid1(VALU_DEP_4)
	v_cmp_eq_u32_e32 vcc_lo, 0, v178
	v_dual_cndmask_b32 v177, v178, v177 :: v_dual_and_b32 v176, 7, v176
	s_delay_alu instid0(VALU_DEP_1) | instskip(NEXT) | instid1(VALU_DEP_2)
	v_cndmask_b32_e32 v167, v167, v176, vcc_lo
	v_lshl_add_u32 v176, v177, 23, 0x3b800000
	s_delay_alu instid0(VALU_DEP_2) | instskip(NEXT) | instid1(VALU_DEP_1)
	v_lshlrev_b32_e32 v167, 20, v167
	v_or3_b32 v167, v12, v176, v167
.LBB4_701:                              ;   in Loop: Header=BB4_393 Depth=4
	s_or_b32 exec_lo, exec_lo, s29
	v_lshrrev_b32_e32 v12, 24, v8
	s_mov_b32 s13, 0
	s_mov_b32 s31, exec_lo
                                        ; implicit-def: $sgpr29
	s_delay_alu instid0(VALU_DEP_1)
	v_cmpx_lt_i16_e32 0x7f, v12
	s_xor_b32 s31, exec_lo, s31
	s_cbranch_execnz .LBB4_1059
; %bb.702:                              ;   in Loop: Header=BB4_393 Depth=4
	s_or_saveexec_b32 s31, s31
	v_mov_b32_e32 v176, s29
	s_xor_b32 exec_lo, exec_lo, s31
	s_cbranch_execnz .LBB4_1062
.LBB4_703:                              ;   in Loop: Header=BB4_393 Depth=4
	s_or_b32 exec_lo, exec_lo, s31
	s_and_saveexec_b32 s29, s13
	s_cbranch_execz .LBB4_705
.LBB4_704:                              ;   in Loop: Header=BB4_393 Depth=4
	v_bfe_u32 v176, v8, 24, 3
	s_delay_alu instid0(VALU_DEP_1) | instskip(NEXT) | instid1(VALU_DEP_1)
	v_clz_i32_u32_e32 v177, v176
	v_min_u32_e32 v177, 32, v177
	s_delay_alu instid0(VALU_DEP_1) | instskip(SKIP_1) | instid1(VALU_DEP_2)
	v_subrev_nc_u32_e32 v178, 28, v177
	v_sub_nc_u32_e32 v177, 29, v177
	v_lshlrev_b32_e32 v12, v178, v12
	v_bfe_u32 v178, v8, 27, 4
	v_and_b32_e32 v8, 0x80000000, v8
	s_delay_alu instid0(VALU_DEP_2) | instskip(NEXT) | instid1(VALU_DEP_4)
	v_cmp_eq_u32_e32 vcc_lo, 0, v178
	v_dual_cndmask_b32 v177, v178, v177 :: v_dual_and_b32 v12, 7, v12
	s_delay_alu instid0(VALU_DEP_1) | instskip(NEXT) | instid1(VALU_DEP_2)
	v_cndmask_b32_e32 v12, v176, v12, vcc_lo
	v_lshl_add_u32 v176, v177, 23, 0x3b800000
	s_delay_alu instid0(VALU_DEP_2) | instskip(NEXT) | instid1(VALU_DEP_1)
	v_lshlrev_b32_e32 v12, 20, v12
	v_or3_b32 v176, v8, v176, v12
.LBB4_705:                              ;   in Loop: Header=BB4_393 Depth=4
	s_or_b32 exec_lo, exec_lo, s29
	s_delay_alu instid0(VALU_DEP_1) | instskip(NEXT) | instid1(VALU_DEP_1)
	v_add_f32_e32 v12, v167, v176
	v_and_b32_e32 v8, 0x7f800000, v12
	s_delay_alu instid0(VALU_DEP_1)
	v_cmp_ne_u32_e32 vcc_lo, 0x7f800000, v8
	v_mov_b32_e32 v8, 0x80
	s_and_saveexec_b32 s29, vcc_lo
	s_cbranch_execz .LBB4_713
; %bb.706:                              ;   in Loop: Header=BB4_393 Depth=4
	v_mov_b32_e32 v8, 0
	s_mov_b32 s31, exec_lo
	v_cmpx_ne_u32_e32 0, v12
	s_cbranch_execz .LBB4_712
; %bb.707:                              ;   in Loop: Header=BB4_393 Depth=4
	v_bfe_u32 v8, v12, 23, 8
	v_and_b32_e32 v167, 0x7fffff, v12
	s_delay_alu instid0(VALU_DEP_2) | instskip(SKIP_1) | instid1(VALU_DEP_3)
	v_sub_nc_u32_e32 v176, 0x78, v8
	v_cmp_gt_u32_e32 vcc_lo, 0x79, v8
	v_or_b32_e32 v177, 0x800000, v167
	s_delay_alu instid0(VALU_DEP_3) | instskip(SKIP_1) | instid1(VALU_DEP_3)
	v_cndmask_b32_e32 v176, 0, v176, vcc_lo
	v_cmp_eq_u32_e32 vcc_lo, 0, v8
	v_dual_cndmask_b32 v167, v177, v167 :: v_dual_add_nc_u32 v8, 0xffffff89, v8
	s_delay_alu instid0(VALU_DEP_3) | instskip(NEXT) | instid1(VALU_DEP_2)
	v_cndmask_b32_e64 v176, v176, 0x77, vcc_lo
	v_cndmask_b32_e64 v8, v8, 0xffffff8a, vcc_lo
	s_delay_alu instid0(VALU_DEP_2) | instskip(SKIP_2) | instid1(VALU_DEP_4)
	v_lshrrev_b32_e32 v178, v176, v167
	v_lshl_add_u32 v177, 0x100000, v176, -1
	v_lshlrev_b32_e64 v180, v176, 0x80000
	v_add_nc_u32_e32 v176, v176, v8
	s_delay_alu instid0(VALU_DEP_4) | instskip(NEXT) | instid1(VALU_DEP_4)
	v_bfe_u32 v179, v178, 20, 1
	v_and_b32_e32 v167, v177, v167
	s_delay_alu instid0(VALU_DEP_2) | instskip(NEXT) | instid1(VALU_DEP_2)
	v_add_nc_u32_e32 v177, -1, v179
	v_cmp_eq_u32_e64 s13, v167, v180
	s_delay_alu instid0(VALU_DEP_1) | instskip(SKIP_2) | instid1(VALU_DEP_2)
	v_cndmask_b32_e64 v167, 0, v177, s13
	v_lshrrev_b32_e32 v177, 23, v178
	s_mov_b32 s13, exec_lo
	v_add_nc_u32_e32 v167, v167, v178
	s_delay_alu instid0(VALU_DEP_2) | instskip(NEXT) | instid1(VALU_DEP_2)
	v_xor_b32_e32 v177, 1, v177
	v_and_b32_e32 v8, 0xfffff, v167
	s_delay_alu instid0(VALU_DEP_1) | instskip(NEXT) | instid1(VALU_DEP_3)
	v_add_nc_u32_e32 v167, v8, v178
                                        ; implicit-def: $vgpr8
	v_cmpx_ne_u32_e64 v176, v177
	s_xor_b32 s13, exec_lo, s13
; %bb.708:                              ;   in Loop: Header=BB4_393 Depth=4
	s_delay_alu instid0(VALU_DEP_2) | instskip(SKIP_2) | instid1(VALU_DEP_2)
	v_cmp_lt_u32_e32 vcc_lo, 0xffffff, v167
	v_sub_nc_u32_e32 v8, v176, v177
	v_cndmask_b32_e64 v176, 0, 1, vcc_lo
	v_add_co_ci_u32_e32 v8, vcc_lo, 0, v8, vcc_lo
	s_delay_alu instid0(VALU_DEP_2)
	v_lshrrev_b32_e32 v167, v176, v167
; %bb.709:                              ;   in Loop: Header=BB4_393 Depth=4
	s_and_not1_saveexec_b32 s13, s13
; %bb.710:                              ;   in Loop: Header=BB4_393 Depth=4
	s_delay_alu instid0(VALU_DEP_1)
	v_bfe_u32 v8, v167, 23, 1
; %bb.711:                              ;   in Loop: Header=BB4_393 Depth=4
	s_or_b32 exec_lo, exec_lo, s13
	v_lshrrev_b32_e32 v167, 20, v167
	s_delay_alu instid0(VALU_DEP_2) | instskip(SKIP_2) | instid1(VALU_DEP_2)
	v_cmp_gt_i32_e32 vcc_lo, 16, v8
	v_lshrrev_b32_e32 v12, 24, v12
	v_min_i32_e32 v176, 15, v8
	v_dual_cndmask_b32 v167, 7, v167 :: v_dual_and_b32 v12, 0x80, v12
	s_delay_alu instid0(VALU_DEP_2) | instskip(NEXT) | instid1(VALU_DEP_2)
	v_lshlrev_b32_e32 v176, 3, v176
	v_or_b32_e32 v8, v8, v167
	s_delay_alu instid0(VALU_DEP_1) | instskip(SKIP_1) | instid1(VALU_DEP_1)
	v_cmp_ne_u32_e32 vcc_lo, 0, v8
	v_and_b32_e32 v177, 7, v167
	v_or3_b32 v12, v176, v12, v177
	s_delay_alu instid0(VALU_DEP_1)
	v_cndmask_b32_e32 v8, 0, v12, vcc_lo
.LBB4_712:                              ;   in Loop: Header=BB4_393 Depth=4
	s_or_b32 exec_lo, exec_lo, s31
.LBB4_713:                              ;   in Loop: Header=BB4_393 Depth=4
	s_delay_alu instid0(SALU_CYCLE_1) | instskip(SKIP_3) | instid1(VALU_DEP_1)
	s_or_b32 exec_lo, exec_lo, s29
	v_and_b32_e32 v167, 0xff, v13
	s_mov_b32 s13, 0
	s_mov_b32 s31, exec_lo
                                        ; implicit-def: $sgpr29
	v_cmpx_lt_i16_e64 0x7f, v167
	s_xor_b32 s31, exec_lo, s31
	s_cbranch_execnz .LBB4_1063
; %bb.714:                              ;   in Loop: Header=BB4_393 Depth=4
	s_or_saveexec_b32 s31, s31
	v_mov_b32_e32 v12, s29
	s_xor_b32 exec_lo, exec_lo, s31
	s_cbranch_execnz .LBB4_1066
.LBB4_715:                              ;   in Loop: Header=BB4_393 Depth=4
	s_or_b32 exec_lo, exec_lo, s31
	s_and_saveexec_b32 s29, s13
	s_cbranch_execz .LBB4_717
.LBB4_716:                              ;   in Loop: Header=BB4_393 Depth=4
	v_bfe_u32 v177, v13, 3, 4
	v_lshlrev_b32_e32 v178, 24, v13
	s_delay_alu instid0(VALU_DEP_2) | instskip(SKIP_1) | instid1(VALU_DEP_1)
	v_cmp_eq_u32_e32 vcc_lo, 0, v177
	v_and_b32_e32 v12, 7, v13
	v_clz_i32_u32_e32 v167, v12
	s_delay_alu instid0(VALU_DEP_1) | instskip(NEXT) | instid1(VALU_DEP_1)
	v_min_u32_e32 v167, 32, v167
	v_subrev_nc_u32_e32 v176, 28, v167
	v_sub_nc_u32_e32 v167, 29, v167
	s_delay_alu instid0(VALU_DEP_1) | instskip(NEXT) | instid1(VALU_DEP_1)
	v_dual_cndmask_b32 v167, v177, v167 :: v_dual_lshlrev_b32 v176, v176, v13
	v_and_b32_e32 v176, 7, v176
	s_delay_alu instid0(VALU_DEP_2) | instskip(NEXT) | instid1(VALU_DEP_2)
	v_lshl_add_u32 v167, v167, 23, 0x3b800000
	v_cndmask_b32_e32 v12, v12, v176, vcc_lo
	v_and_b32_e32 v176, 0x80000000, v178
	s_delay_alu instid0(VALU_DEP_2) | instskip(NEXT) | instid1(VALU_DEP_1)
	v_lshlrev_b32_e32 v12, 20, v12
	v_or3_b32 v12, v176, v167, v12
.LBB4_717:                              ;   in Loop: Header=BB4_393 Depth=4
	s_or_b32 exec_lo, exec_lo, s29
	v_and_b32_e32 v176, 0xff, v9
	s_mov_b32 s13, 0
	s_mov_b32 s31, exec_lo
                                        ; implicit-def: $sgpr29
	s_delay_alu instid0(VALU_DEP_1)
	v_cmpx_lt_i16_e64 0x7f, v176
	s_xor_b32 s31, exec_lo, s31
	s_cbranch_execnz .LBB4_1067
; %bb.718:                              ;   in Loop: Header=BB4_393 Depth=4
	s_or_saveexec_b32 s31, s31
	v_mov_b32_e32 v167, s29
	s_xor_b32 exec_lo, exec_lo, s31
	s_cbranch_execnz .LBB4_1070
.LBB4_719:                              ;   in Loop: Header=BB4_393 Depth=4
	s_or_b32 exec_lo, exec_lo, s31
	s_and_saveexec_b32 s29, s13
	s_cbranch_execz .LBB4_721
.LBB4_720:                              ;   in Loop: Header=BB4_393 Depth=4
	v_bfe_u32 v178, v9, 3, 4
	v_lshlrev_b32_e32 v179, 24, v9
	s_delay_alu instid0(VALU_DEP_2) | instskip(SKIP_1) | instid1(VALU_DEP_1)
	v_cmp_eq_u32_e32 vcc_lo, 0, v178
	v_and_b32_e32 v167, 7, v9
	v_clz_i32_u32_e32 v176, v167
	s_delay_alu instid0(VALU_DEP_1) | instskip(NEXT) | instid1(VALU_DEP_1)
	v_min_u32_e32 v176, 32, v176
	v_subrev_nc_u32_e32 v177, 28, v176
	v_sub_nc_u32_e32 v176, 29, v176
	s_delay_alu instid0(VALU_DEP_1) | instskip(NEXT) | instid1(VALU_DEP_1)
	v_dual_cndmask_b32 v176, v178, v176 :: v_dual_lshlrev_b32 v177, v177, v9
	v_and_b32_e32 v177, 7, v177
	s_delay_alu instid0(VALU_DEP_2) | instskip(NEXT) | instid1(VALU_DEP_2)
	v_lshl_add_u32 v176, v176, 23, 0x3b800000
	v_cndmask_b32_e32 v167, v167, v177, vcc_lo
	v_and_b32_e32 v177, 0x80000000, v179
	s_delay_alu instid0(VALU_DEP_2) | instskip(NEXT) | instid1(VALU_DEP_1)
	v_lshlrev_b32_e32 v167, 20, v167
	v_or3_b32 v167, v177, v176, v167
.LBB4_721:                              ;   in Loop: Header=BB4_393 Depth=4
	s_or_b32 exec_lo, exec_lo, s29
	s_delay_alu instid0(VALU_DEP_1) | instskip(NEXT) | instid1(VALU_DEP_1)
	v_add_f32_e32 v167, v12, v167
	v_and_b32_e32 v12, 0x7f800000, v167
	s_delay_alu instid0(VALU_DEP_1)
	v_cmp_ne_u32_e32 vcc_lo, 0x7f800000, v12
	v_mov_b32_e32 v12, 0x80
	s_and_saveexec_b32 s29, vcc_lo
	s_cbranch_execz .LBB4_729
; %bb.722:                              ;   in Loop: Header=BB4_393 Depth=4
	v_mov_b32_e32 v12, 0
	s_mov_b32 s31, exec_lo
	v_cmpx_ne_u32_e32 0, v167
	s_cbranch_execz .LBB4_728
; %bb.723:                              ;   in Loop: Header=BB4_393 Depth=4
	v_bfe_u32 v12, v167, 23, 8
	s_delay_alu instid0(VALU_DEP_1) | instskip(SKIP_1) | instid1(VALU_DEP_2)
	v_sub_nc_u32_e32 v177, 0x78, v12
	v_cmp_gt_u32_e32 vcc_lo, 0x79, v12
	v_dual_cndmask_b32 v177, 0, v177 :: v_dual_and_b32 v176, 0x7fffff, v167
	s_delay_alu instid0(VALU_DEP_1) | instskip(SKIP_2) | instid1(VALU_DEP_4)
	v_or_b32_e32 v178, 0x800000, v176
	v_cmp_eq_u32_e32 vcc_lo, 0, v12
	v_add_nc_u32_e32 v12, 0xffffff89, v12
	v_cndmask_b32_e64 v177, v177, 0x77, vcc_lo
	s_delay_alu instid0(VALU_DEP_4) | instskip(NEXT) | instid1(VALU_DEP_3)
	v_cndmask_b32_e32 v176, v178, v176, vcc_lo
	v_cndmask_b32_e64 v12, v12, 0xffffff8a, vcc_lo
	s_delay_alu instid0(VALU_DEP_3) | instskip(NEXT) | instid1(VALU_DEP_3)
	v_lshl_add_u32 v178, 0x100000, v177, -1
	v_lshrrev_b32_e32 v179, v177, v176
	v_lshlrev_b32_e64 v181, v177, 0x80000
	s_delay_alu instid0(VALU_DEP_4) | instskip(NEXT) | instid1(VALU_DEP_4)
	v_add_nc_u32_e32 v177, v177, v12
	v_and_b32_e32 v176, v178, v176
	s_delay_alu instid0(VALU_DEP_4) | instskip(NEXT) | instid1(VALU_DEP_2)
	v_bfe_u32 v180, v179, 20, 1
	v_cmp_eq_u32_e64 s13, v176, v181
	s_delay_alu instid0(VALU_DEP_2) | instskip(NEXT) | instid1(VALU_DEP_1)
	v_add_nc_u32_e32 v178, -1, v180
	v_cndmask_b32_e64 v176, 0, v178, s13
	v_lshrrev_b32_e32 v178, 23, v179
	s_mov_b32 s13, exec_lo
	s_delay_alu instid0(VALU_DEP_2) | instskip(NEXT) | instid1(VALU_DEP_2)
	v_add_nc_u32_e32 v176, v176, v179
	v_xor_b32_e32 v178, 1, v178
	s_delay_alu instid0(VALU_DEP_2) | instskip(NEXT) | instid1(VALU_DEP_1)
	v_and_b32_e32 v12, 0xfffff, v176
	v_add_nc_u32_e32 v176, v12, v179
                                        ; implicit-def: $vgpr12
	s_delay_alu instid0(VALU_DEP_3)
	v_cmpx_ne_u32_e64 v177, v178
	s_xor_b32 s13, exec_lo, s13
; %bb.724:                              ;   in Loop: Header=BB4_393 Depth=4
	s_delay_alu instid0(VALU_DEP_2) | instskip(SKIP_2) | instid1(VALU_DEP_2)
	v_cmp_lt_u32_e32 vcc_lo, 0xffffff, v176
	v_sub_nc_u32_e32 v12, v177, v178
	v_cndmask_b32_e64 v177, 0, 1, vcc_lo
	v_add_co_ci_u32_e32 v12, vcc_lo, 0, v12, vcc_lo
	s_delay_alu instid0(VALU_DEP_2)
	v_lshrrev_b32_e32 v176, v177, v176
; %bb.725:                              ;   in Loop: Header=BB4_393 Depth=4
	s_and_not1_saveexec_b32 s13, s13
; %bb.726:                              ;   in Loop: Header=BB4_393 Depth=4
	s_delay_alu instid0(VALU_DEP_1)
	v_bfe_u32 v12, v176, 23, 1
; %bb.727:                              ;   in Loop: Header=BB4_393 Depth=4
	s_or_b32 exec_lo, exec_lo, s13
	v_lshrrev_b32_e32 v176, 20, v176
	s_delay_alu instid0(VALU_DEP_2) | instskip(SKIP_2) | instid1(VALU_DEP_2)
	v_cmp_gt_i32_e32 vcc_lo, 16, v12
	v_lshrrev_b32_e32 v167, 24, v167
	v_min_i32_e32 v177, 15, v12
	v_dual_cndmask_b32 v176, 7, v176 :: v_dual_and_b32 v167, 0x80, v167
	s_delay_alu instid0(VALU_DEP_1) | instskip(SKIP_1) | instid1(VALU_DEP_2)
	v_or_b32_e32 v12, v12, v176
	v_and_b32_e32 v178, 7, v176
	v_cmp_ne_u32_e32 vcc_lo, 0, v12
	v_lshlrev_b32_e32 v177, 3, v177
	s_delay_alu instid0(VALU_DEP_1) | instskip(NEXT) | instid1(VALU_DEP_1)
	v_or3_b32 v167, v177, v167, v178
	v_cndmask_b32_e32 v12, 0, v167, vcc_lo
.LBB4_728:                              ;   in Loop: Header=BB4_393 Depth=4
	s_or_b32 exec_lo, exec_lo, s31
.LBB4_729:                              ;   in Loop: Header=BB4_393 Depth=4
	s_delay_alu instid0(SALU_CYCLE_1) | instskip(SKIP_3) | instid1(VALU_DEP_1)
	s_or_b32 exec_lo, exec_lo, s29
	v_lshrrev_b16 v176, 8, v13
	s_mov_b32 s13, 0
	s_mov_b32 s31, exec_lo
                                        ; implicit-def: $sgpr29
	v_cmpx_lt_i16_e64 0x7f, v176
	s_xor_b32 s31, exec_lo, s31
	s_cbranch_execnz .LBB4_1071
; %bb.730:                              ;   in Loop: Header=BB4_393 Depth=4
	s_or_saveexec_b32 s31, s31
	v_mov_b32_e32 v167, s29
	s_xor_b32 exec_lo, exec_lo, s31
	s_cbranch_execnz .LBB4_1074
.LBB4_731:                              ;   in Loop: Header=BB4_393 Depth=4
	s_or_b32 exec_lo, exec_lo, s31
	s_and_saveexec_b32 s29, s13
	s_cbranch_execz .LBB4_733
.LBB4_732:                              ;   in Loop: Header=BB4_393 Depth=4
	v_and_b32_e32 v167, 0xffff, v176
	s_delay_alu instid0(VALU_DEP_1) | instskip(NEXT) | instid1(VALU_DEP_1)
	v_and_b32_e32 v177, 7, v167
	v_clz_i32_u32_e32 v178, v177
	s_delay_alu instid0(VALU_DEP_1) | instskip(NEXT) | instid1(VALU_DEP_1)
	v_min_u32_e32 v178, 32, v178
	v_subrev_nc_u32_e32 v179, 28, v178
	v_sub_nc_u32_e32 v178, 29, v178
	s_delay_alu instid0(VALU_DEP_2) | instskip(SKIP_1) | instid1(VALU_DEP_2)
	v_lshlrev_b32_e32 v179, v179, v167
	v_bfe_u32 v167, v167, 3, 4
	v_and_b32_e32 v179, 7, v179
	s_delay_alu instid0(VALU_DEP_2) | instskip(SKIP_1) | instid1(VALU_DEP_1)
	v_cmp_eq_u32_e32 vcc_lo, 0, v167
	v_dual_cndmask_b32 v167, v167, v178 :: v_dual_lshlrev_b32 v176, 24, v176
	v_dual_cndmask_b32 v177, v177, v179 :: v_dual_and_b32 v176, 0x80000000, v176
	s_delay_alu instid0(VALU_DEP_2) | instskip(NEXT) | instid1(VALU_DEP_2)
	v_lshl_add_u32 v167, v167, 23, 0x3b800000
	v_lshlrev_b32_e32 v177, 20, v177
	s_delay_alu instid0(VALU_DEP_1)
	v_or3_b32 v167, v176, v167, v177
.LBB4_733:                              ;   in Loop: Header=BB4_393 Depth=4
	s_or_b32 exec_lo, exec_lo, s29
	v_lshrrev_b16 v176, 8, v9
	s_mov_b32 s13, 0
	s_mov_b32 s31, exec_lo
                                        ; implicit-def: $sgpr29
	s_delay_alu instid0(VALU_DEP_1)
	v_cmpx_lt_i16_e64 0x7f, v176
	s_xor_b32 s31, exec_lo, s31
	s_cbranch_execnz .LBB4_1075
; %bb.734:                              ;   in Loop: Header=BB4_393 Depth=4
	s_or_saveexec_b32 s31, s31
	v_mov_b32_e32 v177, s29
	s_xor_b32 exec_lo, exec_lo, s31
	s_cbranch_execnz .LBB4_1078
.LBB4_735:                              ;   in Loop: Header=BB4_393 Depth=4
	s_or_b32 exec_lo, exec_lo, s31
	s_and_saveexec_b32 s29, s13
	s_cbranch_execz .LBB4_737
.LBB4_736:                              ;   in Loop: Header=BB4_393 Depth=4
	v_and_b32_e32 v177, 0xffff, v176
	v_lshlrev_b32_e32 v176, 24, v176
	s_delay_alu instid0(VALU_DEP_2) | instskip(NEXT) | instid1(VALU_DEP_2)
	v_and_b32_e32 v178, 7, v177
	v_and_b32_e32 v176, 0x80000000, v176
	s_delay_alu instid0(VALU_DEP_2) | instskip(NEXT) | instid1(VALU_DEP_1)
	v_clz_i32_u32_e32 v179, v178
	v_min_u32_e32 v179, 32, v179
	s_delay_alu instid0(VALU_DEP_1) | instskip(SKIP_1) | instid1(VALU_DEP_2)
	v_subrev_nc_u32_e32 v180, 28, v179
	v_sub_nc_u32_e32 v179, 29, v179
	v_lshlrev_b32_e32 v180, v180, v177
	v_bfe_u32 v177, v177, 3, 4
	s_delay_alu instid0(VALU_DEP_2) | instskip(NEXT) | instid1(VALU_DEP_2)
	v_and_b32_e32 v180, 7, v180
	v_cmp_eq_u32_e32 vcc_lo, 0, v177
	s_delay_alu instid0(VALU_DEP_2) | instskip(NEXT) | instid1(VALU_DEP_1)
	v_dual_cndmask_b32 v177, v177, v179 :: v_dual_cndmask_b32 v178, v178, v180
	v_lshl_add_u32 v177, v177, 23, 0x3b800000
	s_delay_alu instid0(VALU_DEP_2) | instskip(NEXT) | instid1(VALU_DEP_1)
	v_lshlrev_b32_e32 v178, 20, v178
	v_or3_b32 v177, v176, v177, v178
.LBB4_737:                              ;   in Loop: Header=BB4_393 Depth=4
	s_or_b32 exec_lo, exec_lo, s29
	s_delay_alu instid0(VALU_DEP_1) | instskip(NEXT) | instid1(VALU_DEP_1)
	v_add_f32_e32 v176, v167, v177
	v_and_b32_e32 v167, 0x7f800000, v176
	s_delay_alu instid0(VALU_DEP_1)
	v_cmp_ne_u32_e32 vcc_lo, 0x7f800000, v167
	v_mov_b32_e32 v167, 0x8000
	s_and_saveexec_b32 s29, vcc_lo
	s_cbranch_execz .LBB4_745
; %bb.738:                              ;   in Loop: Header=BB4_393 Depth=4
	v_mov_b32_e32 v167, 0
	s_mov_b32 s31, exec_lo
	v_cmpx_ne_u32_e32 0, v176
	s_cbranch_execz .LBB4_744
; %bb.739:                              ;   in Loop: Header=BB4_393 Depth=4
	v_bfe_u32 v167, v176, 23, 8
	s_delay_alu instid0(VALU_DEP_1) | instskip(SKIP_1) | instid1(VALU_DEP_2)
	v_sub_nc_u32_e32 v178, 0x78, v167
	v_cmp_gt_u32_e32 vcc_lo, 0x79, v167
	v_dual_cndmask_b32 v178, 0, v178 :: v_dual_and_b32 v177, 0x7fffff, v176
	s_delay_alu instid0(VALU_DEP_1) | instskip(SKIP_2) | instid1(VALU_DEP_4)
	v_or_b32_e32 v179, 0x800000, v177
	v_cmp_eq_u32_e32 vcc_lo, 0, v167
	v_add_nc_u32_e32 v167, 0xffffff89, v167
	v_cndmask_b32_e64 v178, v178, 0x77, vcc_lo
	s_delay_alu instid0(VALU_DEP_2) | instskip(SKIP_1) | instid1(VALU_DEP_3)
	v_cndmask_b32_e64 v167, v167, 0xffffff8a, vcc_lo
	v_cndmask_b32_e32 v177, v179, v177, vcc_lo
	v_lshl_add_u32 v179, 0x100000, v178, -1
	v_lshlrev_b32_e64 v182, v178, 0x80000
	s_delay_alu instid0(VALU_DEP_3) | instskip(SKIP_1) | instid1(VALU_DEP_4)
	v_lshrrev_b32_e32 v180, v178, v177
	v_add_nc_u32_e32 v178, v178, v167
	v_and_b32_e32 v177, v179, v177
	s_delay_alu instid0(VALU_DEP_3) | instskip(NEXT) | instid1(VALU_DEP_2)
	v_bfe_u32 v181, v180, 20, 1
	v_cmp_eq_u32_e64 s13, v177, v182
	s_delay_alu instid0(VALU_DEP_2) | instskip(NEXT) | instid1(VALU_DEP_1)
	v_add_nc_u32_e32 v179, -1, v181
	v_cndmask_b32_e64 v177, 0, v179, s13
	v_lshrrev_b32_e32 v179, 23, v180
	s_mov_b32 s13, exec_lo
	s_delay_alu instid0(VALU_DEP_2) | instskip(NEXT) | instid1(VALU_DEP_2)
	v_add_nc_u32_e32 v177, v177, v180
	v_xor_b32_e32 v179, 1, v179
	s_delay_alu instid0(VALU_DEP_2) | instskip(NEXT) | instid1(VALU_DEP_1)
	v_and_b32_e32 v167, 0xfffff, v177
	v_add_nc_u32_e32 v177, v167, v180
                                        ; implicit-def: $vgpr167
	s_delay_alu instid0(VALU_DEP_3)
	v_cmpx_ne_u32_e64 v178, v179
	s_xor_b32 s13, exec_lo, s13
; %bb.740:                              ;   in Loop: Header=BB4_393 Depth=4
	s_delay_alu instid0(VALU_DEP_2) | instskip(SKIP_2) | instid1(VALU_DEP_2)
	v_cmp_lt_u32_e32 vcc_lo, 0xffffff, v177
	v_sub_nc_u32_e32 v167, v178, v179
	v_cndmask_b32_e64 v178, 0, 1, vcc_lo
	v_add_co_ci_u32_e32 v167, vcc_lo, 0, v167, vcc_lo
	s_delay_alu instid0(VALU_DEP_2)
	v_lshrrev_b32_e32 v177, v178, v177
; %bb.741:                              ;   in Loop: Header=BB4_393 Depth=4
	s_and_not1_saveexec_b32 s13, s13
; %bb.742:                              ;   in Loop: Header=BB4_393 Depth=4
	s_delay_alu instid0(VALU_DEP_1)
	v_bfe_u32 v167, v177, 23, 1
; %bb.743:                              ;   in Loop: Header=BB4_393 Depth=4
	s_or_b32 exec_lo, exec_lo, s13
	v_lshrrev_b32_e32 v177, 20, v177
	s_delay_alu instid0(VALU_DEP_2) | instskip(SKIP_2) | instid1(VALU_DEP_2)
	v_cmp_gt_i32_e32 vcc_lo, 16, v167
	v_min_i32_e32 v178, 15, v167
	v_lshrrev_b32_e32 v176, 24, v176
	v_dual_cndmask_b32 v177, 7, v177 :: v_dual_lshlrev_b32 v178, 3, v178
	s_delay_alu instid0(VALU_DEP_2) | instskip(NEXT) | instid1(VALU_DEP_2)
	v_and_b32_e32 v176, 0x80, v176
	v_or_b32_e32 v167, v167, v177
	v_and_b32_e32 v179, 7, v177
	s_delay_alu instid0(VALU_DEP_2) | instskip(SKIP_1) | instid1(VALU_DEP_1)
	v_cmp_ne_u32_e32 vcc_lo, 0, v167
	v_and_b32_e32 v178, 0xf8, v178
	v_or3_b32 v176, v176, v178, v179
	s_delay_alu instid0(VALU_DEP_1) | instskip(NEXT) | instid1(VALU_DEP_1)
	v_lshlrev_b32_e32 v176, 8, v176
	v_cndmask_b32_e32 v167, 0, v176, vcc_lo
.LBB4_744:                              ;   in Loop: Header=BB4_393 Depth=4
	s_or_b32 exec_lo, exec_lo, s31
.LBB4_745:                              ;   in Loop: Header=BB4_393 Depth=4
	s_delay_alu instid0(SALU_CYCLE_1) | instskip(SKIP_3) | instid1(VALU_DEP_1)
	s_or_b32 exec_lo, exec_lo, s29
	v_lshrrev_b32_e32 v177, 16, v13
	s_mov_b32 s13, 0
	s_mov_b32 s31, exec_lo
                                        ; implicit-def: $sgpr29
	v_and_b32_e32 v178, 0xff, v177
	s_delay_alu instid0(VALU_DEP_1)
	v_cmpx_lt_i16_e64 0x7f, v178
	s_xor_b32 s31, exec_lo, s31
	s_cbranch_execnz .LBB4_1079
; %bb.746:                              ;   in Loop: Header=BB4_393 Depth=4
	s_or_saveexec_b32 s31, s31
	v_mov_b32_e32 v176, s29
	s_xor_b32 exec_lo, exec_lo, s31
	s_cbranch_execnz .LBB4_1082
.LBB4_747:                              ;   in Loop: Header=BB4_393 Depth=4
	s_or_b32 exec_lo, exec_lo, s31
	s_and_saveexec_b32 s29, s13
	s_cbranch_execz .LBB4_749
.LBB4_748:                              ;   in Loop: Header=BB4_393 Depth=4
	v_bfe_u32 v176, v13, 16, 3
	v_lshlrev_b32_e32 v180, 8, v13
	s_delay_alu instid0(VALU_DEP_2) | instskip(NEXT) | instid1(VALU_DEP_1)
	v_clz_i32_u32_e32 v178, v176
	v_min_u32_e32 v178, 32, v178
	s_delay_alu instid0(VALU_DEP_1) | instskip(SKIP_1) | instid1(VALU_DEP_2)
	v_subrev_nc_u32_e32 v179, 28, v178
	v_sub_nc_u32_e32 v178, 29, v178
	v_lshlrev_b32_e32 v177, v179, v177
	v_bfe_u32 v179, v13, 19, 4
	s_delay_alu instid0(VALU_DEP_1) | instskip(NEXT) | instid1(VALU_DEP_3)
	v_cmp_eq_u32_e32 vcc_lo, 0, v179
	v_dual_cndmask_b32 v178, v179, v178 :: v_dual_and_b32 v177, 7, v177
	s_delay_alu instid0(VALU_DEP_1) | instskip(NEXT) | instid1(VALU_DEP_2)
	v_dual_cndmask_b32 v176, v176, v177 :: v_dual_and_b32 v177, 0x80000000, v180
	v_lshl_add_u32 v178, v178, 23, 0x3b800000
	s_delay_alu instid0(VALU_DEP_2) | instskip(NEXT) | instid1(VALU_DEP_1)
	v_lshlrev_b32_e32 v176, 20, v176
	v_or3_b32 v176, v177, v178, v176
.LBB4_749:                              ;   in Loop: Header=BB4_393 Depth=4
	s_or_b32 exec_lo, exec_lo, s29
	v_lshrrev_b32_e32 v177, 16, v9
	s_mov_b32 s13, 0
	s_mov_b32 s31, exec_lo
                                        ; implicit-def: $sgpr29
	s_delay_alu instid0(VALU_DEP_1) | instskip(NEXT) | instid1(VALU_DEP_1)
	v_and_b32_e32 v179, 0xff, v177
	v_cmpx_lt_i16_e64 0x7f, v179
	s_xor_b32 s31, exec_lo, s31
	s_cbranch_execnz .LBB4_1083
; %bb.750:                              ;   in Loop: Header=BB4_393 Depth=4
	s_or_saveexec_b32 s31, s31
	v_mov_b32_e32 v178, s29
	s_xor_b32 exec_lo, exec_lo, s31
	s_cbranch_execnz .LBB4_1086
.LBB4_751:                              ;   in Loop: Header=BB4_393 Depth=4
	s_or_b32 exec_lo, exec_lo, s31
	s_and_saveexec_b32 s29, s13
	s_cbranch_execz .LBB4_753
.LBB4_752:                              ;   in Loop: Header=BB4_393 Depth=4
	v_bfe_u32 v178, v9, 16, 3
	v_lshlrev_b32_e32 v181, 8, v9
	s_delay_alu instid0(VALU_DEP_2) | instskip(NEXT) | instid1(VALU_DEP_1)
	v_clz_i32_u32_e32 v179, v178
	v_min_u32_e32 v179, 32, v179
	s_delay_alu instid0(VALU_DEP_1) | instskip(SKIP_1) | instid1(VALU_DEP_2)
	v_subrev_nc_u32_e32 v180, 28, v179
	v_sub_nc_u32_e32 v179, 29, v179
	v_lshlrev_b32_e32 v177, v180, v177
	v_bfe_u32 v180, v9, 19, 4
	s_delay_alu instid0(VALU_DEP_2) | instskip(NEXT) | instid1(VALU_DEP_2)
	v_and_b32_e32 v177, 7, v177
	v_cmp_eq_u32_e32 vcc_lo, 0, v180
	v_cndmask_b32_e32 v179, v180, v179, vcc_lo
	s_delay_alu instid0(VALU_DEP_3) | instskip(SKIP_1) | instid1(VALU_DEP_3)
	v_cndmask_b32_e32 v177, v178, v177, vcc_lo
	v_and_b32_e32 v178, 0x80000000, v181
	v_lshl_add_u32 v179, v179, 23, 0x3b800000
	s_delay_alu instid0(VALU_DEP_3) | instskip(NEXT) | instid1(VALU_DEP_1)
	v_lshlrev_b32_e32 v177, 20, v177
	v_or3_b32 v178, v178, v179, v177
.LBB4_753:                              ;   in Loop: Header=BB4_393 Depth=4
	s_or_b32 exec_lo, exec_lo, s29
	s_delay_alu instid0(VALU_DEP_1) | instskip(NEXT) | instid1(VALU_DEP_1)
	v_add_f32_e32 v177, v176, v178
	v_and_b32_e32 v176, 0x7f800000, v177
	s_delay_alu instid0(VALU_DEP_1)
	v_cmp_ne_u32_e32 vcc_lo, 0x7f800000, v176
	v_mov_b32_e32 v176, 0x80
	s_and_saveexec_b32 s29, vcc_lo
	s_cbranch_execz .LBB4_761
; %bb.754:                              ;   in Loop: Header=BB4_393 Depth=4
	v_mov_b32_e32 v176, 0
	s_mov_b32 s31, exec_lo
	v_cmpx_ne_u32_e32 0, v177
	s_cbranch_execz .LBB4_760
; %bb.755:                              ;   in Loop: Header=BB4_393 Depth=4
	v_bfe_u32 v176, v177, 23, 8
	s_delay_alu instid0(VALU_DEP_1) | instskip(SKIP_1) | instid1(VALU_DEP_2)
	v_sub_nc_u32_e32 v179, 0x78, v176
	v_cmp_gt_u32_e32 vcc_lo, 0x79, v176
	v_dual_cndmask_b32 v179, 0, v179 :: v_dual_and_b32 v178, 0x7fffff, v177
	s_delay_alu instid0(VALU_DEP_1) | instskip(SKIP_2) | instid1(VALU_DEP_4)
	v_or_b32_e32 v180, 0x800000, v178
	v_cmp_eq_u32_e32 vcc_lo, 0, v176
	v_add_nc_u32_e32 v176, 0xffffff89, v176
	v_cndmask_b32_e64 v179, v179, 0x77, vcc_lo
	s_delay_alu instid0(VALU_DEP_2) | instskip(SKIP_1) | instid1(VALU_DEP_3)
	v_cndmask_b32_e64 v176, v176, 0xffffff8a, vcc_lo
	v_cndmask_b32_e32 v178, v180, v178, vcc_lo
	v_lshl_add_u32 v180, 0x100000, v179, -1
	v_lshlrev_b32_e64 v183, v179, 0x80000
	s_delay_alu instid0(VALU_DEP_3) | instskip(SKIP_1) | instid1(VALU_DEP_4)
	v_lshrrev_b32_e32 v181, v179, v178
	v_add_nc_u32_e32 v179, v179, v176
	v_and_b32_e32 v178, v180, v178
	s_delay_alu instid0(VALU_DEP_3) | instskip(NEXT) | instid1(VALU_DEP_2)
	v_bfe_u32 v182, v181, 20, 1
	v_cmp_eq_u32_e64 s13, v178, v183
	s_delay_alu instid0(VALU_DEP_2) | instskip(NEXT) | instid1(VALU_DEP_1)
	v_add_nc_u32_e32 v180, -1, v182
	v_cndmask_b32_e64 v178, 0, v180, s13
	v_lshrrev_b32_e32 v180, 23, v181
	s_mov_b32 s13, exec_lo
	s_delay_alu instid0(VALU_DEP_2) | instskip(NEXT) | instid1(VALU_DEP_2)
	v_add_nc_u32_e32 v178, v178, v181
	v_xor_b32_e32 v180, 1, v180
	s_delay_alu instid0(VALU_DEP_2) | instskip(NEXT) | instid1(VALU_DEP_1)
	v_and_b32_e32 v176, 0xfffff, v178
	v_add_nc_u32_e32 v178, v176, v181
                                        ; implicit-def: $vgpr176
	s_delay_alu instid0(VALU_DEP_3)
	v_cmpx_ne_u32_e64 v179, v180
	s_xor_b32 s13, exec_lo, s13
; %bb.756:                              ;   in Loop: Header=BB4_393 Depth=4
	s_delay_alu instid0(VALU_DEP_2) | instskip(SKIP_2) | instid1(VALU_DEP_2)
	v_cmp_lt_u32_e32 vcc_lo, 0xffffff, v178
	v_sub_nc_u32_e32 v176, v179, v180
	v_cndmask_b32_e64 v179, 0, 1, vcc_lo
	v_add_co_ci_u32_e32 v176, vcc_lo, 0, v176, vcc_lo
	s_delay_alu instid0(VALU_DEP_2)
	v_lshrrev_b32_e32 v178, v179, v178
; %bb.757:                              ;   in Loop: Header=BB4_393 Depth=4
	s_and_not1_saveexec_b32 s13, s13
; %bb.758:                              ;   in Loop: Header=BB4_393 Depth=4
	s_delay_alu instid0(VALU_DEP_1)
	v_bfe_u32 v176, v178, 23, 1
; %bb.759:                              ;   in Loop: Header=BB4_393 Depth=4
	s_or_b32 exec_lo, exec_lo, s13
	v_lshrrev_b32_e32 v178, 20, v178
	s_delay_alu instid0(VALU_DEP_2) | instskip(SKIP_2) | instid1(VALU_DEP_2)
	v_cmp_gt_i32_e32 vcc_lo, 16, v176
	v_min_i32_e32 v179, 15, v176
	v_lshrrev_b32_e32 v177, 24, v177
	v_dual_cndmask_b32 v178, 7, v178 :: v_dual_lshlrev_b32 v179, 3, v179
	s_delay_alu instid0(VALU_DEP_2) | instskip(NEXT) | instid1(VALU_DEP_2)
	v_and_b32_e32 v177, 0x80, v177
	v_or_b32_e32 v176, v176, v178
	v_and_b32_e32 v180, 7, v178
	s_delay_alu instid0(VALU_DEP_2) | instskip(SKIP_1) | instid1(VALU_DEP_1)
	v_cmp_ne_u32_e32 vcc_lo, 0, v176
	v_and_b32_e32 v179, 0xf8, v179
	v_or3_b32 v177, v179, v177, v180
	s_delay_alu instid0(VALU_DEP_1)
	v_cndmask_b32_e32 v176, 0, v177, vcc_lo
.LBB4_760:                              ;   in Loop: Header=BB4_393 Depth=4
	s_or_b32 exec_lo, exec_lo, s31
.LBB4_761:                              ;   in Loop: Header=BB4_393 Depth=4
	s_delay_alu instid0(SALU_CYCLE_1) | instskip(SKIP_3) | instid1(VALU_DEP_1)
	s_or_b32 exec_lo, exec_lo, s29
	v_lshrrev_b32_e32 v178, 24, v13
	s_mov_b32 s13, 0
	s_mov_b32 s31, exec_lo
                                        ; implicit-def: $sgpr29
	v_cmpx_lt_i16_e64 0x7f, v178
	s_xor_b32 s31, exec_lo, s31
	s_cbranch_execnz .LBB4_1087
; %bb.762:                              ;   in Loop: Header=BB4_393 Depth=4
	s_or_saveexec_b32 s31, s31
	v_mov_b32_e32 v177, s29
	s_xor_b32 exec_lo, exec_lo, s31
	s_cbranch_execnz .LBB4_1090
.LBB4_763:                              ;   in Loop: Header=BB4_393 Depth=4
	s_or_b32 exec_lo, exec_lo, s31
	s_and_saveexec_b32 s29, s13
	s_cbranch_execz .LBB4_765
.LBB4_764:                              ;   in Loop: Header=BB4_393 Depth=4
	v_bfe_u32 v177, v13, 24, 3
	s_delay_alu instid0(VALU_DEP_1) | instskip(NEXT) | instid1(VALU_DEP_1)
	v_clz_i32_u32_e32 v179, v177
	v_min_u32_e32 v179, 32, v179
	s_delay_alu instid0(VALU_DEP_1) | instskip(SKIP_1) | instid1(VALU_DEP_2)
	v_subrev_nc_u32_e32 v180, 28, v179
	v_sub_nc_u32_e32 v179, 29, v179
	v_lshlrev_b32_e32 v178, v180, v178
	v_bfe_u32 v180, v13, 27, 4
	v_and_b32_e32 v13, 0x80000000, v13
	s_delay_alu instid0(VALU_DEP_2) | instskip(NEXT) | instid1(VALU_DEP_4)
	v_cmp_eq_u32_e32 vcc_lo, 0, v180
	v_dual_cndmask_b32 v179, v180, v179 :: v_dual_and_b32 v178, 7, v178
	s_delay_alu instid0(VALU_DEP_1) | instskip(NEXT) | instid1(VALU_DEP_2)
	v_cndmask_b32_e32 v177, v177, v178, vcc_lo
	v_lshl_add_u32 v178, v179, 23, 0x3b800000
	s_delay_alu instid0(VALU_DEP_2) | instskip(NEXT) | instid1(VALU_DEP_1)
	v_lshlrev_b32_e32 v177, 20, v177
	v_or3_b32 v177, v13, v178, v177
.LBB4_765:                              ;   in Loop: Header=BB4_393 Depth=4
	s_or_b32 exec_lo, exec_lo, s29
	v_lshrrev_b32_e32 v13, 24, v9
	s_mov_b32 s13, 0
	s_mov_b32 s31, exec_lo
                                        ; implicit-def: $sgpr29
	s_delay_alu instid0(VALU_DEP_1)
	v_cmpx_lt_i16_e32 0x7f, v13
	s_xor_b32 s31, exec_lo, s31
	s_cbranch_execnz .LBB4_1091
; %bb.766:                              ;   in Loop: Header=BB4_393 Depth=4
	s_or_saveexec_b32 s31, s31
	v_mov_b32_e32 v178, s29
	s_xor_b32 exec_lo, exec_lo, s31
	s_cbranch_execnz .LBB4_1094
.LBB4_767:                              ;   in Loop: Header=BB4_393 Depth=4
	s_or_b32 exec_lo, exec_lo, s31
	s_and_saveexec_b32 s29, s13
	s_cbranch_execz .LBB4_769
.LBB4_768:                              ;   in Loop: Header=BB4_393 Depth=4
	v_bfe_u32 v178, v9, 24, 3
	s_delay_alu instid0(VALU_DEP_1) | instskip(NEXT) | instid1(VALU_DEP_1)
	v_clz_i32_u32_e32 v179, v178
	v_min_u32_e32 v179, 32, v179
	s_delay_alu instid0(VALU_DEP_1) | instskip(SKIP_1) | instid1(VALU_DEP_2)
	v_subrev_nc_u32_e32 v180, 28, v179
	v_sub_nc_u32_e32 v179, 29, v179
	v_lshlrev_b32_e32 v13, v180, v13
	v_bfe_u32 v180, v9, 27, 4
	v_and_b32_e32 v9, 0x80000000, v9
	s_delay_alu instid0(VALU_DEP_3) | instskip(NEXT) | instid1(VALU_DEP_3)
	v_and_b32_e32 v13, 7, v13
	v_cmp_eq_u32_e32 vcc_lo, 0, v180
	v_cndmask_b32_e32 v179, v180, v179, vcc_lo
	s_delay_alu instid0(VALU_DEP_3) | instskip(NEXT) | instid1(VALU_DEP_2)
	v_cndmask_b32_e32 v13, v178, v13, vcc_lo
	v_lshl_add_u32 v178, v179, 23, 0x3b800000
	s_delay_alu instid0(VALU_DEP_2) | instskip(NEXT) | instid1(VALU_DEP_1)
	v_lshlrev_b32_e32 v13, 20, v13
	v_or3_b32 v178, v9, v178, v13
.LBB4_769:                              ;   in Loop: Header=BB4_393 Depth=4
	s_or_b32 exec_lo, exec_lo, s29
	s_delay_alu instid0(VALU_DEP_1) | instskip(NEXT) | instid1(VALU_DEP_1)
	v_add_f32_e32 v13, v177, v178
	v_and_b32_e32 v9, 0x7f800000, v13
	s_delay_alu instid0(VALU_DEP_1)
	v_cmp_ne_u32_e32 vcc_lo, 0x7f800000, v9
	v_mov_b32_e32 v9, 0x8000
	s_and_saveexec_b32 s29, vcc_lo
	s_cbranch_execz .LBB4_777
; %bb.770:                              ;   in Loop: Header=BB4_393 Depth=4
	v_mov_b32_e32 v9, 0
	s_mov_b32 s31, exec_lo
	v_cmpx_ne_u32_e32 0, v13
	s_cbranch_execz .LBB4_776
; %bb.771:                              ;   in Loop: Header=BB4_393 Depth=4
	v_bfe_u32 v9, v13, 23, 8
	s_delay_alu instid0(VALU_DEP_1) | instskip(SKIP_1) | instid1(VALU_DEP_2)
	v_sub_nc_u32_e32 v178, 0x78, v9
	v_cmp_gt_u32_e32 vcc_lo, 0x79, v9
	v_dual_cndmask_b32 v178, 0, v178 :: v_dual_and_b32 v177, 0x7fffff, v13
	s_delay_alu instid0(VALU_DEP_1) | instskip(SKIP_2) | instid1(VALU_DEP_4)
	v_or_b32_e32 v179, 0x800000, v177
	v_cmp_eq_u32_e32 vcc_lo, 0, v9
	v_add_nc_u32_e32 v9, 0xffffff89, v9
	v_cndmask_b32_e64 v178, v178, 0x77, vcc_lo
	s_delay_alu instid0(VALU_DEP_4) | instskip(NEXT) | instid1(VALU_DEP_3)
	v_cndmask_b32_e32 v177, v179, v177, vcc_lo
	v_cndmask_b32_e64 v9, v9, 0xffffff8a, vcc_lo
	s_delay_alu instid0(VALU_DEP_3) | instskip(NEXT) | instid1(VALU_DEP_3)
	v_lshl_add_u32 v179, 0x100000, v178, -1
	v_lshrrev_b32_e32 v180, v178, v177
	v_lshlrev_b32_e64 v182, v178, 0x80000
	s_delay_alu instid0(VALU_DEP_4) | instskip(NEXT) | instid1(VALU_DEP_4)
	v_add_nc_u32_e32 v178, v178, v9
	v_and_b32_e32 v177, v179, v177
	s_delay_alu instid0(VALU_DEP_4) | instskip(NEXT) | instid1(VALU_DEP_2)
	v_bfe_u32 v181, v180, 20, 1
	v_cmp_eq_u32_e64 s13, v177, v182
	s_delay_alu instid0(VALU_DEP_2) | instskip(NEXT) | instid1(VALU_DEP_1)
	v_add_nc_u32_e32 v179, -1, v181
	v_cndmask_b32_e64 v177, 0, v179, s13
	v_lshrrev_b32_e32 v179, 23, v180
	s_mov_b32 s13, exec_lo
	s_delay_alu instid0(VALU_DEP_2) | instskip(NEXT) | instid1(VALU_DEP_2)
	v_add_nc_u32_e32 v177, v177, v180
	v_xor_b32_e32 v179, 1, v179
	s_delay_alu instid0(VALU_DEP_2) | instskip(NEXT) | instid1(VALU_DEP_1)
	v_and_b32_e32 v9, 0xfffff, v177
	v_add_nc_u32_e32 v177, v9, v180
                                        ; implicit-def: $vgpr9
	s_delay_alu instid0(VALU_DEP_3)
	v_cmpx_ne_u32_e64 v178, v179
	s_xor_b32 s13, exec_lo, s13
; %bb.772:                              ;   in Loop: Header=BB4_393 Depth=4
	s_delay_alu instid0(VALU_DEP_2) | instskip(SKIP_2) | instid1(VALU_DEP_2)
	v_cmp_lt_u32_e32 vcc_lo, 0xffffff, v177
	v_sub_nc_u32_e32 v9, v178, v179
	v_cndmask_b32_e64 v178, 0, 1, vcc_lo
	v_add_co_ci_u32_e32 v9, vcc_lo, 0, v9, vcc_lo
	s_delay_alu instid0(VALU_DEP_2)
	v_lshrrev_b32_e32 v177, v178, v177
; %bb.773:                              ;   in Loop: Header=BB4_393 Depth=4
	s_and_not1_saveexec_b32 s13, s13
; %bb.774:                              ;   in Loop: Header=BB4_393 Depth=4
	s_delay_alu instid0(VALU_DEP_1)
	v_bfe_u32 v9, v177, 23, 1
; %bb.775:                              ;   in Loop: Header=BB4_393 Depth=4
	s_or_b32 exec_lo, exec_lo, s13
	v_lshrrev_b32_e32 v177, 20, v177
	s_delay_alu instid0(VALU_DEP_2) | instskip(SKIP_2) | instid1(VALU_DEP_2)
	v_cmp_gt_i32_e32 vcc_lo, 16, v9
	v_min_i32_e32 v178, 15, v9
	v_lshrrev_b32_e32 v13, 24, v13
	v_dual_cndmask_b32 v177, 7, v177 :: v_dual_lshlrev_b32 v178, 3, v178
	s_delay_alu instid0(VALU_DEP_2) | instskip(NEXT) | instid1(VALU_DEP_2)
	v_and_b32_e32 v13, 0x80, v13
	v_or_b32_e32 v9, v9, v177
	v_and_b32_e32 v179, 7, v177
	s_delay_alu instid0(VALU_DEP_2) | instskip(SKIP_1) | instid1(VALU_DEP_1)
	v_cmp_ne_u32_e32 vcc_lo, 0, v9
	v_and_b32_e32 v178, 0xf8, v178
	v_or3_b32 v13, v13, v178, v179
	s_delay_alu instid0(VALU_DEP_1) | instskip(NEXT) | instid1(VALU_DEP_1)
	v_lshlrev_b32_e32 v13, 8, v13
	v_cndmask_b32_e32 v9, 0, v13, vcc_lo
.LBB4_776:                              ;   in Loop: Header=BB4_393 Depth=4
	s_or_b32 exec_lo, exec_lo, s31
.LBB4_777:                              ;   in Loop: Header=BB4_393 Depth=4
	s_delay_alu instid0(SALU_CYCLE_1) | instskip(SKIP_3) | instid1(VALU_DEP_1)
	s_or_b32 exec_lo, exec_lo, s29
	v_and_b32_e32 v177, 0xff, v14
	s_mov_b32 s13, 0
	s_mov_b32 s31, exec_lo
                                        ; implicit-def: $sgpr29
	v_cmpx_lt_i16_e64 0x7f, v177
	s_xor_b32 s31, exec_lo, s31
	s_cbranch_execnz .LBB4_1095
; %bb.778:                              ;   in Loop: Header=BB4_393 Depth=4
	s_or_saveexec_b32 s31, s31
	v_mov_b32_e32 v13, s29
	s_xor_b32 exec_lo, exec_lo, s31
	s_cbranch_execnz .LBB4_1098
.LBB4_779:                              ;   in Loop: Header=BB4_393 Depth=4
	s_or_b32 exec_lo, exec_lo, s31
	s_and_saveexec_b32 s29, s13
	s_cbranch_execz .LBB4_781
.LBB4_780:                              ;   in Loop: Header=BB4_393 Depth=4
	v_and_b32_e32 v13, 7, v14
	v_bfe_u32 v179, v14, 3, 4
	v_lshlrev_b32_e32 v180, 24, v14
	s_delay_alu instid0(VALU_DEP_3) | instskip(NEXT) | instid1(VALU_DEP_3)
	v_clz_i32_u32_e32 v177, v13
	v_cmp_eq_u32_e32 vcc_lo, 0, v179
	s_delay_alu instid0(VALU_DEP_2) | instskip(NEXT) | instid1(VALU_DEP_1)
	v_min_u32_e32 v177, 32, v177
	v_subrev_nc_u32_e32 v178, 28, v177
	v_sub_nc_u32_e32 v177, 29, v177
	s_delay_alu instid0(VALU_DEP_1) | instskip(NEXT) | instid1(VALU_DEP_1)
	v_dual_cndmask_b32 v177, v179, v177 :: v_dual_lshlrev_b32 v178, v178, v14
	v_and_b32_e32 v178, 7, v178
	s_delay_alu instid0(VALU_DEP_2) | instskip(NEXT) | instid1(VALU_DEP_2)
	v_lshl_add_u32 v177, v177, 23, 0x3b800000
	v_dual_cndmask_b32 v13, v13, v178 :: v_dual_and_b32 v178, 0x80000000, v180
	s_delay_alu instid0(VALU_DEP_1) | instskip(NEXT) | instid1(VALU_DEP_1)
	v_lshlrev_b32_e32 v13, 20, v13
	v_or3_b32 v13, v178, v177, v13
.LBB4_781:                              ;   in Loop: Header=BB4_393 Depth=4
	s_or_b32 exec_lo, exec_lo, s29
	v_and_b32_e32 v178, 0xff, v10
	s_mov_b32 s13, 0
	s_mov_b32 s31, exec_lo
                                        ; implicit-def: $sgpr29
	s_delay_alu instid0(VALU_DEP_1)
	v_cmpx_lt_i16_e64 0x7f, v178
	s_xor_b32 s31, exec_lo, s31
	s_cbranch_execnz .LBB4_1099
; %bb.782:                              ;   in Loop: Header=BB4_393 Depth=4
	s_or_saveexec_b32 s31, s31
	v_mov_b32_e32 v177, s29
	s_xor_b32 exec_lo, exec_lo, s31
	s_cbranch_execnz .LBB4_1102
.LBB4_783:                              ;   in Loop: Header=BB4_393 Depth=4
	s_or_b32 exec_lo, exec_lo, s31
	s_and_saveexec_b32 s29, s13
	s_cbranch_execz .LBB4_785
.LBB4_784:                              ;   in Loop: Header=BB4_393 Depth=4
	v_and_b32_e32 v177, 7, v10
	v_bfe_u32 v180, v10, 3, 4
	v_lshlrev_b32_e32 v181, 24, v10
	s_delay_alu instid0(VALU_DEP_3) | instskip(NEXT) | instid1(VALU_DEP_3)
	v_clz_i32_u32_e32 v178, v177
	v_cmp_eq_u32_e32 vcc_lo, 0, v180
	s_delay_alu instid0(VALU_DEP_2) | instskip(NEXT) | instid1(VALU_DEP_1)
	v_min_u32_e32 v178, 32, v178
	v_subrev_nc_u32_e32 v179, 28, v178
	v_sub_nc_u32_e32 v178, 29, v178
	s_delay_alu instid0(VALU_DEP_2) | instskip(NEXT) | instid1(VALU_DEP_1)
	v_lshlrev_b32_e32 v179, v179, v10
	v_dual_cndmask_b32 v178, v180, v178 :: v_dual_and_b32 v179, 7, v179
	s_delay_alu instid0(VALU_DEP_1) | instskip(NEXT) | instid1(VALU_DEP_2)
	v_lshl_add_u32 v178, v178, 23, 0x3b800000
	v_cndmask_b32_e32 v177, v177, v179, vcc_lo
	v_and_b32_e32 v179, 0x80000000, v181
	s_delay_alu instid0(VALU_DEP_2) | instskip(NEXT) | instid1(VALU_DEP_1)
	v_lshlrev_b32_e32 v177, 20, v177
	v_or3_b32 v177, v179, v178, v177
.LBB4_785:                              ;   in Loop: Header=BB4_393 Depth=4
	s_or_b32 exec_lo, exec_lo, s29
	s_delay_alu instid0(VALU_DEP_1) | instskip(NEXT) | instid1(VALU_DEP_1)
	v_add_f32_e32 v177, v13, v177
	v_and_b32_e32 v13, 0x7f800000, v177
	s_delay_alu instid0(VALU_DEP_1)
	v_cmp_ne_u32_e32 vcc_lo, 0x7f800000, v13
	v_mov_b32_e32 v13, 0x80
	s_and_saveexec_b32 s29, vcc_lo
	s_cbranch_execz .LBB4_793
; %bb.786:                              ;   in Loop: Header=BB4_393 Depth=4
	v_mov_b32_e32 v13, 0
	s_mov_b32 s31, exec_lo
	v_cmpx_ne_u32_e32 0, v177
	s_cbranch_execz .LBB4_792
; %bb.787:                              ;   in Loop: Header=BB4_393 Depth=4
	v_bfe_u32 v13, v177, 23, 8
	s_delay_alu instid0(VALU_DEP_1) | instskip(SKIP_1) | instid1(VALU_DEP_2)
	v_sub_nc_u32_e32 v179, 0x78, v13
	v_cmp_gt_u32_e32 vcc_lo, 0x79, v13
	v_dual_cndmask_b32 v179, 0, v179 :: v_dual_and_b32 v178, 0x7fffff, v177
	s_delay_alu instid0(VALU_DEP_1) | instskip(SKIP_2) | instid1(VALU_DEP_4)
	v_or_b32_e32 v180, 0x800000, v178
	v_cmp_eq_u32_e32 vcc_lo, 0, v13
	v_add_nc_u32_e32 v13, 0xffffff89, v13
	v_cndmask_b32_e64 v179, v179, 0x77, vcc_lo
	s_delay_alu instid0(VALU_DEP_4) | instskip(NEXT) | instid1(VALU_DEP_3)
	v_cndmask_b32_e32 v178, v180, v178, vcc_lo
	v_cndmask_b32_e64 v13, v13, 0xffffff8a, vcc_lo
	s_delay_alu instid0(VALU_DEP_3) | instskip(NEXT) | instid1(VALU_DEP_3)
	v_lshl_add_u32 v180, 0x100000, v179, -1
	v_lshrrev_b32_e32 v181, v179, v178
	v_lshlrev_b32_e64 v183, v179, 0x80000
	s_delay_alu instid0(VALU_DEP_4) | instskip(NEXT) | instid1(VALU_DEP_4)
	v_add_nc_u32_e32 v179, v179, v13
	v_and_b32_e32 v178, v180, v178
	s_delay_alu instid0(VALU_DEP_4) | instskip(NEXT) | instid1(VALU_DEP_2)
	v_bfe_u32 v182, v181, 20, 1
	v_cmp_eq_u32_e64 s13, v178, v183
	s_delay_alu instid0(VALU_DEP_2) | instskip(NEXT) | instid1(VALU_DEP_1)
	v_add_nc_u32_e32 v180, -1, v182
	v_cndmask_b32_e64 v178, 0, v180, s13
	v_lshrrev_b32_e32 v180, 23, v181
	s_mov_b32 s13, exec_lo
	s_delay_alu instid0(VALU_DEP_2) | instskip(NEXT) | instid1(VALU_DEP_2)
	v_add_nc_u32_e32 v178, v178, v181
	v_xor_b32_e32 v180, 1, v180
	s_delay_alu instid0(VALU_DEP_2) | instskip(NEXT) | instid1(VALU_DEP_1)
	v_and_b32_e32 v13, 0xfffff, v178
	v_add_nc_u32_e32 v178, v13, v181
                                        ; implicit-def: $vgpr13
	s_delay_alu instid0(VALU_DEP_3)
	v_cmpx_ne_u32_e64 v179, v180
	s_xor_b32 s13, exec_lo, s13
; %bb.788:                              ;   in Loop: Header=BB4_393 Depth=4
	s_delay_alu instid0(VALU_DEP_2) | instskip(SKIP_2) | instid1(VALU_DEP_2)
	v_cmp_lt_u32_e32 vcc_lo, 0xffffff, v178
	v_sub_nc_u32_e32 v13, v179, v180
	v_cndmask_b32_e64 v179, 0, 1, vcc_lo
	v_add_co_ci_u32_e32 v13, vcc_lo, 0, v13, vcc_lo
	s_delay_alu instid0(VALU_DEP_2)
	v_lshrrev_b32_e32 v178, v179, v178
; %bb.789:                              ;   in Loop: Header=BB4_393 Depth=4
	s_and_not1_saveexec_b32 s13, s13
; %bb.790:                              ;   in Loop: Header=BB4_393 Depth=4
	s_delay_alu instid0(VALU_DEP_1)
	v_bfe_u32 v13, v178, 23, 1
; %bb.791:                              ;   in Loop: Header=BB4_393 Depth=4
	s_or_b32 exec_lo, exec_lo, s13
	v_lshrrev_b32_e32 v178, 20, v178
	s_delay_alu instid0(VALU_DEP_2) | instskip(SKIP_2) | instid1(VALU_DEP_2)
	v_cmp_gt_i32_e32 vcc_lo, 16, v13
	v_lshrrev_b32_e32 v177, 24, v177
	v_min_i32_e32 v179, 15, v13
	v_dual_cndmask_b32 v178, 7, v178 :: v_dual_and_b32 v177, 0x80, v177
	s_delay_alu instid0(VALU_DEP_2) | instskip(NEXT) | instid1(VALU_DEP_2)
	v_lshlrev_b32_e32 v179, 3, v179
	v_or_b32_e32 v13, v13, v178
	s_delay_alu instid0(VALU_DEP_1) | instskip(SKIP_1) | instid1(VALU_DEP_1)
	v_cmp_ne_u32_e32 vcc_lo, 0, v13
	v_and_b32_e32 v180, 7, v178
	v_or3_b32 v177, v179, v177, v180
	s_delay_alu instid0(VALU_DEP_1)
	v_cndmask_b32_e32 v13, 0, v177, vcc_lo
.LBB4_792:                              ;   in Loop: Header=BB4_393 Depth=4
	s_or_b32 exec_lo, exec_lo, s31
.LBB4_793:                              ;   in Loop: Header=BB4_393 Depth=4
	s_delay_alu instid0(SALU_CYCLE_1) | instskip(SKIP_3) | instid1(VALU_DEP_1)
	s_or_b32 exec_lo, exec_lo, s29
	v_lshrrev_b16 v178, 8, v14
	s_mov_b32 s13, 0
	s_mov_b32 s31, exec_lo
                                        ; implicit-def: $sgpr29
	v_cmpx_lt_i16_e64 0x7f, v178
	s_xor_b32 s31, exec_lo, s31
	s_cbranch_execnz .LBB4_1103
; %bb.794:                              ;   in Loop: Header=BB4_393 Depth=4
	s_or_saveexec_b32 s31, s31
	v_mov_b32_e32 v177, s29
	s_xor_b32 exec_lo, exec_lo, s31
	s_cbranch_execnz .LBB4_1106
.LBB4_795:                              ;   in Loop: Header=BB4_393 Depth=4
	s_or_b32 exec_lo, exec_lo, s31
	s_and_saveexec_b32 s29, s13
	s_cbranch_execz .LBB4_797
.LBB4_796:                              ;   in Loop: Header=BB4_393 Depth=4
	v_and_b32_e32 v177, 0xffff, v178
	s_delay_alu instid0(VALU_DEP_1) | instskip(NEXT) | instid1(VALU_DEP_1)
	v_and_b32_e32 v179, 7, v177
	v_clz_i32_u32_e32 v180, v179
	s_delay_alu instid0(VALU_DEP_1) | instskip(NEXT) | instid1(VALU_DEP_1)
	v_min_u32_e32 v180, 32, v180
	v_subrev_nc_u32_e32 v181, 28, v180
	v_sub_nc_u32_e32 v180, 29, v180
	s_delay_alu instid0(VALU_DEP_2) | instskip(SKIP_1) | instid1(VALU_DEP_2)
	v_lshlrev_b32_e32 v181, v181, v177
	v_bfe_u32 v177, v177, 3, 4
	v_and_b32_e32 v181, 7, v181
	s_delay_alu instid0(VALU_DEP_2) | instskip(SKIP_1) | instid1(VALU_DEP_1)
	v_cmp_eq_u32_e32 vcc_lo, 0, v177
	v_dual_cndmask_b32 v177, v177, v180 :: v_dual_lshlrev_b32 v178, 24, v178
	v_dual_cndmask_b32 v179, v179, v181 :: v_dual_and_b32 v178, 0x80000000, v178
	s_delay_alu instid0(VALU_DEP_2) | instskip(NEXT) | instid1(VALU_DEP_2)
	v_lshl_add_u32 v177, v177, 23, 0x3b800000
	v_lshlrev_b32_e32 v179, 20, v179
	s_delay_alu instid0(VALU_DEP_1)
	v_or3_b32 v177, v178, v177, v179
.LBB4_797:                              ;   in Loop: Header=BB4_393 Depth=4
	s_or_b32 exec_lo, exec_lo, s29
	v_lshrrev_b16 v178, 8, v10
	s_mov_b32 s13, 0
	s_mov_b32 s31, exec_lo
                                        ; implicit-def: $sgpr29
	s_delay_alu instid0(VALU_DEP_1)
	v_cmpx_lt_i16_e64 0x7f, v178
	s_xor_b32 s31, exec_lo, s31
	s_cbranch_execnz .LBB4_1107
; %bb.798:                              ;   in Loop: Header=BB4_393 Depth=4
	s_or_saveexec_b32 s31, s31
	v_mov_b32_e32 v179, s29
	s_xor_b32 exec_lo, exec_lo, s31
	s_cbranch_execnz .LBB4_1110
.LBB4_799:                              ;   in Loop: Header=BB4_393 Depth=4
	s_or_b32 exec_lo, exec_lo, s31
	s_and_saveexec_b32 s29, s13
	s_cbranch_execz .LBB4_801
.LBB4_800:                              ;   in Loop: Header=BB4_393 Depth=4
	v_and_b32_e32 v179, 0xffff, v178
	v_lshlrev_b32_e32 v178, 24, v178
	s_delay_alu instid0(VALU_DEP_2) | instskip(NEXT) | instid1(VALU_DEP_2)
	v_and_b32_e32 v180, 7, v179
	v_and_b32_e32 v178, 0x80000000, v178
	s_delay_alu instid0(VALU_DEP_2) | instskip(NEXT) | instid1(VALU_DEP_1)
	v_clz_i32_u32_e32 v181, v180
	v_min_u32_e32 v181, 32, v181
	s_delay_alu instid0(VALU_DEP_1) | instskip(SKIP_1) | instid1(VALU_DEP_2)
	v_subrev_nc_u32_e32 v182, 28, v181
	v_sub_nc_u32_e32 v181, 29, v181
	v_lshlrev_b32_e32 v182, v182, v179
	v_bfe_u32 v179, v179, 3, 4
	s_delay_alu instid0(VALU_DEP_2) | instskip(NEXT) | instid1(VALU_DEP_2)
	v_and_b32_e32 v182, 7, v182
	v_cmp_eq_u32_e32 vcc_lo, 0, v179
	s_delay_alu instid0(VALU_DEP_2) | instskip(NEXT) | instid1(VALU_DEP_1)
	v_dual_cndmask_b32 v179, v179, v181 :: v_dual_cndmask_b32 v180, v180, v182
	v_lshl_add_u32 v179, v179, 23, 0x3b800000
	s_delay_alu instid0(VALU_DEP_2) | instskip(NEXT) | instid1(VALU_DEP_1)
	v_lshlrev_b32_e32 v180, 20, v180
	v_or3_b32 v179, v178, v179, v180
.LBB4_801:                              ;   in Loop: Header=BB4_393 Depth=4
	s_or_b32 exec_lo, exec_lo, s29
	s_delay_alu instid0(VALU_DEP_1) | instskip(NEXT) | instid1(VALU_DEP_1)
	v_add_f32_e32 v178, v177, v179
	v_and_b32_e32 v177, 0x7f800000, v178
	s_delay_alu instid0(VALU_DEP_1)
	v_cmp_ne_u32_e32 vcc_lo, 0x7f800000, v177
	v_mov_b32_e32 v177, 0x80
	s_and_saveexec_b32 s29, vcc_lo
	s_cbranch_execz .LBB4_809
; %bb.802:                              ;   in Loop: Header=BB4_393 Depth=4
	v_mov_b32_e32 v177, 0
	s_mov_b32 s31, exec_lo
	v_cmpx_ne_u32_e32 0, v178
	s_cbranch_execz .LBB4_808
; %bb.803:                              ;   in Loop: Header=BB4_393 Depth=4
	v_bfe_u32 v177, v178, 23, 8
	s_delay_alu instid0(VALU_DEP_1) | instskip(SKIP_1) | instid1(VALU_DEP_2)
	v_sub_nc_u32_e32 v180, 0x78, v177
	v_cmp_gt_u32_e32 vcc_lo, 0x79, v177
	v_dual_cndmask_b32 v180, 0, v180 :: v_dual_and_b32 v179, 0x7fffff, v178
	s_delay_alu instid0(VALU_DEP_1) | instskip(SKIP_2) | instid1(VALU_DEP_4)
	v_or_b32_e32 v181, 0x800000, v179
	v_cmp_eq_u32_e32 vcc_lo, 0, v177
	v_add_nc_u32_e32 v177, 0xffffff89, v177
	v_cndmask_b32_e64 v180, v180, 0x77, vcc_lo
	s_delay_alu instid0(VALU_DEP_2) | instskip(SKIP_1) | instid1(VALU_DEP_3)
	v_cndmask_b32_e64 v177, v177, 0xffffff8a, vcc_lo
	v_cndmask_b32_e32 v179, v181, v179, vcc_lo
	v_lshl_add_u32 v181, 0x100000, v180, -1
	v_lshlrev_b32_e64 v40, v180, 0x80000
	s_delay_alu instid0(VALU_DEP_3) | instskip(SKIP_1) | instid1(VALU_DEP_4)
	v_lshrrev_b32_e32 v182, v180, v179
	v_add_nc_u32_e32 v180, v180, v177
	v_and_b32_e32 v179, v181, v179
	s_delay_alu instid0(VALU_DEP_3) | instskip(NEXT) | instid1(VALU_DEP_2)
	v_bfe_u32 v183, v182, 20, 1
	v_cmp_eq_u32_e64 s13, v179, v40
	s_delay_alu instid0(VALU_DEP_2) | instskip(NEXT) | instid1(VALU_DEP_1)
	v_add_nc_u32_e32 v181, -1, v183
	v_cndmask_b32_e64 v179, 0, v181, s13
	v_lshrrev_b32_e32 v181, 23, v182
	s_mov_b32 s13, exec_lo
	s_delay_alu instid0(VALU_DEP_2) | instskip(NEXT) | instid1(VALU_DEP_2)
	v_add_nc_u32_e32 v179, v179, v182
	v_xor_b32_e32 v181, 1, v181
	s_delay_alu instid0(VALU_DEP_2) | instskip(NEXT) | instid1(VALU_DEP_1)
	v_and_b32_e32 v177, 0xfffff, v179
	v_add_nc_u32_e32 v179, v177, v182
                                        ; implicit-def: $vgpr177
	s_delay_alu instid0(VALU_DEP_3)
	v_cmpx_ne_u32_e64 v180, v181
	s_xor_b32 s13, exec_lo, s13
; %bb.804:                              ;   in Loop: Header=BB4_393 Depth=4
	s_delay_alu instid0(VALU_DEP_2) | instskip(SKIP_2) | instid1(VALU_DEP_2)
	v_cmp_lt_u32_e32 vcc_lo, 0xffffff, v179
	v_sub_nc_u32_e32 v177, v180, v181
	v_cndmask_b32_e64 v180, 0, 1, vcc_lo
	v_add_co_ci_u32_e32 v177, vcc_lo, 0, v177, vcc_lo
	s_delay_alu instid0(VALU_DEP_2)
	v_lshrrev_b32_e32 v179, v180, v179
; %bb.805:                              ;   in Loop: Header=BB4_393 Depth=4
	s_and_not1_saveexec_b32 s13, s13
; %bb.806:                              ;   in Loop: Header=BB4_393 Depth=4
	s_delay_alu instid0(VALU_DEP_1)
	v_bfe_u32 v177, v179, 23, 1
; %bb.807:                              ;   in Loop: Header=BB4_393 Depth=4
	s_or_b32 exec_lo, exec_lo, s13
	v_lshrrev_b32_e32 v179, 20, v179
	s_delay_alu instid0(VALU_DEP_2) | instskip(SKIP_2) | instid1(VALU_DEP_2)
	v_cmp_gt_i32_e32 vcc_lo, 16, v177
	v_lshrrev_b32_e32 v178, 24, v178
	v_min_i32_e32 v180, 15, v177
	v_dual_cndmask_b32 v179, 7, v179 :: v_dual_and_b32 v178, 0x80, v178
	s_delay_alu instid0(VALU_DEP_1) | instskip(SKIP_1) | instid1(VALU_DEP_2)
	v_or_b32_e32 v177, v177, v179
	v_and_b32_e32 v181, 7, v179
	v_cmp_ne_u32_e32 vcc_lo, 0, v177
	v_lshlrev_b32_e32 v180, 3, v180
	s_delay_alu instid0(VALU_DEP_1) | instskip(NEXT) | instid1(VALU_DEP_1)
	v_or3_b32 v178, v180, v178, v181
	v_cndmask_b32_e32 v177, 0, v178, vcc_lo
.LBB4_808:                              ;   in Loop: Header=BB4_393 Depth=4
	s_or_b32 exec_lo, exec_lo, s31
.LBB4_809:                              ;   in Loop: Header=BB4_393 Depth=4
	s_delay_alu instid0(SALU_CYCLE_1) | instskip(SKIP_3) | instid1(VALU_DEP_1)
	s_or_b32 exec_lo, exec_lo, s29
	v_lshrrev_b32_e32 v179, 16, v14
	s_mov_b32 s13, 0
	s_mov_b32 s31, exec_lo
                                        ; implicit-def: $sgpr29
	v_and_b32_e32 v180, 0xff, v179
	s_delay_alu instid0(VALU_DEP_1)
	v_cmpx_lt_i16_e64 0x7f, v180
	s_xor_b32 s31, exec_lo, s31
	s_cbranch_execnz .LBB4_1111
; %bb.810:                              ;   in Loop: Header=BB4_393 Depth=4
	s_or_saveexec_b32 s31, s31
	v_mov_b32_e32 v178, s29
	s_xor_b32 exec_lo, exec_lo, s31
	s_cbranch_execnz .LBB4_1114
.LBB4_811:                              ;   in Loop: Header=BB4_393 Depth=4
	s_or_b32 exec_lo, exec_lo, s31
	s_and_saveexec_b32 s29, s13
	s_cbranch_execz .LBB4_813
.LBB4_812:                              ;   in Loop: Header=BB4_393 Depth=4
	v_bfe_u32 v178, v14, 16, 3
	v_lshlrev_b32_e32 v182, 8, v14
	s_delay_alu instid0(VALU_DEP_2) | instskip(NEXT) | instid1(VALU_DEP_1)
	v_clz_i32_u32_e32 v180, v178
	v_min_u32_e32 v180, 32, v180
	s_delay_alu instid0(VALU_DEP_1) | instskip(SKIP_1) | instid1(VALU_DEP_2)
	v_subrev_nc_u32_e32 v181, 28, v180
	v_sub_nc_u32_e32 v180, 29, v180
	v_lshlrev_b32_e32 v179, v181, v179
	v_bfe_u32 v181, v14, 19, 4
	s_delay_alu instid0(VALU_DEP_1) | instskip(NEXT) | instid1(VALU_DEP_3)
	v_cmp_eq_u32_e32 vcc_lo, 0, v181
	v_dual_cndmask_b32 v180, v181, v180 :: v_dual_and_b32 v179, 7, v179
	s_delay_alu instid0(VALU_DEP_1) | instskip(NEXT) | instid1(VALU_DEP_2)
	v_dual_cndmask_b32 v178, v178, v179 :: v_dual_and_b32 v179, 0x80000000, v182
	v_lshl_add_u32 v180, v180, 23, 0x3b800000
	s_delay_alu instid0(VALU_DEP_2) | instskip(NEXT) | instid1(VALU_DEP_1)
	v_lshlrev_b32_e32 v178, 20, v178
	v_or3_b32 v178, v179, v180, v178
.LBB4_813:                              ;   in Loop: Header=BB4_393 Depth=4
	s_or_b32 exec_lo, exec_lo, s29
	v_lshrrev_b32_e32 v179, 16, v10
	s_mov_b32 s13, 0
	s_mov_b32 s31, exec_lo
                                        ; implicit-def: $sgpr29
	s_delay_alu instid0(VALU_DEP_1) | instskip(NEXT) | instid1(VALU_DEP_1)
	v_and_b32_e32 v181, 0xff, v179
	v_cmpx_lt_i16_e64 0x7f, v181
	s_xor_b32 s31, exec_lo, s31
	s_cbranch_execnz .LBB4_1115
; %bb.814:                              ;   in Loop: Header=BB4_393 Depth=4
	s_or_saveexec_b32 s31, s31
	v_mov_b32_e32 v180, s29
	s_xor_b32 exec_lo, exec_lo, s31
	s_cbranch_execnz .LBB4_1118
.LBB4_815:                              ;   in Loop: Header=BB4_393 Depth=4
	s_or_b32 exec_lo, exec_lo, s31
	s_and_saveexec_b32 s29, s13
	s_cbranch_execz .LBB4_817
.LBB4_816:                              ;   in Loop: Header=BB4_393 Depth=4
	v_bfe_u32 v180, v10, 16, 3
	v_lshlrev_b32_e32 v183, 8, v10
	s_delay_alu instid0(VALU_DEP_2) | instskip(NEXT) | instid1(VALU_DEP_1)
	v_clz_i32_u32_e32 v181, v180
	v_min_u32_e32 v181, 32, v181
	s_delay_alu instid0(VALU_DEP_1) | instskip(SKIP_1) | instid1(VALU_DEP_2)
	v_subrev_nc_u32_e32 v182, 28, v181
	v_sub_nc_u32_e32 v181, 29, v181
	v_lshlrev_b32_e32 v179, v182, v179
	v_bfe_u32 v182, v10, 19, 4
	s_delay_alu instid0(VALU_DEP_2) | instskip(NEXT) | instid1(VALU_DEP_2)
	v_and_b32_e32 v179, 7, v179
	v_cmp_eq_u32_e32 vcc_lo, 0, v182
	v_cndmask_b32_e32 v181, v182, v181, vcc_lo
	s_delay_alu instid0(VALU_DEP_3) | instskip(SKIP_1) | instid1(VALU_DEP_3)
	v_cndmask_b32_e32 v179, v180, v179, vcc_lo
	v_and_b32_e32 v180, 0x80000000, v183
	v_lshl_add_u32 v181, v181, 23, 0x3b800000
	s_delay_alu instid0(VALU_DEP_3) | instskip(NEXT) | instid1(VALU_DEP_1)
	v_lshlrev_b32_e32 v179, 20, v179
	v_or3_b32 v180, v180, v181, v179
.LBB4_817:                              ;   in Loop: Header=BB4_393 Depth=4
	s_or_b32 exec_lo, exec_lo, s29
	s_delay_alu instid0(VALU_DEP_1) | instskip(NEXT) | instid1(VALU_DEP_1)
	v_add_f32_e32 v179, v178, v180
	v_and_b32_e32 v178, 0x7f800000, v179
	s_delay_alu instid0(VALU_DEP_1)
	v_cmp_ne_u32_e32 vcc_lo, 0x7f800000, v178
	v_mov_b32_e32 v178, 0x80
	s_and_saveexec_b32 s29, vcc_lo
	s_cbranch_execz .LBB4_825
; %bb.818:                              ;   in Loop: Header=BB4_393 Depth=4
	v_mov_b32_e32 v178, 0
	s_mov_b32 s31, exec_lo
	v_cmpx_ne_u32_e32 0, v179
	s_cbranch_execz .LBB4_824
; %bb.819:                              ;   in Loop: Header=BB4_393 Depth=4
	v_bfe_u32 v178, v179, 23, 8
	s_delay_alu instid0(VALU_DEP_1) | instskip(SKIP_1) | instid1(VALU_DEP_2)
	v_sub_nc_u32_e32 v181, 0x78, v178
	v_cmp_gt_u32_e32 vcc_lo, 0x79, v178
	v_dual_cndmask_b32 v181, 0, v181 :: v_dual_and_b32 v180, 0x7fffff, v179
	s_delay_alu instid0(VALU_DEP_1) | instskip(SKIP_2) | instid1(VALU_DEP_4)
	v_or_b32_e32 v182, 0x800000, v180
	v_cmp_eq_u32_e32 vcc_lo, 0, v178
	v_add_nc_u32_e32 v178, 0xffffff89, v178
	v_cndmask_b32_e64 v181, v181, 0x77, vcc_lo
	s_delay_alu instid0(VALU_DEP_2) | instskip(SKIP_1) | instid1(VALU_DEP_3)
	v_cndmask_b32_e64 v178, v178, 0xffffff8a, vcc_lo
	v_cndmask_b32_e32 v180, v182, v180, vcc_lo
	v_lshl_add_u32 v182, 0x100000, v181, -1
	v_lshlrev_b32_e64 v41, v181, 0x80000
	s_delay_alu instid0(VALU_DEP_3) | instskip(SKIP_1) | instid1(VALU_DEP_4)
	v_lshrrev_b32_e32 v183, v181, v180
	v_add_nc_u32_e32 v181, v181, v178
	v_and_b32_e32 v180, v182, v180
	s_delay_alu instid0(VALU_DEP_3) | instskip(NEXT) | instid1(VALU_DEP_2)
	v_bfe_u32 v40, v183, 20, 1
	v_cmp_eq_u32_e64 s13, v180, v41
	s_delay_alu instid0(VALU_DEP_2) | instskip(NEXT) | instid1(VALU_DEP_1)
	v_add_nc_u32_e32 v182, -1, v40
	v_cndmask_b32_e64 v180, 0, v182, s13
	v_lshrrev_b32_e32 v182, 23, v183
	s_mov_b32 s13, exec_lo
	s_delay_alu instid0(VALU_DEP_2) | instskip(NEXT) | instid1(VALU_DEP_2)
	v_add_nc_u32_e32 v180, v180, v183
	v_xor_b32_e32 v182, 1, v182
	s_delay_alu instid0(VALU_DEP_2) | instskip(NEXT) | instid1(VALU_DEP_1)
	v_and_b32_e32 v178, 0xfffff, v180
	v_add_nc_u32_e32 v180, v178, v183
                                        ; implicit-def: $vgpr178
	s_delay_alu instid0(VALU_DEP_3)
	v_cmpx_ne_u32_e64 v181, v182
	s_xor_b32 s13, exec_lo, s13
; %bb.820:                              ;   in Loop: Header=BB4_393 Depth=4
	s_delay_alu instid0(VALU_DEP_2) | instskip(SKIP_2) | instid1(VALU_DEP_2)
	v_cmp_lt_u32_e32 vcc_lo, 0xffffff, v180
	v_sub_nc_u32_e32 v178, v181, v182
	v_cndmask_b32_e64 v181, 0, 1, vcc_lo
	v_add_co_ci_u32_e32 v178, vcc_lo, 0, v178, vcc_lo
	s_delay_alu instid0(VALU_DEP_2)
	v_lshrrev_b32_e32 v180, v181, v180
; %bb.821:                              ;   in Loop: Header=BB4_393 Depth=4
	s_and_not1_saveexec_b32 s13, s13
; %bb.822:                              ;   in Loop: Header=BB4_393 Depth=4
	s_delay_alu instid0(VALU_DEP_1)
	v_bfe_u32 v178, v180, 23, 1
; %bb.823:                              ;   in Loop: Header=BB4_393 Depth=4
	s_or_b32 exec_lo, exec_lo, s13
	v_lshrrev_b32_e32 v180, 20, v180
	s_delay_alu instid0(VALU_DEP_2) | instskip(SKIP_2) | instid1(VALU_DEP_2)
	v_cmp_gt_i32_e32 vcc_lo, 16, v178
	v_lshrrev_b32_e32 v179, 24, v179
	v_min_i32_e32 v181, 15, v178
	v_dual_cndmask_b32 v180, 7, v180 :: v_dual_and_b32 v179, 0x80, v179
	s_delay_alu instid0(VALU_DEP_1) | instskip(SKIP_1) | instid1(VALU_DEP_2)
	v_or_b32_e32 v178, v178, v180
	v_and_b32_e32 v182, 7, v180
	v_cmp_ne_u32_e32 vcc_lo, 0, v178
	v_lshlrev_b32_e32 v181, 3, v181
	s_delay_alu instid0(VALU_DEP_1) | instskip(NEXT) | instid1(VALU_DEP_1)
	v_or3_b32 v179, v181, v179, v182
	v_cndmask_b32_e32 v178, 0, v179, vcc_lo
.LBB4_824:                              ;   in Loop: Header=BB4_393 Depth=4
	s_or_b32 exec_lo, exec_lo, s31
.LBB4_825:                              ;   in Loop: Header=BB4_393 Depth=4
	s_delay_alu instid0(SALU_CYCLE_1) | instskip(SKIP_3) | instid1(VALU_DEP_1)
	s_or_b32 exec_lo, exec_lo, s29
	v_lshrrev_b32_e32 v180, 24, v14
	s_mov_b32 s13, 0
	s_mov_b32 s31, exec_lo
                                        ; implicit-def: $sgpr29
	v_cmpx_lt_i16_e64 0x7f, v180
	s_xor_b32 s31, exec_lo, s31
	s_cbranch_execnz .LBB4_1119
; %bb.826:                              ;   in Loop: Header=BB4_393 Depth=4
	s_or_saveexec_b32 s31, s31
	v_mov_b32_e32 v179, s29
	s_xor_b32 exec_lo, exec_lo, s31
	s_cbranch_execnz .LBB4_1122
.LBB4_827:                              ;   in Loop: Header=BB4_393 Depth=4
	s_or_b32 exec_lo, exec_lo, s31
	s_and_saveexec_b32 s29, s13
	s_cbranch_execz .LBB4_829
.LBB4_828:                              ;   in Loop: Header=BB4_393 Depth=4
	v_bfe_u32 v179, v14, 24, 3
	s_delay_alu instid0(VALU_DEP_1) | instskip(NEXT) | instid1(VALU_DEP_1)
	v_clz_i32_u32_e32 v181, v179
	v_min_u32_e32 v181, 32, v181
	s_delay_alu instid0(VALU_DEP_1) | instskip(SKIP_1) | instid1(VALU_DEP_2)
	v_subrev_nc_u32_e32 v182, 28, v181
	v_sub_nc_u32_e32 v181, 29, v181
	v_lshlrev_b32_e32 v180, v182, v180
	v_bfe_u32 v182, v14, 27, 4
	v_and_b32_e32 v14, 0x80000000, v14
	s_delay_alu instid0(VALU_DEP_2) | instskip(NEXT) | instid1(VALU_DEP_4)
	v_cmp_eq_u32_e32 vcc_lo, 0, v182
	v_dual_cndmask_b32 v181, v182, v181 :: v_dual_and_b32 v180, 7, v180
	s_delay_alu instid0(VALU_DEP_1) | instskip(NEXT) | instid1(VALU_DEP_2)
	v_cndmask_b32_e32 v179, v179, v180, vcc_lo
	v_lshl_add_u32 v180, v181, 23, 0x3b800000
	s_delay_alu instid0(VALU_DEP_2) | instskip(NEXT) | instid1(VALU_DEP_1)
	v_lshlrev_b32_e32 v179, 20, v179
	v_or3_b32 v179, v14, v180, v179
.LBB4_829:                              ;   in Loop: Header=BB4_393 Depth=4
	s_or_b32 exec_lo, exec_lo, s29
	v_lshrrev_b32_e32 v14, 24, v10
	s_mov_b32 s13, 0
	s_mov_b32 s31, exec_lo
                                        ; implicit-def: $sgpr29
	s_delay_alu instid0(VALU_DEP_1)
	v_cmpx_lt_i16_e32 0x7f, v14
	s_xor_b32 s31, exec_lo, s31
	s_cbranch_execnz .LBB4_1123
; %bb.830:                              ;   in Loop: Header=BB4_393 Depth=4
	s_or_saveexec_b32 s31, s31
	v_mov_b32_e32 v180, s29
	s_xor_b32 exec_lo, exec_lo, s31
	s_cbranch_execnz .LBB4_1126
.LBB4_831:                              ;   in Loop: Header=BB4_393 Depth=4
	s_or_b32 exec_lo, exec_lo, s31
	s_and_saveexec_b32 s29, s13
	s_cbranch_execz .LBB4_833
.LBB4_832:                              ;   in Loop: Header=BB4_393 Depth=4
	v_bfe_u32 v180, v10, 24, 3
	s_delay_alu instid0(VALU_DEP_1) | instskip(NEXT) | instid1(VALU_DEP_1)
	v_clz_i32_u32_e32 v181, v180
	v_min_u32_e32 v181, 32, v181
	s_delay_alu instid0(VALU_DEP_1) | instskip(SKIP_1) | instid1(VALU_DEP_2)
	v_subrev_nc_u32_e32 v182, 28, v181
	v_sub_nc_u32_e32 v181, 29, v181
	v_lshlrev_b32_e32 v14, v182, v14
	v_bfe_u32 v182, v10, 27, 4
	v_and_b32_e32 v10, 0x80000000, v10
	s_delay_alu instid0(VALU_DEP_2) | instskip(NEXT) | instid1(VALU_DEP_4)
	v_cmp_eq_u32_e32 vcc_lo, 0, v182
	v_dual_cndmask_b32 v181, v182, v181 :: v_dual_and_b32 v14, 7, v14
	s_delay_alu instid0(VALU_DEP_1) | instskip(NEXT) | instid1(VALU_DEP_2)
	v_cndmask_b32_e32 v14, v180, v14, vcc_lo
	v_lshl_add_u32 v180, v181, 23, 0x3b800000
	s_delay_alu instid0(VALU_DEP_2) | instskip(NEXT) | instid1(VALU_DEP_1)
	v_lshlrev_b32_e32 v14, 20, v14
	v_or3_b32 v180, v10, v180, v14
.LBB4_833:                              ;   in Loop: Header=BB4_393 Depth=4
	s_or_b32 exec_lo, exec_lo, s29
	s_delay_alu instid0(VALU_DEP_1) | instskip(NEXT) | instid1(VALU_DEP_1)
	v_add_f32_e32 v14, v179, v180
	v_and_b32_e32 v10, 0x7f800000, v14
	s_delay_alu instid0(VALU_DEP_1)
	v_cmp_ne_u32_e32 vcc_lo, 0x7f800000, v10
	v_mov_b32_e32 v10, 0x80
	s_and_saveexec_b32 s29, vcc_lo
	s_cbranch_execz .LBB4_841
; %bb.834:                              ;   in Loop: Header=BB4_393 Depth=4
	v_mov_b32_e32 v10, 0
	s_mov_b32 s31, exec_lo
	v_cmpx_ne_u32_e32 0, v14
	s_cbranch_execz .LBB4_840
; %bb.835:                              ;   in Loop: Header=BB4_393 Depth=4
	v_bfe_u32 v10, v14, 23, 8
	s_delay_alu instid0(VALU_DEP_1) | instskip(SKIP_1) | instid1(VALU_DEP_2)
	v_sub_nc_u32_e32 v180, 0x78, v10
	v_cmp_gt_u32_e32 vcc_lo, 0x79, v10
	v_dual_cndmask_b32 v180, 0, v180 :: v_dual_and_b32 v179, 0x7fffff, v14
	s_delay_alu instid0(VALU_DEP_1) | instskip(SKIP_2) | instid1(VALU_DEP_4)
	v_or_b32_e32 v181, 0x800000, v179
	v_cmp_eq_u32_e32 vcc_lo, 0, v10
	v_add_nc_u32_e32 v10, 0xffffff89, v10
	v_cndmask_b32_e64 v180, v180, 0x77, vcc_lo
	s_delay_alu instid0(VALU_DEP_4) | instskip(NEXT) | instid1(VALU_DEP_3)
	v_cndmask_b32_e32 v179, v181, v179, vcc_lo
	v_cndmask_b32_e64 v10, v10, 0xffffff8a, vcc_lo
	s_delay_alu instid0(VALU_DEP_3) | instskip(NEXT) | instid1(VALU_DEP_3)
	v_lshl_add_u32 v181, 0x100000, v180, -1
	v_lshrrev_b32_e32 v182, v180, v179
	v_lshlrev_b32_e64 v40, v180, 0x80000
	s_delay_alu instid0(VALU_DEP_4) | instskip(NEXT) | instid1(VALU_DEP_4)
	v_add_nc_u32_e32 v180, v180, v10
	v_and_b32_e32 v179, v181, v179
	s_delay_alu instid0(VALU_DEP_4) | instskip(NEXT) | instid1(VALU_DEP_2)
	v_bfe_u32 v183, v182, 20, 1
	v_cmp_eq_u32_e64 s13, v179, v40
	s_delay_alu instid0(VALU_DEP_2) | instskip(NEXT) | instid1(VALU_DEP_1)
	v_add_nc_u32_e32 v181, -1, v183
	v_cndmask_b32_e64 v179, 0, v181, s13
	v_lshrrev_b32_e32 v181, 23, v182
	s_mov_b32 s13, exec_lo
	s_delay_alu instid0(VALU_DEP_2) | instskip(NEXT) | instid1(VALU_DEP_2)
	v_add_nc_u32_e32 v179, v179, v182
	v_xor_b32_e32 v181, 1, v181
	s_delay_alu instid0(VALU_DEP_2) | instskip(NEXT) | instid1(VALU_DEP_1)
	v_and_b32_e32 v10, 0xfffff, v179
	v_add_nc_u32_e32 v179, v10, v182
                                        ; implicit-def: $vgpr10
	s_delay_alu instid0(VALU_DEP_3)
	v_cmpx_ne_u32_e64 v180, v181
	s_xor_b32 s13, exec_lo, s13
; %bb.836:                              ;   in Loop: Header=BB4_393 Depth=4
	s_delay_alu instid0(VALU_DEP_2) | instskip(SKIP_2) | instid1(VALU_DEP_2)
	v_cmp_lt_u32_e32 vcc_lo, 0xffffff, v179
	v_sub_nc_u32_e32 v10, v180, v181
	v_cndmask_b32_e64 v180, 0, 1, vcc_lo
	v_add_co_ci_u32_e32 v10, vcc_lo, 0, v10, vcc_lo
	s_delay_alu instid0(VALU_DEP_2)
	v_lshrrev_b32_e32 v179, v180, v179
; %bb.837:                              ;   in Loop: Header=BB4_393 Depth=4
	s_and_not1_saveexec_b32 s13, s13
; %bb.838:                              ;   in Loop: Header=BB4_393 Depth=4
	s_delay_alu instid0(VALU_DEP_1)
	v_bfe_u32 v10, v179, 23, 1
; %bb.839:                              ;   in Loop: Header=BB4_393 Depth=4
	s_or_b32 exec_lo, exec_lo, s13
	v_lshrrev_b32_e32 v179, 20, v179
	s_delay_alu instid0(VALU_DEP_2) | instskip(SKIP_2) | instid1(VALU_DEP_2)
	v_cmp_gt_i32_e32 vcc_lo, 16, v10
	v_lshrrev_b32_e32 v14, 24, v14
	v_min_i32_e32 v180, 15, v10
	v_dual_cndmask_b32 v179, 7, v179 :: v_dual_and_b32 v14, 0x80, v14
	s_delay_alu instid0(VALU_DEP_2) | instskip(NEXT) | instid1(VALU_DEP_2)
	v_lshlrev_b32_e32 v180, 3, v180
	v_or_b32_e32 v10, v10, v179
	s_delay_alu instid0(VALU_DEP_1) | instskip(SKIP_1) | instid1(VALU_DEP_1)
	v_cmp_ne_u32_e32 vcc_lo, 0, v10
	v_and_b32_e32 v181, 7, v179
	v_or3_b32 v14, v180, v14, v181
	s_delay_alu instid0(VALU_DEP_1)
	v_cndmask_b32_e32 v10, 0, v14, vcc_lo
.LBB4_840:                              ;   in Loop: Header=BB4_393 Depth=4
	s_or_b32 exec_lo, exec_lo, s31
.LBB4_841:                              ;   in Loop: Header=BB4_393 Depth=4
	s_delay_alu instid0(SALU_CYCLE_1) | instskip(SKIP_3) | instid1(VALU_DEP_1)
	s_or_b32 exec_lo, exec_lo, s29
	v_and_b32_e32 v179, 0xff, v15
	s_mov_b32 s13, 0
	s_mov_b32 s31, exec_lo
                                        ; implicit-def: $sgpr29
	v_cmpx_lt_i16_e64 0x7f, v179
	s_xor_b32 s31, exec_lo, s31
	s_cbranch_execnz .LBB4_1127
; %bb.842:                              ;   in Loop: Header=BB4_393 Depth=4
	s_or_saveexec_b32 s31, s31
	v_mov_b32_e32 v14, s29
	s_xor_b32 exec_lo, exec_lo, s31
	s_cbranch_execnz .LBB4_1130
.LBB4_843:                              ;   in Loop: Header=BB4_393 Depth=4
	s_or_b32 exec_lo, exec_lo, s31
	s_and_saveexec_b32 s29, s13
	s_cbranch_execz .LBB4_845
.LBB4_844:                              ;   in Loop: Header=BB4_393 Depth=4
	v_and_b32_e32 v14, 7, v15
	v_bfe_u32 v181, v15, 3, 4
	v_lshlrev_b32_e32 v182, 24, v15
	s_delay_alu instid0(VALU_DEP_3) | instskip(NEXT) | instid1(VALU_DEP_3)
	v_clz_i32_u32_e32 v179, v14
	v_cmp_eq_u32_e32 vcc_lo, 0, v181
	s_delay_alu instid0(VALU_DEP_2) | instskip(NEXT) | instid1(VALU_DEP_1)
	v_min_u32_e32 v179, 32, v179
	v_subrev_nc_u32_e32 v180, 28, v179
	v_sub_nc_u32_e32 v179, 29, v179
	s_delay_alu instid0(VALU_DEP_2) | instskip(NEXT) | instid1(VALU_DEP_1)
	v_lshlrev_b32_e32 v180, v180, v15
	v_dual_cndmask_b32 v179, v181, v179 :: v_dual_and_b32 v180, 7, v180
	s_delay_alu instid0(VALU_DEP_1) | instskip(NEXT) | instid1(VALU_DEP_2)
	v_lshl_add_u32 v179, v179, 23, 0x3b800000
	v_cndmask_b32_e32 v14, v14, v180, vcc_lo
	v_and_b32_e32 v180, 0x80000000, v182
	s_delay_alu instid0(VALU_DEP_2) | instskip(NEXT) | instid1(VALU_DEP_1)
	v_lshlrev_b32_e32 v14, 20, v14
	v_or3_b32 v14, v180, v179, v14
.LBB4_845:                              ;   in Loop: Header=BB4_393 Depth=4
	s_or_b32 exec_lo, exec_lo, s29
	v_and_b32_e32 v180, 0xff, v11
	s_mov_b32 s13, 0
	s_mov_b32 s31, exec_lo
                                        ; implicit-def: $sgpr29
	s_delay_alu instid0(VALU_DEP_1)
	v_cmpx_lt_i16_e64 0x7f, v180
	s_xor_b32 s31, exec_lo, s31
	s_cbranch_execnz .LBB4_1131
; %bb.846:                              ;   in Loop: Header=BB4_393 Depth=4
	s_or_saveexec_b32 s31, s31
	v_mov_b32_e32 v179, s29
	s_xor_b32 exec_lo, exec_lo, s31
	s_cbranch_execnz .LBB4_1134
.LBB4_847:                              ;   in Loop: Header=BB4_393 Depth=4
	s_or_b32 exec_lo, exec_lo, s31
	s_and_saveexec_b32 s29, s13
	s_cbranch_execz .LBB4_849
.LBB4_848:                              ;   in Loop: Header=BB4_393 Depth=4
	v_bfe_u32 v182, v11, 3, 4
	v_lshlrev_b32_e32 v183, 24, v11
	s_delay_alu instid0(VALU_DEP_2) | instskip(SKIP_1) | instid1(VALU_DEP_1)
	v_cmp_eq_u32_e32 vcc_lo, 0, v182
	v_and_b32_e32 v179, 7, v11
	v_clz_i32_u32_e32 v180, v179
	s_delay_alu instid0(VALU_DEP_1) | instskip(NEXT) | instid1(VALU_DEP_1)
	v_min_u32_e32 v180, 32, v180
	v_subrev_nc_u32_e32 v181, 28, v180
	v_sub_nc_u32_e32 v180, 29, v180
	s_delay_alu instid0(VALU_DEP_1) | instskip(NEXT) | instid1(VALU_DEP_1)
	v_dual_cndmask_b32 v180, v182, v180 :: v_dual_lshlrev_b32 v181, v181, v11
	v_and_b32_e32 v181, 7, v181
	s_delay_alu instid0(VALU_DEP_2) | instskip(NEXT) | instid1(VALU_DEP_2)
	v_lshl_add_u32 v180, v180, 23, 0x3b800000
	v_cndmask_b32_e32 v179, v179, v181, vcc_lo
	v_and_b32_e32 v181, 0x80000000, v183
	s_delay_alu instid0(VALU_DEP_2) | instskip(NEXT) | instid1(VALU_DEP_1)
	v_lshlrev_b32_e32 v179, 20, v179
	v_or3_b32 v179, v181, v180, v179
.LBB4_849:                              ;   in Loop: Header=BB4_393 Depth=4
	s_or_b32 exec_lo, exec_lo, s29
	s_delay_alu instid0(VALU_DEP_1) | instskip(NEXT) | instid1(VALU_DEP_1)
	v_add_f32_e32 v179, v14, v179
	v_and_b32_e32 v14, 0x7f800000, v179
	s_delay_alu instid0(VALU_DEP_1)
	v_cmp_ne_u32_e32 vcc_lo, 0x7f800000, v14
	v_mov_b32_e32 v14, 0x80
	s_and_saveexec_b32 s29, vcc_lo
	s_cbranch_execz .LBB4_857
; %bb.850:                              ;   in Loop: Header=BB4_393 Depth=4
	v_mov_b32_e32 v14, 0
	s_mov_b32 s31, exec_lo
	v_cmpx_ne_u32_e32 0, v179
	s_cbranch_execz .LBB4_856
; %bb.851:                              ;   in Loop: Header=BB4_393 Depth=4
	v_bfe_u32 v14, v179, 23, 8
	s_delay_alu instid0(VALU_DEP_1) | instskip(SKIP_1) | instid1(VALU_DEP_2)
	v_sub_nc_u32_e32 v181, 0x78, v14
	v_cmp_gt_u32_e32 vcc_lo, 0x79, v14
	v_dual_cndmask_b32 v181, 0, v181 :: v_dual_and_b32 v180, 0x7fffff, v179
	s_delay_alu instid0(VALU_DEP_1) | instskip(SKIP_2) | instid1(VALU_DEP_4)
	v_or_b32_e32 v182, 0x800000, v180
	v_cmp_eq_u32_e32 vcc_lo, 0, v14
	v_add_nc_u32_e32 v14, 0xffffff89, v14
	v_cndmask_b32_e64 v181, v181, 0x77, vcc_lo
	s_delay_alu instid0(VALU_DEP_2) | instskip(SKIP_1) | instid1(VALU_DEP_3)
	v_cndmask_b32_e64 v14, v14, 0xffffff8a, vcc_lo
	v_cndmask_b32_e32 v180, v182, v180, vcc_lo
	v_lshl_add_u32 v182, 0x100000, v181, -1
	v_lshlrev_b32_e64 v41, v181, 0x80000
	s_delay_alu instid0(VALU_DEP_3) | instskip(SKIP_1) | instid1(VALU_DEP_4)
	v_lshrrev_b32_e32 v183, v181, v180
	v_add_nc_u32_e32 v181, v181, v14
	v_and_b32_e32 v180, v182, v180
	s_delay_alu instid0(VALU_DEP_3) | instskip(NEXT) | instid1(VALU_DEP_2)
	v_bfe_u32 v40, v183, 20, 1
	v_cmp_eq_u32_e64 s13, v180, v41
	s_delay_alu instid0(VALU_DEP_2) | instskip(NEXT) | instid1(VALU_DEP_1)
	v_add_nc_u32_e32 v182, -1, v40
	v_cndmask_b32_e64 v180, 0, v182, s13
	v_lshrrev_b32_e32 v182, 23, v183
	s_mov_b32 s13, exec_lo
	s_delay_alu instid0(VALU_DEP_2) | instskip(NEXT) | instid1(VALU_DEP_2)
	v_add_nc_u32_e32 v180, v180, v183
	v_xor_b32_e32 v182, 1, v182
	s_delay_alu instid0(VALU_DEP_2) | instskip(NEXT) | instid1(VALU_DEP_1)
	v_and_b32_e32 v14, 0xfffff, v180
	v_add_nc_u32_e32 v180, v14, v183
                                        ; implicit-def: $vgpr14
	s_delay_alu instid0(VALU_DEP_3)
	v_cmpx_ne_u32_e64 v181, v182
	s_xor_b32 s13, exec_lo, s13
; %bb.852:                              ;   in Loop: Header=BB4_393 Depth=4
	s_delay_alu instid0(VALU_DEP_2) | instskip(SKIP_2) | instid1(VALU_DEP_2)
	v_cmp_lt_u32_e32 vcc_lo, 0xffffff, v180
	v_sub_nc_u32_e32 v14, v181, v182
	v_cndmask_b32_e64 v181, 0, 1, vcc_lo
	v_add_co_ci_u32_e32 v14, vcc_lo, 0, v14, vcc_lo
	s_delay_alu instid0(VALU_DEP_2)
	v_lshrrev_b32_e32 v180, v181, v180
; %bb.853:                              ;   in Loop: Header=BB4_393 Depth=4
	s_and_not1_saveexec_b32 s13, s13
; %bb.854:                              ;   in Loop: Header=BB4_393 Depth=4
	s_delay_alu instid0(VALU_DEP_1)
	v_bfe_u32 v14, v180, 23, 1
; %bb.855:                              ;   in Loop: Header=BB4_393 Depth=4
	s_or_b32 exec_lo, exec_lo, s13
	v_lshrrev_b32_e32 v180, 20, v180
	s_delay_alu instid0(VALU_DEP_2) | instskip(SKIP_2) | instid1(VALU_DEP_2)
	v_cmp_gt_i32_e32 vcc_lo, 16, v14
	v_lshrrev_b32_e32 v179, 24, v179
	v_min_i32_e32 v181, 15, v14
	v_dual_cndmask_b32 v180, 7, v180 :: v_dual_and_b32 v179, 0x80, v179
	s_delay_alu instid0(VALU_DEP_1) | instskip(SKIP_1) | instid1(VALU_DEP_2)
	v_or_b32_e32 v14, v14, v180
	v_and_b32_e32 v182, 7, v180
	v_cmp_ne_u32_e32 vcc_lo, 0, v14
	v_lshlrev_b32_e32 v181, 3, v181
	s_delay_alu instid0(VALU_DEP_1) | instskip(NEXT) | instid1(VALU_DEP_1)
	v_or3_b32 v179, v181, v179, v182
	v_cndmask_b32_e32 v14, 0, v179, vcc_lo
.LBB4_856:                              ;   in Loop: Header=BB4_393 Depth=4
	s_or_b32 exec_lo, exec_lo, s31
.LBB4_857:                              ;   in Loop: Header=BB4_393 Depth=4
	s_delay_alu instid0(SALU_CYCLE_1) | instskip(SKIP_3) | instid1(VALU_DEP_1)
	s_or_b32 exec_lo, exec_lo, s29
	v_lshrrev_b16 v180, 8, v15
	s_mov_b32 s13, 0
	s_mov_b32 s31, exec_lo
                                        ; implicit-def: $sgpr29
	v_cmpx_lt_i16_e64 0x7f, v180
	s_xor_b32 s31, exec_lo, s31
	s_cbranch_execnz .LBB4_1135
; %bb.858:                              ;   in Loop: Header=BB4_393 Depth=4
	s_or_saveexec_b32 s31, s31
	v_mov_b32_e32 v179, s29
	s_xor_b32 exec_lo, exec_lo, s31
	s_cbranch_execnz .LBB4_1138
.LBB4_859:                              ;   in Loop: Header=BB4_393 Depth=4
	s_or_b32 exec_lo, exec_lo, s31
	s_and_saveexec_b32 s29, s13
	s_cbranch_execz .LBB4_861
.LBB4_860:                              ;   in Loop: Header=BB4_393 Depth=4
	v_and_b32_e32 v179, 0xffff, v180
	s_delay_alu instid0(VALU_DEP_1) | instskip(NEXT) | instid1(VALU_DEP_1)
	v_and_b32_e32 v181, 7, v179
	v_clz_i32_u32_e32 v182, v181
	s_delay_alu instid0(VALU_DEP_1) | instskip(NEXT) | instid1(VALU_DEP_1)
	v_min_u32_e32 v182, 32, v182
	v_subrev_nc_u32_e32 v183, 28, v182
	v_sub_nc_u32_e32 v182, 29, v182
	s_delay_alu instid0(VALU_DEP_2) | instskip(SKIP_1) | instid1(VALU_DEP_2)
	v_lshlrev_b32_e32 v183, v183, v179
	v_bfe_u32 v179, v179, 3, 4
	v_and_b32_e32 v183, 7, v183
	s_delay_alu instid0(VALU_DEP_2) | instskip(SKIP_1) | instid1(VALU_DEP_1)
	v_cmp_eq_u32_e32 vcc_lo, 0, v179
	v_dual_cndmask_b32 v179, v179, v182 :: v_dual_lshlrev_b32 v180, 24, v180
	v_dual_cndmask_b32 v181, v181, v183 :: v_dual_and_b32 v180, 0x80000000, v180
	s_delay_alu instid0(VALU_DEP_2) | instskip(NEXT) | instid1(VALU_DEP_2)
	v_lshl_add_u32 v179, v179, 23, 0x3b800000
	v_lshlrev_b32_e32 v181, 20, v181
	s_delay_alu instid0(VALU_DEP_1)
	v_or3_b32 v179, v180, v179, v181
.LBB4_861:                              ;   in Loop: Header=BB4_393 Depth=4
	s_or_b32 exec_lo, exec_lo, s29
	v_lshrrev_b16 v180, 8, v11
	s_mov_b32 s13, 0
	s_mov_b32 s31, exec_lo
                                        ; implicit-def: $sgpr29
	s_delay_alu instid0(VALU_DEP_1)
	v_cmpx_lt_i16_e64 0x7f, v180
	s_xor_b32 s31, exec_lo, s31
	s_cbranch_execnz .LBB4_1139
; %bb.862:                              ;   in Loop: Header=BB4_393 Depth=4
	s_or_saveexec_b32 s31, s31
	v_mov_b32_e32 v181, s29
	s_xor_b32 exec_lo, exec_lo, s31
	s_cbranch_execnz .LBB4_1142
.LBB4_863:                              ;   in Loop: Header=BB4_393 Depth=4
	s_or_b32 exec_lo, exec_lo, s31
	s_and_saveexec_b32 s29, s13
	s_cbranch_execz .LBB4_865
.LBB4_864:                              ;   in Loop: Header=BB4_393 Depth=4
	v_and_b32_e32 v181, 0xffff, v180
	v_lshlrev_b32_e32 v180, 24, v180
	s_delay_alu instid0(VALU_DEP_2) | instskip(NEXT) | instid1(VALU_DEP_2)
	v_and_b32_e32 v182, 7, v181
	v_and_b32_e32 v180, 0x80000000, v180
	s_delay_alu instid0(VALU_DEP_2) | instskip(NEXT) | instid1(VALU_DEP_1)
	v_clz_i32_u32_e32 v183, v182
	v_min_u32_e32 v183, 32, v183
	s_delay_alu instid0(VALU_DEP_1) | instskip(SKIP_1) | instid1(VALU_DEP_2)
	v_subrev_nc_u32_e32 v40, 28, v183
	v_sub_nc_u32_e32 v183, 29, v183
	v_lshlrev_b32_e32 v40, v40, v181
	v_bfe_u32 v181, v181, 3, 4
	s_delay_alu instid0(VALU_DEP_2) | instskip(NEXT) | instid1(VALU_DEP_2)
	v_and_b32_e32 v40, 7, v40
	v_cmp_eq_u32_e32 vcc_lo, 0, v181
	s_delay_alu instid0(VALU_DEP_2) | instskip(NEXT) | instid1(VALU_DEP_1)
	v_dual_cndmask_b32 v181, v181, v183 :: v_dual_cndmask_b32 v182, v182, v40
	v_lshl_add_u32 v181, v181, 23, 0x3b800000
	s_delay_alu instid0(VALU_DEP_2) | instskip(NEXT) | instid1(VALU_DEP_1)
	v_lshlrev_b32_e32 v182, 20, v182
	v_or3_b32 v181, v180, v181, v182
.LBB4_865:                              ;   in Loop: Header=BB4_393 Depth=4
	s_or_b32 exec_lo, exec_lo, s29
	s_delay_alu instid0(VALU_DEP_1) | instskip(NEXT) | instid1(VALU_DEP_1)
	v_add_f32_e32 v180, v179, v181
	v_and_b32_e32 v179, 0x7f800000, v180
	s_delay_alu instid0(VALU_DEP_1)
	v_cmp_ne_u32_e32 vcc_lo, 0x7f800000, v179
	v_mov_b32_e32 v179, 0x8000
	s_and_saveexec_b32 s29, vcc_lo
	s_cbranch_execz .LBB4_873
; %bb.866:                              ;   in Loop: Header=BB4_393 Depth=4
	v_mov_b32_e32 v179, 0
	s_mov_b32 s31, exec_lo
	v_cmpx_ne_u32_e32 0, v180
	s_cbranch_execz .LBB4_872
; %bb.867:                              ;   in Loop: Header=BB4_393 Depth=4
	v_bfe_u32 v179, v180, 23, 8
	s_delay_alu instid0(VALU_DEP_1) | instskip(SKIP_1) | instid1(VALU_DEP_2)
	v_sub_nc_u32_e32 v182, 0x78, v179
	v_cmp_gt_u32_e32 vcc_lo, 0x79, v179
	v_dual_cndmask_b32 v182, 0, v182 :: v_dual_and_b32 v181, 0x7fffff, v180
	s_delay_alu instid0(VALU_DEP_1) | instskip(SKIP_2) | instid1(VALU_DEP_4)
	v_or_b32_e32 v183, 0x800000, v181
	v_cmp_eq_u32_e32 vcc_lo, 0, v179
	v_add_nc_u32_e32 v179, 0xffffff89, v179
	v_cndmask_b32_e64 v182, v182, 0x77, vcc_lo
	s_delay_alu instid0(VALU_DEP_2) | instskip(SKIP_1) | instid1(VALU_DEP_3)
	v_cndmask_b32_e64 v179, v179, 0xffffff8a, vcc_lo
	v_cndmask_b32_e32 v181, v183, v181, vcc_lo
	v_lshl_add_u32 v183, 0x100000, v182, -1
	v_lshlrev_b32_e64 v42, v182, 0x80000
	s_delay_alu instid0(VALU_DEP_3) | instskip(SKIP_1) | instid1(VALU_DEP_4)
	v_lshrrev_b32_e32 v40, v182, v181
	v_add_nc_u32_e32 v182, v182, v179
	v_and_b32_e32 v181, v183, v181
	s_delay_alu instid0(VALU_DEP_3) | instskip(NEXT) | instid1(VALU_DEP_2)
	v_bfe_u32 v41, v40, 20, 1
	v_cmp_eq_u32_e64 s13, v181, v42
	s_delay_alu instid0(VALU_DEP_2) | instskip(NEXT) | instid1(VALU_DEP_1)
	v_add_nc_u32_e32 v183, -1, v41
	v_cndmask_b32_e64 v181, 0, v183, s13
	v_lshrrev_b32_e32 v183, 23, v40
	s_mov_b32 s13, exec_lo
	s_delay_alu instid0(VALU_DEP_2) | instskip(NEXT) | instid1(VALU_DEP_2)
	v_add_nc_u32_e32 v181, v181, v40
	v_xor_b32_e32 v183, 1, v183
	s_delay_alu instid0(VALU_DEP_2) | instskip(NEXT) | instid1(VALU_DEP_1)
	v_and_b32_e32 v179, 0xfffff, v181
	v_add_nc_u32_e32 v181, v179, v40
                                        ; implicit-def: $vgpr179
	s_delay_alu instid0(VALU_DEP_3)
	v_cmpx_ne_u32_e64 v182, v183
	s_xor_b32 s13, exec_lo, s13
; %bb.868:                              ;   in Loop: Header=BB4_393 Depth=4
	s_delay_alu instid0(VALU_DEP_2) | instskip(SKIP_2) | instid1(VALU_DEP_2)
	v_cmp_lt_u32_e32 vcc_lo, 0xffffff, v181
	v_sub_nc_u32_e32 v179, v182, v183
	v_cndmask_b32_e64 v182, 0, 1, vcc_lo
	v_add_co_ci_u32_e32 v179, vcc_lo, 0, v179, vcc_lo
	s_delay_alu instid0(VALU_DEP_2)
	v_lshrrev_b32_e32 v181, v182, v181
; %bb.869:                              ;   in Loop: Header=BB4_393 Depth=4
	s_and_not1_saveexec_b32 s13, s13
; %bb.870:                              ;   in Loop: Header=BB4_393 Depth=4
	s_delay_alu instid0(VALU_DEP_1)
	v_bfe_u32 v179, v181, 23, 1
; %bb.871:                              ;   in Loop: Header=BB4_393 Depth=4
	s_or_b32 exec_lo, exec_lo, s13
	v_lshrrev_b32_e32 v181, 20, v181
	s_delay_alu instid0(VALU_DEP_2) | instskip(SKIP_2) | instid1(VALU_DEP_2)
	v_cmp_gt_i32_e32 vcc_lo, 16, v179
	v_min_i32_e32 v182, 15, v179
	v_lshrrev_b32_e32 v180, 24, v180
	v_dual_cndmask_b32 v181, 7, v181 :: v_dual_lshlrev_b32 v182, 3, v182
	s_delay_alu instid0(VALU_DEP_2) | instskip(NEXT) | instid1(VALU_DEP_2)
	v_and_b32_e32 v180, 0x80, v180
	v_or_b32_e32 v179, v179, v181
	v_and_b32_e32 v183, 7, v181
	s_delay_alu instid0(VALU_DEP_2) | instskip(SKIP_1) | instid1(VALU_DEP_1)
	v_cmp_ne_u32_e32 vcc_lo, 0, v179
	v_and_b32_e32 v182, 0xf8, v182
	v_or3_b32 v180, v180, v182, v183
	s_delay_alu instid0(VALU_DEP_1) | instskip(NEXT) | instid1(VALU_DEP_1)
	v_lshlrev_b32_e32 v180, 8, v180
	v_cndmask_b32_e32 v179, 0, v180, vcc_lo
.LBB4_872:                              ;   in Loop: Header=BB4_393 Depth=4
	s_or_b32 exec_lo, exec_lo, s31
.LBB4_873:                              ;   in Loop: Header=BB4_393 Depth=4
	s_delay_alu instid0(SALU_CYCLE_1) | instskip(SKIP_3) | instid1(VALU_DEP_1)
	s_or_b32 exec_lo, exec_lo, s29
	v_lshrrev_b32_e32 v181, 16, v15
	s_mov_b32 s13, 0
	s_mov_b32 s31, exec_lo
                                        ; implicit-def: $sgpr29
	v_and_b32_e32 v182, 0xff, v181
	s_delay_alu instid0(VALU_DEP_1)
	v_cmpx_lt_i16_e64 0x7f, v182
	s_xor_b32 s31, exec_lo, s31
	s_cbranch_execnz .LBB4_1143
; %bb.874:                              ;   in Loop: Header=BB4_393 Depth=4
	s_or_saveexec_b32 s31, s31
	v_mov_b32_e32 v180, s29
	s_xor_b32 exec_lo, exec_lo, s31
	s_cbranch_execnz .LBB4_1146
.LBB4_875:                              ;   in Loop: Header=BB4_393 Depth=4
	s_or_b32 exec_lo, exec_lo, s31
	s_and_saveexec_b32 s29, s13
	s_cbranch_execz .LBB4_877
.LBB4_876:                              ;   in Loop: Header=BB4_393 Depth=4
	v_bfe_u32 v180, v15, 16, 3
	v_lshlrev_b32_e32 v40, 8, v15
	s_delay_alu instid0(VALU_DEP_2) | instskip(NEXT) | instid1(VALU_DEP_1)
	v_clz_i32_u32_e32 v182, v180
	v_min_u32_e32 v182, 32, v182
	s_delay_alu instid0(VALU_DEP_1) | instskip(SKIP_1) | instid1(VALU_DEP_2)
	v_subrev_nc_u32_e32 v183, 28, v182
	v_sub_nc_u32_e32 v182, 29, v182
	v_lshlrev_b32_e32 v181, v183, v181
	v_bfe_u32 v183, v15, 19, 4
	s_delay_alu instid0(VALU_DEP_1) | instskip(NEXT) | instid1(VALU_DEP_3)
	v_cmp_eq_u32_e32 vcc_lo, 0, v183
	v_dual_cndmask_b32 v182, v183, v182 :: v_dual_and_b32 v181, 7, v181
	s_delay_alu instid0(VALU_DEP_1) | instskip(NEXT) | instid1(VALU_DEP_2)
	v_dual_cndmask_b32 v180, v180, v181 :: v_dual_and_b32 v181, 0x80000000, v40
	v_lshl_add_u32 v182, v182, 23, 0x3b800000
	s_delay_alu instid0(VALU_DEP_2) | instskip(NEXT) | instid1(VALU_DEP_1)
	v_lshlrev_b32_e32 v180, 20, v180
	v_or3_b32 v180, v181, v182, v180
.LBB4_877:                              ;   in Loop: Header=BB4_393 Depth=4
	s_or_b32 exec_lo, exec_lo, s29
	v_lshrrev_b32_e32 v181, 16, v11
	s_mov_b32 s13, 0
	s_mov_b32 s31, exec_lo
                                        ; implicit-def: $sgpr29
	s_delay_alu instid0(VALU_DEP_1) | instskip(NEXT) | instid1(VALU_DEP_1)
	v_and_b32_e32 v183, 0xff, v181
	v_cmpx_lt_i16_e64 0x7f, v183
	s_xor_b32 s31, exec_lo, s31
	s_cbranch_execnz .LBB4_1147
; %bb.878:                              ;   in Loop: Header=BB4_393 Depth=4
	s_or_saveexec_b32 s31, s31
	v_mov_b32_e32 v182, s29
	s_xor_b32 exec_lo, exec_lo, s31
	s_cbranch_execnz .LBB4_1150
.LBB4_879:                              ;   in Loop: Header=BB4_393 Depth=4
	s_or_b32 exec_lo, exec_lo, s31
	s_and_saveexec_b32 s29, s13
	s_cbranch_execz .LBB4_881
.LBB4_880:                              ;   in Loop: Header=BB4_393 Depth=4
	v_bfe_u32 v182, v11, 16, 3
	v_lshlrev_b32_e32 v41, 8, v11
	s_delay_alu instid0(VALU_DEP_2) | instskip(NEXT) | instid1(VALU_DEP_1)
	v_clz_i32_u32_e32 v183, v182
	v_min_u32_e32 v183, 32, v183
	s_delay_alu instid0(VALU_DEP_1) | instskip(SKIP_1) | instid1(VALU_DEP_2)
	v_subrev_nc_u32_e32 v40, 28, v183
	v_sub_nc_u32_e32 v183, 29, v183
	v_lshlrev_b32_e32 v181, v40, v181
	v_bfe_u32 v40, v11, 19, 4
	s_delay_alu instid0(VALU_DEP_2) | instskip(NEXT) | instid1(VALU_DEP_2)
	v_and_b32_e32 v181, 7, v181
	v_cmp_eq_u32_e32 vcc_lo, 0, v40
	v_cndmask_b32_e32 v183, v40, v183, vcc_lo
	s_delay_alu instid0(VALU_DEP_3) | instskip(SKIP_1) | instid1(VALU_DEP_3)
	v_cndmask_b32_e32 v181, v182, v181, vcc_lo
	v_and_b32_e32 v182, 0x80000000, v41
	v_lshl_add_u32 v183, v183, 23, 0x3b800000
	s_delay_alu instid0(VALU_DEP_3) | instskip(NEXT) | instid1(VALU_DEP_1)
	v_lshlrev_b32_e32 v181, 20, v181
	v_or3_b32 v182, v182, v183, v181
.LBB4_881:                              ;   in Loop: Header=BB4_393 Depth=4
	s_or_b32 exec_lo, exec_lo, s29
	s_delay_alu instid0(VALU_DEP_1) | instskip(NEXT) | instid1(VALU_DEP_1)
	v_add_f32_e32 v181, v180, v182
	v_and_b32_e32 v180, 0x7f800000, v181
	s_delay_alu instid0(VALU_DEP_1)
	v_cmp_ne_u32_e32 vcc_lo, 0x7f800000, v180
	v_mov_b32_e32 v180, 0x80
	s_and_saveexec_b32 s29, vcc_lo
	s_cbranch_execz .LBB4_889
; %bb.882:                              ;   in Loop: Header=BB4_393 Depth=4
	v_mov_b32_e32 v180, 0
	s_mov_b32 s31, exec_lo
	v_cmpx_ne_u32_e32 0, v181
	s_cbranch_execz .LBB4_888
; %bb.883:                              ;   in Loop: Header=BB4_393 Depth=4
	v_bfe_u32 v180, v181, 23, 8
	s_delay_alu instid0(VALU_DEP_1) | instskip(SKIP_1) | instid1(VALU_DEP_2)
	v_sub_nc_u32_e32 v183, 0x78, v180
	v_cmp_gt_u32_e32 vcc_lo, 0x79, v180
	v_dual_cndmask_b32 v183, 0, v183 :: v_dual_and_b32 v182, 0x7fffff, v181
	s_delay_alu instid0(VALU_DEP_1) | instskip(SKIP_2) | instid1(VALU_DEP_4)
	v_or_b32_e32 v40, 0x800000, v182
	v_cmp_eq_u32_e32 vcc_lo, 0, v180
	v_add_nc_u32_e32 v180, 0xffffff89, v180
	v_cndmask_b32_e64 v183, v183, 0x77, vcc_lo
	s_delay_alu instid0(VALU_DEP_2) | instskip(SKIP_1) | instid1(VALU_DEP_3)
	v_cndmask_b32_e64 v180, v180, 0xffffff8a, vcc_lo
	v_cndmask_b32_e32 v182, v40, v182, vcc_lo
	v_lshl_add_u32 v40, 0x100000, v183, -1
	v_lshlrev_b32_e64 v43, v183, 0x80000
	s_delay_alu instid0(VALU_DEP_3) | instskip(SKIP_1) | instid1(VALU_DEP_4)
	v_lshrrev_b32_e32 v41, v183, v182
	v_add_nc_u32_e32 v183, v183, v180
	v_and_b32_e32 v182, v40, v182
	s_delay_alu instid0(VALU_DEP_3) | instskip(NEXT) | instid1(VALU_DEP_2)
	v_bfe_u32 v42, v41, 20, 1
	v_cmp_eq_u32_e64 s13, v182, v43
	s_delay_alu instid0(VALU_DEP_2) | instskip(NEXT) | instid1(VALU_DEP_1)
	v_add_nc_u32_e32 v40, -1, v42
	v_cndmask_b32_e64 v182, 0, v40, s13
	v_lshrrev_b32_e32 v40, 23, v41
	s_mov_b32 s13, exec_lo
	s_delay_alu instid0(VALU_DEP_2) | instskip(NEXT) | instid1(VALU_DEP_2)
	v_add_nc_u32_e32 v182, v182, v41
	v_xor_b32_e32 v40, 1, v40
	s_delay_alu instid0(VALU_DEP_2) | instskip(NEXT) | instid1(VALU_DEP_1)
	v_and_b32_e32 v180, 0xfffff, v182
	v_add_nc_u32_e32 v182, v180, v41
                                        ; implicit-def: $vgpr180
	s_delay_alu instid0(VALU_DEP_3)
	v_cmpx_ne_u32_e64 v183, v40
	s_xor_b32 s13, exec_lo, s13
; %bb.884:                              ;   in Loop: Header=BB4_393 Depth=4
	s_delay_alu instid0(VALU_DEP_2) | instskip(SKIP_2) | instid1(VALU_DEP_2)
	v_cmp_lt_u32_e32 vcc_lo, 0xffffff, v182
	v_sub_nc_u32_e32 v180, v183, v40
	v_cndmask_b32_e64 v183, 0, 1, vcc_lo
	v_add_co_ci_u32_e32 v180, vcc_lo, 0, v180, vcc_lo
	s_delay_alu instid0(VALU_DEP_2)
	v_lshrrev_b32_e32 v182, v183, v182
; %bb.885:                              ;   in Loop: Header=BB4_393 Depth=4
	s_and_not1_saveexec_b32 s13, s13
; %bb.886:                              ;   in Loop: Header=BB4_393 Depth=4
	s_delay_alu instid0(VALU_DEP_1)
	v_bfe_u32 v180, v182, 23, 1
; %bb.887:                              ;   in Loop: Header=BB4_393 Depth=4
	s_or_b32 exec_lo, exec_lo, s13
	v_lshrrev_b32_e32 v182, 20, v182
	s_delay_alu instid0(VALU_DEP_2) | instskip(SKIP_2) | instid1(VALU_DEP_2)
	v_cmp_gt_i32_e32 vcc_lo, 16, v180
	v_min_i32_e32 v183, 15, v180
	v_lshrrev_b32_e32 v181, 24, v181
	v_dual_cndmask_b32 v182, 7, v182 :: v_dual_lshlrev_b32 v183, 3, v183
	s_delay_alu instid0(VALU_DEP_2) | instskip(NEXT) | instid1(VALU_DEP_2)
	v_and_b32_e32 v181, 0x80, v181
	v_or_b32_e32 v180, v180, v182
	v_and_b32_e32 v40, 7, v182
	s_delay_alu instid0(VALU_DEP_2) | instskip(SKIP_1) | instid1(VALU_DEP_1)
	v_cmp_ne_u32_e32 vcc_lo, 0, v180
	v_and_b32_e32 v183, 0xf8, v183
	v_or3_b32 v181, v183, v181, v40
	s_delay_alu instid0(VALU_DEP_1)
	v_cndmask_b32_e32 v180, 0, v181, vcc_lo
.LBB4_888:                              ;   in Loop: Header=BB4_393 Depth=4
	s_or_b32 exec_lo, exec_lo, s31
.LBB4_889:                              ;   in Loop: Header=BB4_393 Depth=4
	s_delay_alu instid0(SALU_CYCLE_1) | instskip(SKIP_3) | instid1(VALU_DEP_1)
	s_or_b32 exec_lo, exec_lo, s29
	v_lshrrev_b32_e32 v182, 24, v15
	s_mov_b32 s13, 0
	s_mov_b32 s31, exec_lo
                                        ; implicit-def: $sgpr29
	v_cmpx_lt_i16_e64 0x7f, v182
	s_xor_b32 s31, exec_lo, s31
	s_cbranch_execnz .LBB4_1151
; %bb.890:                              ;   in Loop: Header=BB4_393 Depth=4
	s_or_saveexec_b32 s31, s31
	v_mov_b32_e32 v181, s29
	s_xor_b32 exec_lo, exec_lo, s31
	s_cbranch_execnz .LBB4_1154
.LBB4_891:                              ;   in Loop: Header=BB4_393 Depth=4
	s_or_b32 exec_lo, exec_lo, s31
	s_and_saveexec_b32 s29, s13
	s_cbranch_execz .LBB4_893
.LBB4_892:                              ;   in Loop: Header=BB4_393 Depth=4
	v_bfe_u32 v181, v15, 24, 3
	s_delay_alu instid0(VALU_DEP_1) | instskip(NEXT) | instid1(VALU_DEP_1)
	v_clz_i32_u32_e32 v183, v181
	v_min_u32_e32 v183, 32, v183
	s_delay_alu instid0(VALU_DEP_1) | instskip(SKIP_1) | instid1(VALU_DEP_2)
	v_subrev_nc_u32_e32 v40, 28, v183
	v_sub_nc_u32_e32 v183, 29, v183
	v_lshlrev_b32_e32 v182, v40, v182
	v_bfe_u32 v40, v15, 27, 4
	v_and_b32_e32 v15, 0x80000000, v15
	s_delay_alu instid0(VALU_DEP_2) | instskip(NEXT) | instid1(VALU_DEP_4)
	v_cmp_eq_u32_e32 vcc_lo, 0, v40
	v_dual_cndmask_b32 v183, v40, v183 :: v_dual_and_b32 v182, 7, v182
	s_delay_alu instid0(VALU_DEP_1) | instskip(NEXT) | instid1(VALU_DEP_2)
	v_cndmask_b32_e32 v181, v181, v182, vcc_lo
	v_lshl_add_u32 v182, v183, 23, 0x3b800000
	s_delay_alu instid0(VALU_DEP_2) | instskip(NEXT) | instid1(VALU_DEP_1)
	v_lshlrev_b32_e32 v181, 20, v181
	v_or3_b32 v181, v15, v182, v181
.LBB4_893:                              ;   in Loop: Header=BB4_393 Depth=4
	s_or_b32 exec_lo, exec_lo, s29
	v_lshrrev_b32_e32 v15, 24, v11
	s_mov_b32 s13, 0
	s_mov_b32 s31, exec_lo
                                        ; implicit-def: $sgpr29
	s_delay_alu instid0(VALU_DEP_1)
	v_cmpx_lt_i16_e32 0x7f, v15
	s_xor_b32 s31, exec_lo, s31
	s_cbranch_execnz .LBB4_1155
; %bb.894:                              ;   in Loop: Header=BB4_393 Depth=4
	s_or_saveexec_b32 s31, s31
	v_mov_b32_e32 v182, s29
	s_xor_b32 exec_lo, exec_lo, s31
	s_cbranch_execnz .LBB4_1158
.LBB4_895:                              ;   in Loop: Header=BB4_393 Depth=4
	s_or_b32 exec_lo, exec_lo, s31
	s_and_saveexec_b32 s29, s13
	s_cbranch_execz .LBB4_897
.LBB4_896:                              ;   in Loop: Header=BB4_393 Depth=4
	v_bfe_u32 v182, v11, 24, 3
	s_delay_alu instid0(VALU_DEP_1) | instskip(NEXT) | instid1(VALU_DEP_1)
	v_clz_i32_u32_e32 v183, v182
	v_min_u32_e32 v183, 32, v183
	s_delay_alu instid0(VALU_DEP_1) | instskip(SKIP_1) | instid1(VALU_DEP_2)
	v_subrev_nc_u32_e32 v40, 28, v183
	v_sub_nc_u32_e32 v183, 29, v183
	v_lshlrev_b32_e32 v15, v40, v15
	v_bfe_u32 v40, v11, 27, 4
	v_and_b32_e32 v11, 0x80000000, v11
	s_delay_alu instid0(VALU_DEP_3) | instskip(NEXT) | instid1(VALU_DEP_3)
	v_and_b32_e32 v15, 7, v15
	v_cmp_eq_u32_e32 vcc_lo, 0, v40
	v_cndmask_b32_e32 v183, v40, v183, vcc_lo
	s_delay_alu instid0(VALU_DEP_3) | instskip(NEXT) | instid1(VALU_DEP_2)
	v_cndmask_b32_e32 v15, v182, v15, vcc_lo
	v_lshl_add_u32 v182, v183, 23, 0x3b800000
	s_delay_alu instid0(VALU_DEP_2) | instskip(NEXT) | instid1(VALU_DEP_1)
	v_lshlrev_b32_e32 v15, 20, v15
	v_or3_b32 v182, v11, v182, v15
.LBB4_897:                              ;   in Loop: Header=BB4_393 Depth=4
	s_or_b32 exec_lo, exec_lo, s29
	s_delay_alu instid0(VALU_DEP_1) | instskip(NEXT) | instid1(VALU_DEP_1)
	v_add_f32_e32 v11, v181, v182
	v_and_b32_e32 v15, 0x7f800000, v11
	s_delay_alu instid0(VALU_DEP_1)
	v_cmp_ne_u32_e32 vcc_lo, 0x7f800000, v15
	v_mov_b32_e32 v15, 0x8000
	s_and_saveexec_b32 s29, vcc_lo
	s_cbranch_execz .LBB4_392
; %bb.898:                              ;   in Loop: Header=BB4_393 Depth=4
	v_mov_b32_e32 v15, 0
	s_mov_b32 s31, exec_lo
	v_cmpx_ne_u32_e32 0, v11
	s_cbranch_execz .LBB4_391
; %bb.899:                              ;   in Loop: Header=BB4_393 Depth=4
	v_bfe_u32 v15, v11, 23, 8
	s_delay_alu instid0(VALU_DEP_1) | instskip(SKIP_1) | instid1(VALU_DEP_2)
	v_sub_nc_u32_e32 v182, 0x78, v15
	v_cmp_gt_u32_e32 vcc_lo, 0x79, v15
	v_dual_cndmask_b32 v182, 0, v182 :: v_dual_and_b32 v181, 0x7fffff, v11
	s_delay_alu instid0(VALU_DEP_1) | instskip(SKIP_2) | instid1(VALU_DEP_4)
	v_or_b32_e32 v183, 0x800000, v181
	v_cmp_eq_u32_e32 vcc_lo, 0, v15
	v_add_nc_u32_e32 v15, 0xffffff89, v15
	v_cndmask_b32_e64 v182, v182, 0x77, vcc_lo
	s_delay_alu instid0(VALU_DEP_2) | instskip(SKIP_1) | instid1(VALU_DEP_3)
	v_cndmask_b32_e64 v15, v15, 0xffffff8a, vcc_lo
	v_cndmask_b32_e32 v181, v183, v181, vcc_lo
	v_lshl_add_u32 v183, 0x100000, v182, -1
	v_lshlrev_b32_e64 v42, v182, 0x80000
	s_delay_alu instid0(VALU_DEP_3) | instskip(SKIP_1) | instid1(VALU_DEP_4)
	v_lshrrev_b32_e32 v40, v182, v181
	v_add_nc_u32_e32 v182, v182, v15
	v_and_b32_e32 v181, v183, v181
	s_delay_alu instid0(VALU_DEP_3) | instskip(NEXT) | instid1(VALU_DEP_2)
	v_bfe_u32 v41, v40, 20, 1
	v_cmp_eq_u32_e64 s13, v181, v42
	s_delay_alu instid0(VALU_DEP_2) | instskip(NEXT) | instid1(VALU_DEP_1)
	v_add_nc_u32_e32 v183, -1, v41
	v_cndmask_b32_e64 v181, 0, v183, s13
	v_lshrrev_b32_e32 v183, 23, v40
	s_mov_b32 s13, exec_lo
	s_delay_alu instid0(VALU_DEP_2) | instskip(NEXT) | instid1(VALU_DEP_2)
	v_add_nc_u32_e32 v181, v181, v40
	v_xor_b32_e32 v183, 1, v183
	s_delay_alu instid0(VALU_DEP_2) | instskip(NEXT) | instid1(VALU_DEP_1)
	v_and_b32_e32 v15, 0xfffff, v181
	v_add_nc_u32_e32 v181, v15, v40
                                        ; implicit-def: $vgpr15
	s_delay_alu instid0(VALU_DEP_3)
	v_cmpx_ne_u32_e64 v182, v183
	s_xor_b32 s13, exec_lo, s13
; %bb.900:                              ;   in Loop: Header=BB4_393 Depth=4
	s_delay_alu instid0(VALU_DEP_2) | instskip(SKIP_2) | instid1(VALU_DEP_2)
	v_cmp_lt_u32_e32 vcc_lo, 0xffffff, v181
	v_sub_nc_u32_e32 v15, v182, v183
	v_cndmask_b32_e64 v182, 0, 1, vcc_lo
	v_add_co_ci_u32_e32 v15, vcc_lo, 0, v15, vcc_lo
	s_delay_alu instid0(VALU_DEP_2)
	v_lshrrev_b32_e32 v181, v182, v181
; %bb.901:                              ;   in Loop: Header=BB4_393 Depth=4
	s_and_not1_saveexec_b32 s13, s13
	s_cbranch_execz .LBB4_390
; %bb.902:                              ;   in Loop: Header=BB4_393 Depth=4
	s_delay_alu instid0(VALU_DEP_1)
	v_bfe_u32 v15, v181, 23, 1
	s_branch .LBB4_390
.LBB4_903:                              ;   in Loop: Header=BB4_393 Depth=4
	s_mov_b32 s13, -1
	s_mov_b32 s34, exec_lo
                                        ; implicit-def: $sgpr29
	v_cmpx_eq_u16_e64 0x80, v149
; %bb.904:                              ;   in Loop: Header=BB4_393 Depth=4
	s_mov_b32 s29, 0x7f800001
	s_xor_b32 s13, exec_lo, -1
; %bb.905:                              ;   in Loop: Header=BB4_393 Depth=4
	s_or_b32 exec_lo, exec_lo, s34
	s_delay_alu instid0(SALU_CYCLE_1)
	s_and_b32 s13, s13, exec_lo
                                        ; implicit-def: $vgpr149
	s_or_saveexec_b32 s31, s31
	v_mov_b32_e32 v148, s29
	s_xor_b32 exec_lo, exec_lo, s31
	s_cbranch_execz .LBB4_395
.LBB4_906:                              ;   in Loop: Header=BB4_393 Depth=4
	v_cmp_ne_u16_e64 vcc_lo, 0, v149
	v_mov_b32_e32 v148, 0
	s_and_not1_b32 s13, s13, exec_lo
	s_delay_alu instid0(VALU_DEP_2) | instskip(NEXT) | instid1(SALU_CYCLE_1)
	s_and_b32 s29, vcc_lo, exec_lo
	s_or_b32 s13, s13, s29
	s_or_b32 exec_lo, exec_lo, s31
	s_and_saveexec_b32 s29, s13
	s_cbranch_execnz .LBB4_396
	s_branch .LBB4_397
.LBB4_907:                              ;   in Loop: Header=BB4_393 Depth=4
	s_mov_b32 s13, -1
	s_mov_b32 s34, exec_lo
                                        ; implicit-def: $sgpr29
	v_cmpx_eq_u16_e64 0x80, v150
; %bb.908:                              ;   in Loop: Header=BB4_393 Depth=4
	s_mov_b32 s29, 0x7f800001
	s_xor_b32 s13, exec_lo, -1
; %bb.909:                              ;   in Loop: Header=BB4_393 Depth=4
	s_or_b32 exec_lo, exec_lo, s34
	s_delay_alu instid0(SALU_CYCLE_1)
	s_and_b32 s13, s13, exec_lo
                                        ; implicit-def: $vgpr150
	s_or_saveexec_b32 s31, s31
	v_mov_b32_e32 v149, s29
	s_xor_b32 exec_lo, exec_lo, s31
	s_cbranch_execz .LBB4_399
.LBB4_910:                              ;   in Loop: Header=BB4_393 Depth=4
	v_cmp_ne_u16_e64 vcc_lo, 0, v150
	v_mov_b32_e32 v149, 0
	s_and_not1_b32 s13, s13, exec_lo
	s_delay_alu instid0(VALU_DEP_2) | instskip(NEXT) | instid1(SALU_CYCLE_1)
	s_and_b32 s29, vcc_lo, exec_lo
	s_or_b32 s13, s13, s29
	s_or_b32 exec_lo, exec_lo, s31
	s_and_saveexec_b32 s29, s13
	s_cbranch_execnz .LBB4_400
	s_branch .LBB4_401
.LBB4_911:                              ;   in Loop: Header=BB4_393 Depth=4
	s_mov_b32 s13, -1
	s_mov_b32 s34, exec_lo
                                        ; implicit-def: $sgpr29
	v_cmpx_eq_u16_e64 0x80, v150
; %bb.912:                              ;   in Loop: Header=BB4_393 Depth=4
	s_mov_b32 s29, 0x7f800001
	s_xor_b32 s13, exec_lo, -1
; %bb.913:                              ;   in Loop: Header=BB4_393 Depth=4
	s_or_b32 exec_lo, exec_lo, s34
	s_delay_alu instid0(SALU_CYCLE_1)
	s_and_b32 s13, s13, exec_lo
	s_or_saveexec_b32 s31, s31
	v_mov_b32_e32 v149, s29
	s_xor_b32 exec_lo, exec_lo, s31
	s_cbranch_execz .LBB4_411
.LBB4_914:                              ;   in Loop: Header=BB4_393 Depth=4
	v_cmp_ne_u16_e64 vcc_lo, 0, v150
	v_mov_b32_e32 v149, 0
	s_and_not1_b32 s13, s13, exec_lo
	s_delay_alu instid0(VALU_DEP_2) | instskip(NEXT) | instid1(SALU_CYCLE_1)
	s_and_b32 s29, vcc_lo, exec_lo
	s_or_b32 s13, s13, s29
	s_or_b32 exec_lo, exec_lo, s31
	s_and_saveexec_b32 s29, s13
	s_cbranch_execnz .LBB4_412
	s_branch .LBB4_413
.LBB4_915:                              ;   in Loop: Header=BB4_393 Depth=4
	s_mov_b32 s13, -1
	s_mov_b32 s34, exec_lo
                                        ; implicit-def: $sgpr29
	v_cmpx_eq_u16_e64 0x80, v150
; %bb.916:                              ;   in Loop: Header=BB4_393 Depth=4
	s_mov_b32 s29, 0x7f800001
	s_xor_b32 s13, exec_lo, -1
; %bb.917:                              ;   in Loop: Header=BB4_393 Depth=4
	s_or_b32 exec_lo, exec_lo, s34
	s_delay_alu instid0(SALU_CYCLE_1)
	s_and_b32 s13, s13, exec_lo
	s_or_saveexec_b32 s31, s31
	v_mov_b32_e32 v151, s29
	s_xor_b32 exec_lo, exec_lo, s31
	s_cbranch_execz .LBB4_415
.LBB4_918:                              ;   in Loop: Header=BB4_393 Depth=4
	v_cmp_ne_u16_e64 vcc_lo, 0, v150
	v_mov_b32_e32 v151, 0
	s_and_not1_b32 s13, s13, exec_lo
	s_delay_alu instid0(VALU_DEP_2) | instskip(NEXT) | instid1(SALU_CYCLE_1)
	s_and_b32 s29, vcc_lo, exec_lo
	s_or_b32 s13, s13, s29
	s_or_b32 exec_lo, exec_lo, s31
	s_and_saveexec_b32 s29, s13
	s_cbranch_execnz .LBB4_416
	s_branch .LBB4_417
.LBB4_919:                              ;   in Loop: Header=BB4_393 Depth=4
	s_mov_b32 s13, -1
	s_mov_b32 s34, exec_lo
                                        ; implicit-def: $sgpr29
	v_cmpx_eq_u16_e64 0x80, v160
; %bb.920:                              ;   in Loop: Header=BB4_393 Depth=4
	s_mov_b32 s29, 0x7f800001
	s_xor_b32 s13, exec_lo, -1
; %bb.921:                              ;   in Loop: Header=BB4_393 Depth=4
	s_or_b32 exec_lo, exec_lo, s34
	s_delay_alu instid0(SALU_CYCLE_1)
	s_and_b32 s13, s13, exec_lo
                                        ; implicit-def: $vgpr160
	s_or_saveexec_b32 s31, s31
	v_mov_b32_e32 v150, s29
	s_xor_b32 exec_lo, exec_lo, s31
	s_cbranch_execz .LBB4_427
.LBB4_922:                              ;   in Loop: Header=BB4_393 Depth=4
	v_cmp_ne_u16_e64 vcc_lo, 0, v160
	v_mov_b32_e32 v150, 0
	s_and_not1_b32 s13, s13, exec_lo
	s_delay_alu instid0(VALU_DEP_2) | instskip(NEXT) | instid1(SALU_CYCLE_1)
	s_and_b32 s29, vcc_lo, exec_lo
	s_or_b32 s13, s13, s29
	s_or_b32 exec_lo, exec_lo, s31
	s_and_saveexec_b32 s29, s13
	s_cbranch_execnz .LBB4_428
	s_branch .LBB4_429
.LBB4_923:                              ;   in Loop: Header=BB4_393 Depth=4
	s_mov_b32 s13, -1
	s_mov_b32 s34, exec_lo
                                        ; implicit-def: $sgpr29
	v_cmpx_eq_u16_e64 0x80, v161
; %bb.924:                              ;   in Loop: Header=BB4_393 Depth=4
	s_mov_b32 s29, 0x7f800001
	s_xor_b32 s13, exec_lo, -1
; %bb.925:                              ;   in Loop: Header=BB4_393 Depth=4
	s_or_b32 exec_lo, exec_lo, s34
	s_delay_alu instid0(SALU_CYCLE_1)
	s_and_b32 s13, s13, exec_lo
                                        ; implicit-def: $vgpr161
	s_or_saveexec_b32 s31, s31
	v_mov_b32_e32 v160, s29
	s_xor_b32 exec_lo, exec_lo, s31
	s_cbranch_execz .LBB4_431
.LBB4_926:                              ;   in Loop: Header=BB4_393 Depth=4
	v_cmp_ne_u16_e64 vcc_lo, 0, v161
	v_mov_b32_e32 v160, 0
	s_and_not1_b32 s13, s13, exec_lo
	s_delay_alu instid0(VALU_DEP_2) | instskip(NEXT) | instid1(SALU_CYCLE_1)
	s_and_b32 s29, vcc_lo, exec_lo
	s_or_b32 s13, s13, s29
	s_or_b32 exec_lo, exec_lo, s31
	s_and_saveexec_b32 s29, s13
	s_cbranch_execnz .LBB4_432
	s_branch .LBB4_433
.LBB4_927:                              ;   in Loop: Header=BB4_393 Depth=4
	s_mov_b32 s13, -1
	s_mov_b32 s34, exec_lo
                                        ; implicit-def: $sgpr29
	v_cmpx_eq_u16_e64 0x80, v160
; %bb.928:                              ;   in Loop: Header=BB4_393 Depth=4
	s_mov_b32 s29, 0x7f800001
	s_xor_b32 s13, exec_lo, -1
; %bb.929:                              ;   in Loop: Header=BB4_393 Depth=4
	s_or_b32 exec_lo, exec_lo, s34
	s_delay_alu instid0(SALU_CYCLE_1)
	s_and_b32 s13, s13, exec_lo
	s_or_saveexec_b32 s31, s31
	v_mov_b32_e32 v151, s29
	s_xor_b32 exec_lo, exec_lo, s31
	s_cbranch_execz .LBB4_443
.LBB4_930:                              ;   in Loop: Header=BB4_393 Depth=4
	v_cmp_ne_u16_e64 vcc_lo, 0, v160
	v_mov_b32_e32 v151, 0
	s_and_not1_b32 s13, s13, exec_lo
	s_delay_alu instid0(VALU_DEP_2) | instskip(NEXT) | instid1(SALU_CYCLE_1)
	s_and_b32 s29, vcc_lo, exec_lo
	s_or_b32 s13, s13, s29
	s_or_b32 exec_lo, exec_lo, s31
	s_and_saveexec_b32 s29, s13
	s_cbranch_execnz .LBB4_444
	s_branch .LBB4_445
.LBB4_931:                              ;   in Loop: Header=BB4_393 Depth=4
	s_mov_b32 s13, -1
	s_mov_b32 s34, exec_lo
                                        ; implicit-def: $sgpr29
	v_cmpx_eq_u16_e32 0x80, v20
; %bb.932:                              ;   in Loop: Header=BB4_393 Depth=4
	s_mov_b32 s29, 0x7f800001
	s_xor_b32 s13, exec_lo, -1
; %bb.933:                              ;   in Loop: Header=BB4_393 Depth=4
	s_or_b32 exec_lo, exec_lo, s34
	s_delay_alu instid0(SALU_CYCLE_1)
	s_and_b32 s13, s13, exec_lo
	s_or_saveexec_b32 s31, s31
	v_mov_b32_e32 v160, s29
	s_xor_b32 exec_lo, exec_lo, s31
	s_cbranch_execz .LBB4_447
.LBB4_934:                              ;   in Loop: Header=BB4_393 Depth=4
	v_cmp_ne_u16_e32 vcc_lo, 0, v20
	v_mov_b32_e32 v160, 0
	s_and_not1_b32 s13, s13, exec_lo
	s_and_b32 s29, vcc_lo, exec_lo
	s_delay_alu instid0(SALU_CYCLE_1)
	s_or_b32 s13, s13, s29
	s_or_b32 exec_lo, exec_lo, s31
	s_and_saveexec_b32 s29, s13
	s_cbranch_execnz .LBB4_448
	s_branch .LBB4_449
.LBB4_935:                              ;   in Loop: Header=BB4_393 Depth=4
	s_mov_b32 s13, -1
	s_mov_b32 s34, exec_lo
                                        ; implicit-def: $sgpr29
	v_cmpx_eq_u16_e64 0x80, v151
; %bb.936:                              ;   in Loop: Header=BB4_393 Depth=4
	s_mov_b32 s29, 0x7f800001
	s_xor_b32 s13, exec_lo, -1
; %bb.937:                              ;   in Loop: Header=BB4_393 Depth=4
	s_or_b32 exec_lo, exec_lo, s34
	s_delay_alu instid0(SALU_CYCLE_1)
	s_and_b32 s13, s13, exec_lo
                                        ; implicit-def: $vgpr151
	s_or_saveexec_b32 s31, s31
	v_mov_b32_e32 v20, s29
	s_xor_b32 exec_lo, exec_lo, s31
	s_cbranch_execz .LBB4_459
.LBB4_938:                              ;   in Loop: Header=BB4_393 Depth=4
	v_cmp_ne_u16_e64 vcc_lo, 0, v151
	v_mov_b32_e32 v20, 0
	s_and_not1_b32 s13, s13, exec_lo
	s_delay_alu instid0(VALU_DEP_2) | instskip(NEXT) | instid1(SALU_CYCLE_1)
	s_and_b32 s29, vcc_lo, exec_lo
	s_or_b32 s13, s13, s29
	s_or_b32 exec_lo, exec_lo, s31
	s_and_saveexec_b32 s29, s13
	s_cbranch_execnz .LBB4_460
	s_branch .LBB4_461
.LBB4_939:                              ;   in Loop: Header=BB4_393 Depth=4
	s_mov_b32 s13, -1
	s_mov_b32 s34, exec_lo
                                        ; implicit-def: $sgpr29
	v_cmpx_eq_u16_e64 0x80, v160
; %bb.940:                              ;   in Loop: Header=BB4_393 Depth=4
	s_mov_b32 s29, 0x7f800001
	s_xor_b32 s13, exec_lo, -1
; %bb.941:                              ;   in Loop: Header=BB4_393 Depth=4
	s_or_b32 exec_lo, exec_lo, s34
	s_delay_alu instid0(SALU_CYCLE_1)
	s_and_b32 s13, s13, exec_lo
                                        ; implicit-def: $vgpr160
	s_or_saveexec_b32 s31, s31
	v_mov_b32_e32 v151, s29
	s_xor_b32 exec_lo, exec_lo, s31
	s_cbranch_execz .LBB4_463
.LBB4_942:                              ;   in Loop: Header=BB4_393 Depth=4
	v_cmp_ne_u16_e64 vcc_lo, 0, v160
	v_mov_b32_e32 v151, 0
	s_and_not1_b32 s13, s13, exec_lo
	s_delay_alu instid0(VALU_DEP_2) | instskip(NEXT) | instid1(SALU_CYCLE_1)
	s_and_b32 s29, vcc_lo, exec_lo
	s_or_b32 s13, s13, s29
	s_or_b32 exec_lo, exec_lo, s31
	s_and_saveexec_b32 s29, s13
	s_cbranch_execnz .LBB4_464
	s_branch .LBB4_465
.LBB4_943:                              ;   in Loop: Header=BB4_393 Depth=4
	s_mov_b32 s13, -1
	s_mov_b32 s34, exec_lo
                                        ; implicit-def: $sgpr29
	v_cmpx_eq_u16_e64 0x80, v160
; %bb.944:                              ;   in Loop: Header=BB4_393 Depth=4
	s_mov_b32 s29, 0x7f800001
	s_xor_b32 s13, exec_lo, -1
; %bb.945:                              ;   in Loop: Header=BB4_393 Depth=4
	s_or_b32 exec_lo, exec_lo, s34
	s_delay_alu instid0(SALU_CYCLE_1)
	s_and_b32 s13, s13, exec_lo
	s_or_saveexec_b32 s31, s31
	v_mov_b32_e32 v151, s29
	s_xor_b32 exec_lo, exec_lo, s31
	s_cbranch_execz .LBB4_475
.LBB4_946:                              ;   in Loop: Header=BB4_393 Depth=4
	v_cmp_ne_u16_e64 vcc_lo, 0, v160
	v_mov_b32_e32 v151, 0
	s_and_not1_b32 s13, s13, exec_lo
	s_delay_alu instid0(VALU_DEP_2) | instskip(NEXT) | instid1(SALU_CYCLE_1)
	s_and_b32 s29, vcc_lo, exec_lo
	s_or_b32 s13, s13, s29
	s_or_b32 exec_lo, exec_lo, s31
	s_and_saveexec_b32 s29, s13
	s_cbranch_execnz .LBB4_476
	s_branch .LBB4_477
.LBB4_947:                              ;   in Loop: Header=BB4_393 Depth=4
	s_mov_b32 s13, -1
	s_mov_b32 s34, exec_lo
                                        ; implicit-def: $sgpr29
	v_cmpx_eq_u16_e64 0x80, v160
; %bb.948:                              ;   in Loop: Header=BB4_393 Depth=4
	s_mov_b32 s29, 0x7f800001
	s_xor_b32 s13, exec_lo, -1
; %bb.949:                              ;   in Loop: Header=BB4_393 Depth=4
	s_or_b32 exec_lo, exec_lo, s34
	s_delay_alu instid0(SALU_CYCLE_1)
	s_and_b32 s13, s13, exec_lo
	s_or_saveexec_b32 s31, s31
	v_mov_b32_e32 v161, s29
	s_xor_b32 exec_lo, exec_lo, s31
	s_cbranch_execz .LBB4_479
.LBB4_950:                              ;   in Loop: Header=BB4_393 Depth=4
	v_cmp_ne_u16_e64 vcc_lo, 0, v160
	v_mov_b32_e32 v161, 0
	s_and_not1_b32 s13, s13, exec_lo
	s_delay_alu instid0(VALU_DEP_2) | instskip(NEXT) | instid1(SALU_CYCLE_1)
	s_and_b32 s29, vcc_lo, exec_lo
	s_or_b32 s13, s13, s29
	s_or_b32 exec_lo, exec_lo, s31
	s_and_saveexec_b32 s29, s13
	s_cbranch_execnz .LBB4_480
	s_branch .LBB4_481
.LBB4_951:                              ;   in Loop: Header=BB4_393 Depth=4
	s_mov_b32 s13, -1
	s_mov_b32 s34, exec_lo
                                        ; implicit-def: $sgpr29
	v_cmpx_eq_u16_e64 0x80, v162
; %bb.952:                              ;   in Loop: Header=BB4_393 Depth=4
	s_mov_b32 s29, 0x7f800001
	s_xor_b32 s13, exec_lo, -1
; %bb.953:                              ;   in Loop: Header=BB4_393 Depth=4
	s_or_b32 exec_lo, exec_lo, s34
	s_delay_alu instid0(SALU_CYCLE_1)
	s_and_b32 s13, s13, exec_lo
                                        ; implicit-def: $vgpr162
	s_or_saveexec_b32 s31, s31
	v_mov_b32_e32 v160, s29
	s_xor_b32 exec_lo, exec_lo, s31
	s_cbranch_execz .LBB4_491
.LBB4_954:                              ;   in Loop: Header=BB4_393 Depth=4
	v_cmp_ne_u16_e64 vcc_lo, 0, v162
	v_mov_b32_e32 v160, 0
	s_and_not1_b32 s13, s13, exec_lo
	s_delay_alu instid0(VALU_DEP_2) | instskip(NEXT) | instid1(SALU_CYCLE_1)
	s_and_b32 s29, vcc_lo, exec_lo
	s_or_b32 s13, s13, s29
	s_or_b32 exec_lo, exec_lo, s31
	s_and_saveexec_b32 s29, s13
	s_cbranch_execnz .LBB4_492
	s_branch .LBB4_493
.LBB4_955:                              ;   in Loop: Header=BB4_393 Depth=4
	s_mov_b32 s13, -1
	s_mov_b32 s34, exec_lo
                                        ; implicit-def: $sgpr29
	v_cmpx_eq_u16_e64 0x80, v163
; %bb.956:                              ;   in Loop: Header=BB4_393 Depth=4
	s_mov_b32 s29, 0x7f800001
	s_xor_b32 s13, exec_lo, -1
; %bb.957:                              ;   in Loop: Header=BB4_393 Depth=4
	s_or_b32 exec_lo, exec_lo, s34
	s_delay_alu instid0(SALU_CYCLE_1)
	s_and_b32 s13, s13, exec_lo
                                        ; implicit-def: $vgpr163
	s_or_saveexec_b32 s31, s31
	v_mov_b32_e32 v162, s29
	s_xor_b32 exec_lo, exec_lo, s31
	s_cbranch_execz .LBB4_495
.LBB4_958:                              ;   in Loop: Header=BB4_393 Depth=4
	v_cmp_ne_u16_e64 vcc_lo, 0, v163
	v_mov_b32_e32 v162, 0
	s_and_not1_b32 s13, s13, exec_lo
	s_delay_alu instid0(VALU_DEP_2) | instskip(NEXT) | instid1(SALU_CYCLE_1)
	s_and_b32 s29, vcc_lo, exec_lo
	s_or_b32 s13, s13, s29
	s_or_b32 exec_lo, exec_lo, s31
	s_and_saveexec_b32 s29, s13
	s_cbranch_execnz .LBB4_496
	s_branch .LBB4_497
.LBB4_959:                              ;   in Loop: Header=BB4_393 Depth=4
	s_mov_b32 s13, -1
	s_mov_b32 s34, exec_lo
                                        ; implicit-def: $sgpr29
	v_cmpx_eq_u16_e64 0x80, v162
; %bb.960:                              ;   in Loop: Header=BB4_393 Depth=4
	s_mov_b32 s29, 0x7f800001
	s_xor_b32 s13, exec_lo, -1
; %bb.961:                              ;   in Loop: Header=BB4_393 Depth=4
	s_or_b32 exec_lo, exec_lo, s34
	s_delay_alu instid0(SALU_CYCLE_1)
	s_and_b32 s13, s13, exec_lo
	s_or_saveexec_b32 s31, s31
	v_mov_b32_e32 v161, s29
	s_xor_b32 exec_lo, exec_lo, s31
	s_cbranch_execz .LBB4_507
.LBB4_962:                              ;   in Loop: Header=BB4_393 Depth=4
	v_cmp_ne_u16_e64 vcc_lo, 0, v162
	v_mov_b32_e32 v161, 0
	s_and_not1_b32 s13, s13, exec_lo
	s_delay_alu instid0(VALU_DEP_2) | instskip(NEXT) | instid1(SALU_CYCLE_1)
	s_and_b32 s29, vcc_lo, exec_lo
	s_or_b32 s13, s13, s29
	s_or_b32 exec_lo, exec_lo, s31
	s_and_saveexec_b32 s29, s13
	s_cbranch_execnz .LBB4_508
	s_branch .LBB4_509
.LBB4_963:                              ;   in Loop: Header=BB4_393 Depth=4
	s_mov_b32 s13, -1
	s_mov_b32 s34, exec_lo
                                        ; implicit-def: $sgpr29
	v_cmpx_eq_u16_e32 0x80, v21
; %bb.964:                              ;   in Loop: Header=BB4_393 Depth=4
	s_mov_b32 s29, 0x7f800001
	s_xor_b32 s13, exec_lo, -1
; %bb.965:                              ;   in Loop: Header=BB4_393 Depth=4
	s_or_b32 exec_lo, exec_lo, s34
	s_delay_alu instid0(SALU_CYCLE_1)
	s_and_b32 s13, s13, exec_lo
	s_or_saveexec_b32 s31, s31
	v_mov_b32_e32 v162, s29
	s_xor_b32 exec_lo, exec_lo, s31
	s_cbranch_execz .LBB4_511
.LBB4_966:                              ;   in Loop: Header=BB4_393 Depth=4
	v_cmp_ne_u16_e32 vcc_lo, 0, v21
	v_mov_b32_e32 v162, 0
	s_and_not1_b32 s13, s13, exec_lo
	s_and_b32 s29, vcc_lo, exec_lo
	s_delay_alu instid0(SALU_CYCLE_1)
	s_or_b32 s13, s13, s29
	s_or_b32 exec_lo, exec_lo, s31
	s_and_saveexec_b32 s29, s13
	s_cbranch_execnz .LBB4_512
	s_branch .LBB4_513
.LBB4_967:                              ;   in Loop: Header=BB4_393 Depth=4
	s_mov_b32 s13, -1
	s_mov_b32 s34, exec_lo
                                        ; implicit-def: $sgpr29
	v_cmpx_eq_u16_e64 0x80, v161
; %bb.968:                              ;   in Loop: Header=BB4_393 Depth=4
	s_mov_b32 s29, 0x7f800001
	s_xor_b32 s13, exec_lo, -1
; %bb.969:                              ;   in Loop: Header=BB4_393 Depth=4
	s_or_b32 exec_lo, exec_lo, s34
	s_delay_alu instid0(SALU_CYCLE_1)
	s_and_b32 s13, s13, exec_lo
                                        ; implicit-def: $vgpr161
	s_or_saveexec_b32 s31, s31
	v_mov_b32_e32 v21, s29
	s_xor_b32 exec_lo, exec_lo, s31
	s_cbranch_execz .LBB4_523
.LBB4_970:                              ;   in Loop: Header=BB4_393 Depth=4
	v_cmp_ne_u16_e64 vcc_lo, 0, v161
	v_mov_b32_e32 v21, 0
	s_and_not1_b32 s13, s13, exec_lo
	s_delay_alu instid0(VALU_DEP_2) | instskip(NEXT) | instid1(SALU_CYCLE_1)
	s_and_b32 s29, vcc_lo, exec_lo
	s_or_b32 s13, s13, s29
	s_or_b32 exec_lo, exec_lo, s31
	s_and_saveexec_b32 s29, s13
	s_cbranch_execnz .LBB4_524
	s_branch .LBB4_525
.LBB4_971:                              ;   in Loop: Header=BB4_393 Depth=4
	s_mov_b32 s13, -1
	s_mov_b32 s34, exec_lo
                                        ; implicit-def: $sgpr29
	v_cmpx_eq_u16_e64 0x80, v162
; %bb.972:                              ;   in Loop: Header=BB4_393 Depth=4
	s_mov_b32 s29, 0x7f800001
	s_xor_b32 s13, exec_lo, -1
; %bb.973:                              ;   in Loop: Header=BB4_393 Depth=4
	s_or_b32 exec_lo, exec_lo, s34
	s_delay_alu instid0(SALU_CYCLE_1)
	s_and_b32 s13, s13, exec_lo
                                        ; implicit-def: $vgpr162
	s_or_saveexec_b32 s31, s31
	v_mov_b32_e32 v161, s29
	s_xor_b32 exec_lo, exec_lo, s31
	s_cbranch_execz .LBB4_527
.LBB4_974:                              ;   in Loop: Header=BB4_393 Depth=4
	v_cmp_ne_u16_e64 vcc_lo, 0, v162
	v_mov_b32_e32 v161, 0
	s_and_not1_b32 s13, s13, exec_lo
	s_delay_alu instid0(VALU_DEP_2) | instskip(NEXT) | instid1(SALU_CYCLE_1)
	s_and_b32 s29, vcc_lo, exec_lo
	s_or_b32 s13, s13, s29
	s_or_b32 exec_lo, exec_lo, s31
	s_and_saveexec_b32 s29, s13
	s_cbranch_execnz .LBB4_528
	s_branch .LBB4_529
.LBB4_975:                              ;   in Loop: Header=BB4_393 Depth=4
	s_mov_b32 s13, -1
	s_mov_b32 s34, exec_lo
                                        ; implicit-def: $sgpr29
	v_cmpx_eq_u16_e64 0x80, v162
; %bb.976:                              ;   in Loop: Header=BB4_393 Depth=4
	s_mov_b32 s29, 0x7f800001
	s_xor_b32 s13, exec_lo, -1
; %bb.977:                              ;   in Loop: Header=BB4_393 Depth=4
	s_or_b32 exec_lo, exec_lo, s34
	s_delay_alu instid0(SALU_CYCLE_1)
	s_and_b32 s13, s13, exec_lo
	s_or_saveexec_b32 s31, s31
	v_mov_b32_e32 v161, s29
	s_xor_b32 exec_lo, exec_lo, s31
	s_cbranch_execz .LBB4_539
.LBB4_978:                              ;   in Loop: Header=BB4_393 Depth=4
	v_cmp_ne_u16_e64 vcc_lo, 0, v162
	v_mov_b32_e32 v161, 0
	s_and_not1_b32 s13, s13, exec_lo
	s_delay_alu instid0(VALU_DEP_2) | instskip(NEXT) | instid1(SALU_CYCLE_1)
	s_and_b32 s29, vcc_lo, exec_lo
	s_or_b32 s13, s13, s29
	s_or_b32 exec_lo, exec_lo, s31
	s_and_saveexec_b32 s29, s13
	s_cbranch_execnz .LBB4_540
	s_branch .LBB4_541
.LBB4_979:                              ;   in Loop: Header=BB4_393 Depth=4
	s_mov_b32 s13, -1
	s_mov_b32 s34, exec_lo
                                        ; implicit-def: $sgpr29
	v_cmpx_eq_u16_e64 0x80, v162
; %bb.980:                              ;   in Loop: Header=BB4_393 Depth=4
	s_mov_b32 s29, 0x7f800001
	s_xor_b32 s13, exec_lo, -1
; %bb.981:                              ;   in Loop: Header=BB4_393 Depth=4
	s_or_b32 exec_lo, exec_lo, s34
	s_delay_alu instid0(SALU_CYCLE_1)
	s_and_b32 s13, s13, exec_lo
	s_or_saveexec_b32 s31, s31
	v_mov_b32_e32 v163, s29
	s_xor_b32 exec_lo, exec_lo, s31
	s_cbranch_execz .LBB4_543
.LBB4_982:                              ;   in Loop: Header=BB4_393 Depth=4
	v_cmp_ne_u16_e64 vcc_lo, 0, v162
	v_mov_b32_e32 v163, 0
	s_and_not1_b32 s13, s13, exec_lo
	s_delay_alu instid0(VALU_DEP_2) | instskip(NEXT) | instid1(SALU_CYCLE_1)
	s_and_b32 s29, vcc_lo, exec_lo
	s_or_b32 s13, s13, s29
	s_or_b32 exec_lo, exec_lo, s31
	s_and_saveexec_b32 s29, s13
	s_cbranch_execnz .LBB4_544
	s_branch .LBB4_545
.LBB4_983:                              ;   in Loop: Header=BB4_393 Depth=4
	s_mov_b32 s13, -1
	s_mov_b32 s34, exec_lo
                                        ; implicit-def: $sgpr29
	v_cmpx_eq_u16_e64 0x80, v164
; %bb.984:                              ;   in Loop: Header=BB4_393 Depth=4
	s_mov_b32 s29, 0x7f800001
	s_xor_b32 s13, exec_lo, -1
; %bb.985:                              ;   in Loop: Header=BB4_393 Depth=4
	s_or_b32 exec_lo, exec_lo, s34
	s_delay_alu instid0(SALU_CYCLE_1)
	s_and_b32 s13, s13, exec_lo
                                        ; implicit-def: $vgpr164
	s_or_saveexec_b32 s31, s31
	v_mov_b32_e32 v162, s29
	s_xor_b32 exec_lo, exec_lo, s31
	s_cbranch_execz .LBB4_555
.LBB4_986:                              ;   in Loop: Header=BB4_393 Depth=4
	v_cmp_ne_u16_e64 vcc_lo, 0, v164
	v_mov_b32_e32 v162, 0
	s_and_not1_b32 s13, s13, exec_lo
	s_delay_alu instid0(VALU_DEP_2) | instskip(NEXT) | instid1(SALU_CYCLE_1)
	s_and_b32 s29, vcc_lo, exec_lo
	s_or_b32 s13, s13, s29
	s_or_b32 exec_lo, exec_lo, s31
	s_and_saveexec_b32 s29, s13
	s_cbranch_execnz .LBB4_556
	s_branch .LBB4_557
.LBB4_987:                              ;   in Loop: Header=BB4_393 Depth=4
	s_mov_b32 s13, -1
	s_mov_b32 s34, exec_lo
                                        ; implicit-def: $sgpr29
	v_cmpx_eq_u16_e64 0x80, v165
; %bb.988:                              ;   in Loop: Header=BB4_393 Depth=4
	s_mov_b32 s29, 0x7f800001
	s_xor_b32 s13, exec_lo, -1
; %bb.989:                              ;   in Loop: Header=BB4_393 Depth=4
	s_or_b32 exec_lo, exec_lo, s34
	s_delay_alu instid0(SALU_CYCLE_1)
	s_and_b32 s13, s13, exec_lo
                                        ; implicit-def: $vgpr165
	s_or_saveexec_b32 s31, s31
	v_mov_b32_e32 v164, s29
	s_xor_b32 exec_lo, exec_lo, s31
	s_cbranch_execz .LBB4_559
.LBB4_990:                              ;   in Loop: Header=BB4_393 Depth=4
	v_cmp_ne_u16_e64 vcc_lo, 0, v165
	v_mov_b32_e32 v164, 0
	s_and_not1_b32 s13, s13, exec_lo
	s_delay_alu instid0(VALU_DEP_2) | instskip(NEXT) | instid1(SALU_CYCLE_1)
	s_and_b32 s29, vcc_lo, exec_lo
	s_or_b32 s13, s13, s29
	s_or_b32 exec_lo, exec_lo, s31
	s_and_saveexec_b32 s29, s13
	s_cbranch_execnz .LBB4_560
	s_branch .LBB4_561
.LBB4_991:                              ;   in Loop: Header=BB4_393 Depth=4
	s_mov_b32 s13, -1
	s_mov_b32 s34, exec_lo
                                        ; implicit-def: $sgpr29
	v_cmpx_eq_u16_e64 0x80, v164
; %bb.992:                              ;   in Loop: Header=BB4_393 Depth=4
	s_mov_b32 s29, 0x7f800001
	s_xor_b32 s13, exec_lo, -1
; %bb.993:                              ;   in Loop: Header=BB4_393 Depth=4
	s_or_b32 exec_lo, exec_lo, s34
	s_delay_alu instid0(SALU_CYCLE_1)
	s_and_b32 s13, s13, exec_lo
	s_or_saveexec_b32 s31, s31
	v_mov_b32_e32 v163, s29
	s_xor_b32 exec_lo, exec_lo, s31
	s_cbranch_execz .LBB4_571
.LBB4_994:                              ;   in Loop: Header=BB4_393 Depth=4
	v_cmp_ne_u16_e64 vcc_lo, 0, v164
	v_mov_b32_e32 v163, 0
	s_and_not1_b32 s13, s13, exec_lo
	s_delay_alu instid0(VALU_DEP_2) | instskip(NEXT) | instid1(SALU_CYCLE_1)
	s_and_b32 s29, vcc_lo, exec_lo
	s_or_b32 s13, s13, s29
	s_or_b32 exec_lo, exec_lo, s31
	s_and_saveexec_b32 s29, s13
	s_cbranch_execnz .LBB4_572
	s_branch .LBB4_573
.LBB4_995:                              ;   in Loop: Header=BB4_393 Depth=4
	s_mov_b32 s13, -1
	s_mov_b32 s34, exec_lo
                                        ; implicit-def: $sgpr29
	v_cmpx_eq_u16_e32 0x80, v22
; %bb.996:                              ;   in Loop: Header=BB4_393 Depth=4
	s_mov_b32 s29, 0x7f800001
	s_xor_b32 s13, exec_lo, -1
; %bb.997:                              ;   in Loop: Header=BB4_393 Depth=4
	s_or_b32 exec_lo, exec_lo, s34
	s_delay_alu instid0(SALU_CYCLE_1)
	s_and_b32 s13, s13, exec_lo
	s_or_saveexec_b32 s31, s31
	v_mov_b32_e32 v164, s29
	s_xor_b32 exec_lo, exec_lo, s31
	s_cbranch_execz .LBB4_575
.LBB4_998:                              ;   in Loop: Header=BB4_393 Depth=4
	v_cmp_ne_u16_e32 vcc_lo, 0, v22
	v_mov_b32_e32 v164, 0
	s_and_not1_b32 s13, s13, exec_lo
	s_and_b32 s29, vcc_lo, exec_lo
	s_delay_alu instid0(SALU_CYCLE_1)
	s_or_b32 s13, s13, s29
	s_or_b32 exec_lo, exec_lo, s31
	s_and_saveexec_b32 s29, s13
	s_cbranch_execnz .LBB4_576
	s_branch .LBB4_577
.LBB4_999:                              ;   in Loop: Header=BB4_393 Depth=4
	s_mov_b32 s13, -1
	s_mov_b32 s34, exec_lo
                                        ; implicit-def: $sgpr29
	v_cmpx_eq_u16_e64 0x80, v163
; %bb.1000:                             ;   in Loop: Header=BB4_393 Depth=4
	s_mov_b32 s29, 0x7f800001
	s_xor_b32 s13, exec_lo, -1
; %bb.1001:                             ;   in Loop: Header=BB4_393 Depth=4
	s_or_b32 exec_lo, exec_lo, s34
	s_delay_alu instid0(SALU_CYCLE_1)
	s_and_b32 s13, s13, exec_lo
                                        ; implicit-def: $vgpr163
	s_or_saveexec_b32 s31, s31
	v_mov_b32_e32 v22, s29
	s_xor_b32 exec_lo, exec_lo, s31
	s_cbranch_execz .LBB4_587
.LBB4_1002:                             ;   in Loop: Header=BB4_393 Depth=4
	v_cmp_ne_u16_e64 vcc_lo, 0, v163
	v_mov_b32_e32 v22, 0
	s_and_not1_b32 s13, s13, exec_lo
	s_delay_alu instid0(VALU_DEP_2) | instskip(NEXT) | instid1(SALU_CYCLE_1)
	s_and_b32 s29, vcc_lo, exec_lo
	s_or_b32 s13, s13, s29
	s_or_b32 exec_lo, exec_lo, s31
	s_and_saveexec_b32 s29, s13
	s_cbranch_execnz .LBB4_588
	s_branch .LBB4_589
.LBB4_1003:                             ;   in Loop: Header=BB4_393 Depth=4
	s_mov_b32 s13, -1
	s_mov_b32 s34, exec_lo
                                        ; implicit-def: $sgpr29
	v_cmpx_eq_u16_e64 0x80, v164
; %bb.1004:                             ;   in Loop: Header=BB4_393 Depth=4
	s_mov_b32 s29, 0x7f800001
	s_xor_b32 s13, exec_lo, -1
; %bb.1005:                             ;   in Loop: Header=BB4_393 Depth=4
	s_or_b32 exec_lo, exec_lo, s34
	s_delay_alu instid0(SALU_CYCLE_1)
	s_and_b32 s13, s13, exec_lo
                                        ; implicit-def: $vgpr164
	s_or_saveexec_b32 s31, s31
	v_mov_b32_e32 v163, s29
	s_xor_b32 exec_lo, exec_lo, s31
	s_cbranch_execz .LBB4_591
.LBB4_1006:                             ;   in Loop: Header=BB4_393 Depth=4
	v_cmp_ne_u16_e64 vcc_lo, 0, v164
	v_mov_b32_e32 v163, 0
	s_and_not1_b32 s13, s13, exec_lo
	s_delay_alu instid0(VALU_DEP_2) | instskip(NEXT) | instid1(SALU_CYCLE_1)
	s_and_b32 s29, vcc_lo, exec_lo
	s_or_b32 s13, s13, s29
	s_or_b32 exec_lo, exec_lo, s31
	s_and_saveexec_b32 s29, s13
	s_cbranch_execnz .LBB4_592
	s_branch .LBB4_593
.LBB4_1007:                             ;   in Loop: Header=BB4_393 Depth=4
	s_mov_b32 s13, -1
	s_mov_b32 s34, exec_lo
                                        ; implicit-def: $sgpr29
	v_cmpx_eq_u16_e64 0x80, v164
; %bb.1008:                             ;   in Loop: Header=BB4_393 Depth=4
	s_mov_b32 s29, 0x7f800001
	s_xor_b32 s13, exec_lo, -1
; %bb.1009:                             ;   in Loop: Header=BB4_393 Depth=4
	s_or_b32 exec_lo, exec_lo, s34
	s_delay_alu instid0(SALU_CYCLE_1)
	s_and_b32 s13, s13, exec_lo
	s_or_saveexec_b32 s31, s31
	v_mov_b32_e32 v163, s29
	s_xor_b32 exec_lo, exec_lo, s31
	s_cbranch_execz .LBB4_603
.LBB4_1010:                             ;   in Loop: Header=BB4_393 Depth=4
	v_cmp_ne_u16_e64 vcc_lo, 0, v164
	v_mov_b32_e32 v163, 0
	s_and_not1_b32 s13, s13, exec_lo
	s_delay_alu instid0(VALU_DEP_2) | instskip(NEXT) | instid1(SALU_CYCLE_1)
	s_and_b32 s29, vcc_lo, exec_lo
	s_or_b32 s13, s13, s29
	s_or_b32 exec_lo, exec_lo, s31
	s_and_saveexec_b32 s29, s13
	s_cbranch_execnz .LBB4_604
	s_branch .LBB4_605
.LBB4_1011:                             ;   in Loop: Header=BB4_393 Depth=4
	s_mov_b32 s13, -1
	s_mov_b32 s34, exec_lo
                                        ; implicit-def: $sgpr29
	v_cmpx_eq_u16_e64 0x80, v164
; %bb.1012:                             ;   in Loop: Header=BB4_393 Depth=4
	s_mov_b32 s29, 0x7f800001
	s_xor_b32 s13, exec_lo, -1
; %bb.1013:                             ;   in Loop: Header=BB4_393 Depth=4
	s_or_b32 exec_lo, exec_lo, s34
	s_delay_alu instid0(SALU_CYCLE_1)
	s_and_b32 s13, s13, exec_lo
	s_or_saveexec_b32 s31, s31
	v_mov_b32_e32 v165, s29
	s_xor_b32 exec_lo, exec_lo, s31
	s_cbranch_execz .LBB4_607
.LBB4_1014:                             ;   in Loop: Header=BB4_393 Depth=4
	v_cmp_ne_u16_e64 vcc_lo, 0, v164
	v_mov_b32_e32 v165, 0
	s_and_not1_b32 s13, s13, exec_lo
	s_delay_alu instid0(VALU_DEP_2) | instskip(NEXT) | instid1(SALU_CYCLE_1)
	s_and_b32 s29, vcc_lo, exec_lo
	s_or_b32 s13, s13, s29
	s_or_b32 exec_lo, exec_lo, s31
	s_and_saveexec_b32 s29, s13
	s_cbranch_execnz .LBB4_608
	s_branch .LBB4_609
.LBB4_1015:                             ;   in Loop: Header=BB4_393 Depth=4
	s_mov_b32 s13, -1
	s_mov_b32 s34, exec_lo
                                        ; implicit-def: $sgpr29
	v_cmpx_eq_u16_e64 0x80, v166
; %bb.1016:                             ;   in Loop: Header=BB4_393 Depth=4
	s_mov_b32 s29, 0x7f800001
	s_xor_b32 s13, exec_lo, -1
; %bb.1017:                             ;   in Loop: Header=BB4_393 Depth=4
	s_or_b32 exec_lo, exec_lo, s34
	s_delay_alu instid0(SALU_CYCLE_1)
	s_and_b32 s13, s13, exec_lo
                                        ; implicit-def: $vgpr166
	s_or_saveexec_b32 s31, s31
	v_mov_b32_e32 v164, s29
	s_xor_b32 exec_lo, exec_lo, s31
	s_cbranch_execz .LBB4_619
.LBB4_1018:                             ;   in Loop: Header=BB4_393 Depth=4
	v_cmp_ne_u16_e64 vcc_lo, 0, v166
	v_mov_b32_e32 v164, 0
	s_and_not1_b32 s13, s13, exec_lo
	s_delay_alu instid0(VALU_DEP_2) | instskip(NEXT) | instid1(SALU_CYCLE_1)
	s_and_b32 s29, vcc_lo, exec_lo
	s_or_b32 s13, s13, s29
	s_or_b32 exec_lo, exec_lo, s31
	s_and_saveexec_b32 s29, s13
	s_cbranch_execnz .LBB4_620
	s_branch .LBB4_621
.LBB4_1019:                             ;   in Loop: Header=BB4_393 Depth=4
	s_mov_b32 s13, -1
	s_mov_b32 s34, exec_lo
                                        ; implicit-def: $sgpr29
	v_cmpx_eq_u16_e64 0x80, v167
; %bb.1020:                             ;   in Loop: Header=BB4_393 Depth=4
	s_mov_b32 s29, 0x7f800001
	s_xor_b32 s13, exec_lo, -1
; %bb.1021:                             ;   in Loop: Header=BB4_393 Depth=4
	s_or_b32 exec_lo, exec_lo, s34
	s_delay_alu instid0(SALU_CYCLE_1)
	s_and_b32 s13, s13, exec_lo
                                        ; implicit-def: $vgpr167
	s_or_saveexec_b32 s31, s31
	v_mov_b32_e32 v166, s29
	s_xor_b32 exec_lo, exec_lo, s31
	s_cbranch_execz .LBB4_623
.LBB4_1022:                             ;   in Loop: Header=BB4_393 Depth=4
	v_cmp_ne_u16_e64 vcc_lo, 0, v167
	v_mov_b32_e32 v166, 0
	s_and_not1_b32 s13, s13, exec_lo
	s_delay_alu instid0(VALU_DEP_2) | instskip(NEXT) | instid1(SALU_CYCLE_1)
	s_and_b32 s29, vcc_lo, exec_lo
	s_or_b32 s13, s13, s29
	s_or_b32 exec_lo, exec_lo, s31
	s_and_saveexec_b32 s29, s13
	s_cbranch_execnz .LBB4_624
	s_branch .LBB4_625
.LBB4_1023:                             ;   in Loop: Header=BB4_393 Depth=4
	s_mov_b32 s13, -1
	s_mov_b32 s34, exec_lo
                                        ; implicit-def: $sgpr29
	v_cmpx_eq_u16_e64 0x80, v166
; %bb.1024:                             ;   in Loop: Header=BB4_393 Depth=4
	s_mov_b32 s29, 0x7f800001
	s_xor_b32 s13, exec_lo, -1
; %bb.1025:                             ;   in Loop: Header=BB4_393 Depth=4
	s_or_b32 exec_lo, exec_lo, s34
	s_delay_alu instid0(SALU_CYCLE_1)
	s_and_b32 s13, s13, exec_lo
	s_or_saveexec_b32 s31, s31
	v_mov_b32_e32 v165, s29
	s_xor_b32 exec_lo, exec_lo, s31
	s_cbranch_execz .LBB4_635
.LBB4_1026:                             ;   in Loop: Header=BB4_393 Depth=4
	v_cmp_ne_u16_e64 vcc_lo, 0, v166
	v_mov_b32_e32 v165, 0
	s_and_not1_b32 s13, s13, exec_lo
	s_delay_alu instid0(VALU_DEP_2) | instskip(NEXT) | instid1(SALU_CYCLE_1)
	s_and_b32 s29, vcc_lo, exec_lo
	s_or_b32 s13, s13, s29
	s_or_b32 exec_lo, exec_lo, s31
	s_and_saveexec_b32 s29, s13
	s_cbranch_execnz .LBB4_636
	s_branch .LBB4_637
.LBB4_1027:                             ;   in Loop: Header=BB4_393 Depth=4
	s_mov_b32 s13, -1
	s_mov_b32 s34, exec_lo
                                        ; implicit-def: $sgpr29
	v_cmpx_eq_u16_e32 0x80, v23
; %bb.1028:                             ;   in Loop: Header=BB4_393 Depth=4
	s_mov_b32 s29, 0x7f800001
	s_xor_b32 s13, exec_lo, -1
; %bb.1029:                             ;   in Loop: Header=BB4_393 Depth=4
	s_or_b32 exec_lo, exec_lo, s34
	s_delay_alu instid0(SALU_CYCLE_1)
	s_and_b32 s13, s13, exec_lo
	s_or_saveexec_b32 s31, s31
	v_mov_b32_e32 v166, s29
	s_xor_b32 exec_lo, exec_lo, s31
	s_cbranch_execz .LBB4_639
.LBB4_1030:                             ;   in Loop: Header=BB4_393 Depth=4
	v_cmp_ne_u16_e32 vcc_lo, 0, v23
	v_mov_b32_e32 v166, 0
	s_and_not1_b32 s13, s13, exec_lo
	s_and_b32 s29, vcc_lo, exec_lo
	s_delay_alu instid0(SALU_CYCLE_1)
	s_or_b32 s13, s13, s29
	s_or_b32 exec_lo, exec_lo, s31
	s_and_saveexec_b32 s29, s13
	s_cbranch_execnz .LBB4_640
	s_branch .LBB4_641
.LBB4_1031:                             ;   in Loop: Header=BB4_393 Depth=4
	s_mov_b32 s13, -1
	s_mov_b32 s34, exec_lo
                                        ; implicit-def: $sgpr29
	v_cmpx_eq_u16_e64 0x80, v165
; %bb.1032:                             ;   in Loop: Header=BB4_393 Depth=4
	s_mov_b32 s29, 0x7f800001
	s_xor_b32 s13, exec_lo, -1
; %bb.1033:                             ;   in Loop: Header=BB4_393 Depth=4
	s_or_b32 exec_lo, exec_lo, s34
	s_delay_alu instid0(SALU_CYCLE_1)
	s_and_b32 s13, s13, exec_lo
                                        ; implicit-def: $vgpr165
	s_or_saveexec_b32 s31, s31
	v_mov_b32_e32 v23, s29
	s_xor_b32 exec_lo, exec_lo, s31
	s_cbranch_execz .LBB4_651
.LBB4_1034:                             ;   in Loop: Header=BB4_393 Depth=4
	v_cmp_ne_u16_e64 vcc_lo, 0, v165
	v_mov_b32_e32 v23, 0
	s_and_not1_b32 s13, s13, exec_lo
	s_delay_alu instid0(VALU_DEP_2) | instskip(NEXT) | instid1(SALU_CYCLE_1)
	s_and_b32 s29, vcc_lo, exec_lo
	s_or_b32 s13, s13, s29
	s_or_b32 exec_lo, exec_lo, s31
	s_and_saveexec_b32 s29, s13
	s_cbranch_execnz .LBB4_652
	s_branch .LBB4_653
.LBB4_1035:                             ;   in Loop: Header=BB4_393 Depth=4
	s_mov_b32 s13, -1
	s_mov_b32 s34, exec_lo
                                        ; implicit-def: $sgpr29
	v_cmpx_eq_u16_e64 0x80, v166
; %bb.1036:                             ;   in Loop: Header=BB4_393 Depth=4
	s_mov_b32 s29, 0x7f800001
	s_xor_b32 s13, exec_lo, -1
; %bb.1037:                             ;   in Loop: Header=BB4_393 Depth=4
	s_or_b32 exec_lo, exec_lo, s34
	s_delay_alu instid0(SALU_CYCLE_1)
	s_and_b32 s13, s13, exec_lo
                                        ; implicit-def: $vgpr166
	s_or_saveexec_b32 s31, s31
	v_mov_b32_e32 v165, s29
	s_xor_b32 exec_lo, exec_lo, s31
	s_cbranch_execz .LBB4_655
.LBB4_1038:                             ;   in Loop: Header=BB4_393 Depth=4
	v_cmp_ne_u16_e64 vcc_lo, 0, v166
	v_mov_b32_e32 v165, 0
	s_and_not1_b32 s13, s13, exec_lo
	s_delay_alu instid0(VALU_DEP_2) | instskip(NEXT) | instid1(SALU_CYCLE_1)
	s_and_b32 s29, vcc_lo, exec_lo
	s_or_b32 s13, s13, s29
	s_or_b32 exec_lo, exec_lo, s31
	s_and_saveexec_b32 s29, s13
	s_cbranch_execnz .LBB4_656
	s_branch .LBB4_657
.LBB4_1039:                             ;   in Loop: Header=BB4_393 Depth=4
	s_mov_b32 s13, -1
	s_mov_b32 s34, exec_lo
                                        ; implicit-def: $sgpr29
	v_cmpx_eq_u16_e64 0x80, v166
; %bb.1040:                             ;   in Loop: Header=BB4_393 Depth=4
	s_mov_b32 s29, 0x7f800001
	s_xor_b32 s13, exec_lo, -1
; %bb.1041:                             ;   in Loop: Header=BB4_393 Depth=4
	s_or_b32 exec_lo, exec_lo, s34
	s_delay_alu instid0(SALU_CYCLE_1)
	s_and_b32 s13, s13, exec_lo
	s_or_saveexec_b32 s31, s31
	v_mov_b32_e32 v165, s29
	s_xor_b32 exec_lo, exec_lo, s31
	s_cbranch_execz .LBB4_667
.LBB4_1042:                             ;   in Loop: Header=BB4_393 Depth=4
	v_cmp_ne_u16_e64 vcc_lo, 0, v166
	v_mov_b32_e32 v165, 0
	s_and_not1_b32 s13, s13, exec_lo
	s_delay_alu instid0(VALU_DEP_2) | instskip(NEXT) | instid1(SALU_CYCLE_1)
	s_and_b32 s29, vcc_lo, exec_lo
	s_or_b32 s13, s13, s29
	s_or_b32 exec_lo, exec_lo, s31
	s_and_saveexec_b32 s29, s13
	s_cbranch_execnz .LBB4_668
	s_branch .LBB4_669
.LBB4_1043:                             ;   in Loop: Header=BB4_393 Depth=4
	s_mov_b32 s13, -1
	s_mov_b32 s34, exec_lo
                                        ; implicit-def: $sgpr29
	v_cmpx_eq_u16_e64 0x80, v166
; %bb.1044:                             ;   in Loop: Header=BB4_393 Depth=4
	s_mov_b32 s29, 0x7f800001
	s_xor_b32 s13, exec_lo, -1
; %bb.1045:                             ;   in Loop: Header=BB4_393 Depth=4
	s_or_b32 exec_lo, exec_lo, s34
	s_delay_alu instid0(SALU_CYCLE_1)
	s_and_b32 s13, s13, exec_lo
	s_or_saveexec_b32 s31, s31
	v_mov_b32_e32 v167, s29
	s_xor_b32 exec_lo, exec_lo, s31
	s_cbranch_execz .LBB4_671
.LBB4_1046:                             ;   in Loop: Header=BB4_393 Depth=4
	v_cmp_ne_u16_e64 vcc_lo, 0, v166
	v_mov_b32_e32 v167, 0
	s_and_not1_b32 s13, s13, exec_lo
	s_delay_alu instid0(VALU_DEP_2) | instskip(NEXT) | instid1(SALU_CYCLE_1)
	s_and_b32 s29, vcc_lo, exec_lo
	s_or_b32 s13, s13, s29
	s_or_b32 exec_lo, exec_lo, s31
	s_and_saveexec_b32 s29, s13
	s_cbranch_execnz .LBB4_672
	s_branch .LBB4_673
.LBB4_1047:                             ;   in Loop: Header=BB4_393 Depth=4
	s_mov_b32 s13, -1
	s_mov_b32 s34, exec_lo
                                        ; implicit-def: $sgpr29
	v_cmpx_eq_u16_e64 0x80, v176
; %bb.1048:                             ;   in Loop: Header=BB4_393 Depth=4
	s_mov_b32 s29, 0x7f800001
	s_xor_b32 s13, exec_lo, -1
; %bb.1049:                             ;   in Loop: Header=BB4_393 Depth=4
	s_or_b32 exec_lo, exec_lo, s34
	s_delay_alu instid0(SALU_CYCLE_1)
	s_and_b32 s13, s13, exec_lo
                                        ; implicit-def: $vgpr176
	s_or_saveexec_b32 s31, s31
	v_mov_b32_e32 v166, s29
	s_xor_b32 exec_lo, exec_lo, s31
	s_cbranch_execz .LBB4_683
.LBB4_1050:                             ;   in Loop: Header=BB4_393 Depth=4
	v_cmp_ne_u16_e64 vcc_lo, 0, v176
	v_mov_b32_e32 v166, 0
	s_and_not1_b32 s13, s13, exec_lo
	s_delay_alu instid0(VALU_DEP_2) | instskip(NEXT) | instid1(SALU_CYCLE_1)
	s_and_b32 s29, vcc_lo, exec_lo
	s_or_b32 s13, s13, s29
	s_or_b32 exec_lo, exec_lo, s31
	s_and_saveexec_b32 s29, s13
	s_cbranch_execnz .LBB4_684
	s_branch .LBB4_685
.LBB4_1051:                             ;   in Loop: Header=BB4_393 Depth=4
	s_mov_b32 s13, -1
	s_mov_b32 s34, exec_lo
                                        ; implicit-def: $sgpr29
	v_cmpx_eq_u16_e64 0x80, v177
; %bb.1052:                             ;   in Loop: Header=BB4_393 Depth=4
	s_mov_b32 s29, 0x7f800001
	s_xor_b32 s13, exec_lo, -1
; %bb.1053:                             ;   in Loop: Header=BB4_393 Depth=4
	s_or_b32 exec_lo, exec_lo, s34
	s_delay_alu instid0(SALU_CYCLE_1)
	s_and_b32 s13, s13, exec_lo
                                        ; implicit-def: $vgpr177
	s_or_saveexec_b32 s31, s31
	v_mov_b32_e32 v176, s29
	s_xor_b32 exec_lo, exec_lo, s31
	s_cbranch_execz .LBB4_687
.LBB4_1054:                             ;   in Loop: Header=BB4_393 Depth=4
	v_cmp_ne_u16_e64 vcc_lo, 0, v177
	v_mov_b32_e32 v176, 0
	s_and_not1_b32 s13, s13, exec_lo
	s_delay_alu instid0(VALU_DEP_2) | instskip(NEXT) | instid1(SALU_CYCLE_1)
	s_and_b32 s29, vcc_lo, exec_lo
	s_or_b32 s13, s13, s29
	s_or_b32 exec_lo, exec_lo, s31
	s_and_saveexec_b32 s29, s13
	s_cbranch_execnz .LBB4_688
	s_branch .LBB4_689
.LBB4_1055:                             ;   in Loop: Header=BB4_393 Depth=4
	s_mov_b32 s13, -1
	s_mov_b32 s34, exec_lo
                                        ; implicit-def: $sgpr29
	v_cmpx_eq_u16_e64 0x80, v176
; %bb.1056:                             ;   in Loop: Header=BB4_393 Depth=4
	s_mov_b32 s29, 0x7f800001
	s_xor_b32 s13, exec_lo, -1
; %bb.1057:                             ;   in Loop: Header=BB4_393 Depth=4
	s_or_b32 exec_lo, exec_lo, s34
	s_delay_alu instid0(SALU_CYCLE_1)
	s_and_b32 s13, s13, exec_lo
	s_or_saveexec_b32 s31, s31
	v_mov_b32_e32 v167, s29
	s_xor_b32 exec_lo, exec_lo, s31
	s_cbranch_execz .LBB4_699
.LBB4_1058:                             ;   in Loop: Header=BB4_393 Depth=4
	v_cmp_ne_u16_e64 vcc_lo, 0, v176
	v_mov_b32_e32 v167, 0
	s_and_not1_b32 s13, s13, exec_lo
	s_delay_alu instid0(VALU_DEP_2) | instskip(NEXT) | instid1(SALU_CYCLE_1)
	s_and_b32 s29, vcc_lo, exec_lo
	s_or_b32 s13, s13, s29
	s_or_b32 exec_lo, exec_lo, s31
	s_and_saveexec_b32 s29, s13
	s_cbranch_execnz .LBB4_700
	s_branch .LBB4_701
.LBB4_1059:                             ;   in Loop: Header=BB4_393 Depth=4
	s_mov_b32 s13, -1
	s_mov_b32 s34, exec_lo
                                        ; implicit-def: $sgpr29
	v_cmpx_eq_u16_e32 0x80, v12
; %bb.1060:                             ;   in Loop: Header=BB4_393 Depth=4
	s_mov_b32 s29, 0x7f800001
	s_xor_b32 s13, exec_lo, -1
; %bb.1061:                             ;   in Loop: Header=BB4_393 Depth=4
	s_or_b32 exec_lo, exec_lo, s34
	s_delay_alu instid0(SALU_CYCLE_1)
	s_and_b32 s13, s13, exec_lo
	s_or_saveexec_b32 s31, s31
	v_mov_b32_e32 v176, s29
	s_xor_b32 exec_lo, exec_lo, s31
	s_cbranch_execz .LBB4_703
.LBB4_1062:                             ;   in Loop: Header=BB4_393 Depth=4
	v_cmp_ne_u16_e32 vcc_lo, 0, v12
	v_mov_b32_e32 v176, 0
	s_and_not1_b32 s13, s13, exec_lo
	s_and_b32 s29, vcc_lo, exec_lo
	s_delay_alu instid0(SALU_CYCLE_1)
	s_or_b32 s13, s13, s29
	s_or_b32 exec_lo, exec_lo, s31
	s_and_saveexec_b32 s29, s13
	s_cbranch_execnz .LBB4_704
	s_branch .LBB4_705
.LBB4_1063:                             ;   in Loop: Header=BB4_393 Depth=4
	s_mov_b32 s13, -1
	s_mov_b32 s34, exec_lo
                                        ; implicit-def: $sgpr29
	v_cmpx_eq_u16_e64 0x80, v167
; %bb.1064:                             ;   in Loop: Header=BB4_393 Depth=4
	s_mov_b32 s29, 0x7f800001
	s_xor_b32 s13, exec_lo, -1
; %bb.1065:                             ;   in Loop: Header=BB4_393 Depth=4
	s_or_b32 exec_lo, exec_lo, s34
	s_delay_alu instid0(SALU_CYCLE_1)
	s_and_b32 s13, s13, exec_lo
                                        ; implicit-def: $vgpr167
	s_or_saveexec_b32 s31, s31
	v_mov_b32_e32 v12, s29
	s_xor_b32 exec_lo, exec_lo, s31
	s_cbranch_execz .LBB4_715
.LBB4_1066:                             ;   in Loop: Header=BB4_393 Depth=4
	v_cmp_ne_u16_e64 vcc_lo, 0, v167
	v_mov_b32_e32 v12, 0
	s_and_not1_b32 s13, s13, exec_lo
	s_delay_alu instid0(VALU_DEP_2) | instskip(NEXT) | instid1(SALU_CYCLE_1)
	s_and_b32 s29, vcc_lo, exec_lo
	s_or_b32 s13, s13, s29
	s_or_b32 exec_lo, exec_lo, s31
	s_and_saveexec_b32 s29, s13
	s_cbranch_execnz .LBB4_716
	s_branch .LBB4_717
.LBB4_1067:                             ;   in Loop: Header=BB4_393 Depth=4
	s_mov_b32 s13, -1
	s_mov_b32 s34, exec_lo
                                        ; implicit-def: $sgpr29
	v_cmpx_eq_u16_e64 0x80, v176
; %bb.1068:                             ;   in Loop: Header=BB4_393 Depth=4
	s_mov_b32 s29, 0x7f800001
	s_xor_b32 s13, exec_lo, -1
; %bb.1069:                             ;   in Loop: Header=BB4_393 Depth=4
	s_or_b32 exec_lo, exec_lo, s34
	s_delay_alu instid0(SALU_CYCLE_1)
	s_and_b32 s13, s13, exec_lo
                                        ; implicit-def: $vgpr176
	s_or_saveexec_b32 s31, s31
	v_mov_b32_e32 v167, s29
	s_xor_b32 exec_lo, exec_lo, s31
	s_cbranch_execz .LBB4_719
.LBB4_1070:                             ;   in Loop: Header=BB4_393 Depth=4
	v_cmp_ne_u16_e64 vcc_lo, 0, v176
	v_mov_b32_e32 v167, 0
	s_and_not1_b32 s13, s13, exec_lo
	s_delay_alu instid0(VALU_DEP_2) | instskip(NEXT) | instid1(SALU_CYCLE_1)
	s_and_b32 s29, vcc_lo, exec_lo
	s_or_b32 s13, s13, s29
	s_or_b32 exec_lo, exec_lo, s31
	s_and_saveexec_b32 s29, s13
	s_cbranch_execnz .LBB4_720
	s_branch .LBB4_721
.LBB4_1071:                             ;   in Loop: Header=BB4_393 Depth=4
	s_mov_b32 s13, -1
	s_mov_b32 s34, exec_lo
                                        ; implicit-def: $sgpr29
	v_cmpx_eq_u16_e64 0x80, v176
; %bb.1072:                             ;   in Loop: Header=BB4_393 Depth=4
	s_mov_b32 s29, 0x7f800001
	s_xor_b32 s13, exec_lo, -1
; %bb.1073:                             ;   in Loop: Header=BB4_393 Depth=4
	s_or_b32 exec_lo, exec_lo, s34
	s_delay_alu instid0(SALU_CYCLE_1)
	s_and_b32 s13, s13, exec_lo
	s_or_saveexec_b32 s31, s31
	v_mov_b32_e32 v167, s29
	s_xor_b32 exec_lo, exec_lo, s31
	s_cbranch_execz .LBB4_731
.LBB4_1074:                             ;   in Loop: Header=BB4_393 Depth=4
	v_cmp_ne_u16_e64 vcc_lo, 0, v176
	v_mov_b32_e32 v167, 0
	s_and_not1_b32 s13, s13, exec_lo
	s_delay_alu instid0(VALU_DEP_2) | instskip(NEXT) | instid1(SALU_CYCLE_1)
	s_and_b32 s29, vcc_lo, exec_lo
	s_or_b32 s13, s13, s29
	s_or_b32 exec_lo, exec_lo, s31
	s_and_saveexec_b32 s29, s13
	s_cbranch_execnz .LBB4_732
	s_branch .LBB4_733
.LBB4_1075:                             ;   in Loop: Header=BB4_393 Depth=4
	s_mov_b32 s13, -1
	s_mov_b32 s34, exec_lo
                                        ; implicit-def: $sgpr29
	v_cmpx_eq_u16_e64 0x80, v176
; %bb.1076:                             ;   in Loop: Header=BB4_393 Depth=4
	s_mov_b32 s29, 0x7f800001
	s_xor_b32 s13, exec_lo, -1
; %bb.1077:                             ;   in Loop: Header=BB4_393 Depth=4
	s_or_b32 exec_lo, exec_lo, s34
	s_delay_alu instid0(SALU_CYCLE_1)
	s_and_b32 s13, s13, exec_lo
	s_or_saveexec_b32 s31, s31
	v_mov_b32_e32 v177, s29
	s_xor_b32 exec_lo, exec_lo, s31
	s_cbranch_execz .LBB4_735
.LBB4_1078:                             ;   in Loop: Header=BB4_393 Depth=4
	v_cmp_ne_u16_e64 vcc_lo, 0, v176
	v_mov_b32_e32 v177, 0
	s_and_not1_b32 s13, s13, exec_lo
	s_delay_alu instid0(VALU_DEP_2) | instskip(NEXT) | instid1(SALU_CYCLE_1)
	s_and_b32 s29, vcc_lo, exec_lo
	s_or_b32 s13, s13, s29
	s_or_b32 exec_lo, exec_lo, s31
	s_and_saveexec_b32 s29, s13
	s_cbranch_execnz .LBB4_736
	s_branch .LBB4_737
.LBB4_1079:                             ;   in Loop: Header=BB4_393 Depth=4
	s_mov_b32 s13, -1
	s_mov_b32 s34, exec_lo
                                        ; implicit-def: $sgpr29
	v_cmpx_eq_u16_e64 0x80, v178
; %bb.1080:                             ;   in Loop: Header=BB4_393 Depth=4
	s_mov_b32 s29, 0x7f800001
	s_xor_b32 s13, exec_lo, -1
; %bb.1081:                             ;   in Loop: Header=BB4_393 Depth=4
	s_or_b32 exec_lo, exec_lo, s34
	s_delay_alu instid0(SALU_CYCLE_1)
	s_and_b32 s13, s13, exec_lo
                                        ; implicit-def: $vgpr178
	s_or_saveexec_b32 s31, s31
	v_mov_b32_e32 v176, s29
	s_xor_b32 exec_lo, exec_lo, s31
	s_cbranch_execz .LBB4_747
.LBB4_1082:                             ;   in Loop: Header=BB4_393 Depth=4
	v_cmp_ne_u16_e64 vcc_lo, 0, v178
	v_mov_b32_e32 v176, 0
	s_and_not1_b32 s13, s13, exec_lo
	s_delay_alu instid0(VALU_DEP_2) | instskip(NEXT) | instid1(SALU_CYCLE_1)
	s_and_b32 s29, vcc_lo, exec_lo
	s_or_b32 s13, s13, s29
	s_or_b32 exec_lo, exec_lo, s31
	s_and_saveexec_b32 s29, s13
	s_cbranch_execnz .LBB4_748
	s_branch .LBB4_749
.LBB4_1083:                             ;   in Loop: Header=BB4_393 Depth=4
	s_mov_b32 s13, -1
	s_mov_b32 s34, exec_lo
                                        ; implicit-def: $sgpr29
	v_cmpx_eq_u16_e64 0x80, v179
; %bb.1084:                             ;   in Loop: Header=BB4_393 Depth=4
	s_mov_b32 s29, 0x7f800001
	s_xor_b32 s13, exec_lo, -1
; %bb.1085:                             ;   in Loop: Header=BB4_393 Depth=4
	s_or_b32 exec_lo, exec_lo, s34
	s_delay_alu instid0(SALU_CYCLE_1)
	s_and_b32 s13, s13, exec_lo
                                        ; implicit-def: $vgpr179
	s_or_saveexec_b32 s31, s31
	v_mov_b32_e32 v178, s29
	s_xor_b32 exec_lo, exec_lo, s31
	s_cbranch_execz .LBB4_751
.LBB4_1086:                             ;   in Loop: Header=BB4_393 Depth=4
	v_cmp_ne_u16_e64 vcc_lo, 0, v179
	v_mov_b32_e32 v178, 0
	s_and_not1_b32 s13, s13, exec_lo
	s_delay_alu instid0(VALU_DEP_2) | instskip(NEXT) | instid1(SALU_CYCLE_1)
	s_and_b32 s29, vcc_lo, exec_lo
	s_or_b32 s13, s13, s29
	s_or_b32 exec_lo, exec_lo, s31
	s_and_saveexec_b32 s29, s13
	s_cbranch_execnz .LBB4_752
	s_branch .LBB4_753
.LBB4_1087:                             ;   in Loop: Header=BB4_393 Depth=4
	s_mov_b32 s13, -1
	s_mov_b32 s34, exec_lo
                                        ; implicit-def: $sgpr29
	v_cmpx_eq_u16_e64 0x80, v178
; %bb.1088:                             ;   in Loop: Header=BB4_393 Depth=4
	s_mov_b32 s29, 0x7f800001
	s_xor_b32 s13, exec_lo, -1
; %bb.1089:                             ;   in Loop: Header=BB4_393 Depth=4
	s_or_b32 exec_lo, exec_lo, s34
	s_delay_alu instid0(SALU_CYCLE_1)
	s_and_b32 s13, s13, exec_lo
	s_or_saveexec_b32 s31, s31
	v_mov_b32_e32 v177, s29
	s_xor_b32 exec_lo, exec_lo, s31
	s_cbranch_execz .LBB4_763
.LBB4_1090:                             ;   in Loop: Header=BB4_393 Depth=4
	v_cmp_ne_u16_e64 vcc_lo, 0, v178
	v_mov_b32_e32 v177, 0
	s_and_not1_b32 s13, s13, exec_lo
	s_delay_alu instid0(VALU_DEP_2) | instskip(NEXT) | instid1(SALU_CYCLE_1)
	s_and_b32 s29, vcc_lo, exec_lo
	s_or_b32 s13, s13, s29
	s_or_b32 exec_lo, exec_lo, s31
	s_and_saveexec_b32 s29, s13
	s_cbranch_execnz .LBB4_764
	s_branch .LBB4_765
.LBB4_1091:                             ;   in Loop: Header=BB4_393 Depth=4
	s_mov_b32 s13, -1
	s_mov_b32 s34, exec_lo
                                        ; implicit-def: $sgpr29
	v_cmpx_eq_u16_e32 0x80, v13
; %bb.1092:                             ;   in Loop: Header=BB4_393 Depth=4
	s_mov_b32 s29, 0x7f800001
	s_xor_b32 s13, exec_lo, -1
; %bb.1093:                             ;   in Loop: Header=BB4_393 Depth=4
	s_or_b32 exec_lo, exec_lo, s34
	s_delay_alu instid0(SALU_CYCLE_1)
	s_and_b32 s13, s13, exec_lo
	s_or_saveexec_b32 s31, s31
	v_mov_b32_e32 v178, s29
	s_xor_b32 exec_lo, exec_lo, s31
	s_cbranch_execz .LBB4_767
.LBB4_1094:                             ;   in Loop: Header=BB4_393 Depth=4
	v_cmp_ne_u16_e32 vcc_lo, 0, v13
	v_mov_b32_e32 v178, 0
	s_and_not1_b32 s13, s13, exec_lo
	s_and_b32 s29, vcc_lo, exec_lo
	s_delay_alu instid0(SALU_CYCLE_1)
	s_or_b32 s13, s13, s29
	s_or_b32 exec_lo, exec_lo, s31
	s_and_saveexec_b32 s29, s13
	s_cbranch_execnz .LBB4_768
	s_branch .LBB4_769
.LBB4_1095:                             ;   in Loop: Header=BB4_393 Depth=4
	s_mov_b32 s13, -1
	s_mov_b32 s34, exec_lo
                                        ; implicit-def: $sgpr29
	v_cmpx_eq_u16_e64 0x80, v177
; %bb.1096:                             ;   in Loop: Header=BB4_393 Depth=4
	s_mov_b32 s29, 0x7f800001
	s_xor_b32 s13, exec_lo, -1
; %bb.1097:                             ;   in Loop: Header=BB4_393 Depth=4
	s_or_b32 exec_lo, exec_lo, s34
	s_delay_alu instid0(SALU_CYCLE_1)
	s_and_b32 s13, s13, exec_lo
                                        ; implicit-def: $vgpr177
	s_or_saveexec_b32 s31, s31
	v_mov_b32_e32 v13, s29
	s_xor_b32 exec_lo, exec_lo, s31
	s_cbranch_execz .LBB4_779
.LBB4_1098:                             ;   in Loop: Header=BB4_393 Depth=4
	v_cmp_ne_u16_e64 vcc_lo, 0, v177
	v_mov_b32_e32 v13, 0
	s_and_not1_b32 s13, s13, exec_lo
	s_delay_alu instid0(VALU_DEP_2) | instskip(NEXT) | instid1(SALU_CYCLE_1)
	s_and_b32 s29, vcc_lo, exec_lo
	s_or_b32 s13, s13, s29
	s_or_b32 exec_lo, exec_lo, s31
	s_and_saveexec_b32 s29, s13
	s_cbranch_execnz .LBB4_780
	s_branch .LBB4_781
.LBB4_1099:                             ;   in Loop: Header=BB4_393 Depth=4
	s_mov_b32 s13, -1
	s_mov_b32 s34, exec_lo
                                        ; implicit-def: $sgpr29
	v_cmpx_eq_u16_e64 0x80, v178
; %bb.1100:                             ;   in Loop: Header=BB4_393 Depth=4
	s_mov_b32 s29, 0x7f800001
	s_xor_b32 s13, exec_lo, -1
; %bb.1101:                             ;   in Loop: Header=BB4_393 Depth=4
	s_or_b32 exec_lo, exec_lo, s34
	s_delay_alu instid0(SALU_CYCLE_1)
	s_and_b32 s13, s13, exec_lo
                                        ; implicit-def: $vgpr178
	s_or_saveexec_b32 s31, s31
	v_mov_b32_e32 v177, s29
	s_xor_b32 exec_lo, exec_lo, s31
	s_cbranch_execz .LBB4_783
.LBB4_1102:                             ;   in Loop: Header=BB4_393 Depth=4
	v_cmp_ne_u16_e64 vcc_lo, 0, v178
	v_mov_b32_e32 v177, 0
	s_and_not1_b32 s13, s13, exec_lo
	s_delay_alu instid0(VALU_DEP_2) | instskip(NEXT) | instid1(SALU_CYCLE_1)
	s_and_b32 s29, vcc_lo, exec_lo
	s_or_b32 s13, s13, s29
	s_or_b32 exec_lo, exec_lo, s31
	s_and_saveexec_b32 s29, s13
	s_cbranch_execnz .LBB4_784
	s_branch .LBB4_785
.LBB4_1103:                             ;   in Loop: Header=BB4_393 Depth=4
	s_mov_b32 s13, -1
	s_mov_b32 s34, exec_lo
                                        ; implicit-def: $sgpr29
	v_cmpx_eq_u16_e64 0x80, v178
; %bb.1104:                             ;   in Loop: Header=BB4_393 Depth=4
	s_mov_b32 s29, 0x7f800001
	s_xor_b32 s13, exec_lo, -1
; %bb.1105:                             ;   in Loop: Header=BB4_393 Depth=4
	s_or_b32 exec_lo, exec_lo, s34
	s_delay_alu instid0(SALU_CYCLE_1)
	s_and_b32 s13, s13, exec_lo
	s_or_saveexec_b32 s31, s31
	v_mov_b32_e32 v177, s29
	s_xor_b32 exec_lo, exec_lo, s31
	s_cbranch_execz .LBB4_795
.LBB4_1106:                             ;   in Loop: Header=BB4_393 Depth=4
	v_cmp_ne_u16_e64 vcc_lo, 0, v178
	v_mov_b32_e32 v177, 0
	s_and_not1_b32 s13, s13, exec_lo
	s_delay_alu instid0(VALU_DEP_2) | instskip(NEXT) | instid1(SALU_CYCLE_1)
	s_and_b32 s29, vcc_lo, exec_lo
	s_or_b32 s13, s13, s29
	s_or_b32 exec_lo, exec_lo, s31
	s_and_saveexec_b32 s29, s13
	s_cbranch_execnz .LBB4_796
	s_branch .LBB4_797
.LBB4_1107:                             ;   in Loop: Header=BB4_393 Depth=4
	s_mov_b32 s13, -1
	s_mov_b32 s34, exec_lo
                                        ; implicit-def: $sgpr29
	v_cmpx_eq_u16_e64 0x80, v178
; %bb.1108:                             ;   in Loop: Header=BB4_393 Depth=4
	s_mov_b32 s29, 0x7f800001
	s_xor_b32 s13, exec_lo, -1
; %bb.1109:                             ;   in Loop: Header=BB4_393 Depth=4
	s_or_b32 exec_lo, exec_lo, s34
	s_delay_alu instid0(SALU_CYCLE_1)
	s_and_b32 s13, s13, exec_lo
	s_or_saveexec_b32 s31, s31
	v_mov_b32_e32 v179, s29
	s_xor_b32 exec_lo, exec_lo, s31
	s_cbranch_execz .LBB4_799
.LBB4_1110:                             ;   in Loop: Header=BB4_393 Depth=4
	v_cmp_ne_u16_e64 vcc_lo, 0, v178
	v_mov_b32_e32 v179, 0
	s_and_not1_b32 s13, s13, exec_lo
	s_delay_alu instid0(VALU_DEP_2) | instskip(NEXT) | instid1(SALU_CYCLE_1)
	s_and_b32 s29, vcc_lo, exec_lo
	s_or_b32 s13, s13, s29
	s_or_b32 exec_lo, exec_lo, s31
	s_and_saveexec_b32 s29, s13
	s_cbranch_execnz .LBB4_800
	s_branch .LBB4_801
.LBB4_1111:                             ;   in Loop: Header=BB4_393 Depth=4
	s_mov_b32 s13, -1
	s_mov_b32 s34, exec_lo
                                        ; implicit-def: $sgpr29
	v_cmpx_eq_u16_e64 0x80, v180
; %bb.1112:                             ;   in Loop: Header=BB4_393 Depth=4
	s_mov_b32 s29, 0x7f800001
	s_xor_b32 s13, exec_lo, -1
; %bb.1113:                             ;   in Loop: Header=BB4_393 Depth=4
	s_or_b32 exec_lo, exec_lo, s34
	s_delay_alu instid0(SALU_CYCLE_1)
	s_and_b32 s13, s13, exec_lo
                                        ; implicit-def: $vgpr180
	s_or_saveexec_b32 s31, s31
	v_mov_b32_e32 v178, s29
	s_xor_b32 exec_lo, exec_lo, s31
	s_cbranch_execz .LBB4_811
.LBB4_1114:                             ;   in Loop: Header=BB4_393 Depth=4
	v_cmp_ne_u16_e64 vcc_lo, 0, v180
	v_mov_b32_e32 v178, 0
	s_and_not1_b32 s13, s13, exec_lo
	s_delay_alu instid0(VALU_DEP_2) | instskip(NEXT) | instid1(SALU_CYCLE_1)
	s_and_b32 s29, vcc_lo, exec_lo
	s_or_b32 s13, s13, s29
	s_or_b32 exec_lo, exec_lo, s31
	s_and_saveexec_b32 s29, s13
	s_cbranch_execnz .LBB4_812
	s_branch .LBB4_813
.LBB4_1115:                             ;   in Loop: Header=BB4_393 Depth=4
	s_mov_b32 s13, -1
	s_mov_b32 s34, exec_lo
                                        ; implicit-def: $sgpr29
	v_cmpx_eq_u16_e64 0x80, v181
; %bb.1116:                             ;   in Loop: Header=BB4_393 Depth=4
	s_mov_b32 s29, 0x7f800001
	s_xor_b32 s13, exec_lo, -1
; %bb.1117:                             ;   in Loop: Header=BB4_393 Depth=4
	s_or_b32 exec_lo, exec_lo, s34
	s_delay_alu instid0(SALU_CYCLE_1)
	s_and_b32 s13, s13, exec_lo
                                        ; implicit-def: $vgpr181
	s_or_saveexec_b32 s31, s31
	v_mov_b32_e32 v180, s29
	s_xor_b32 exec_lo, exec_lo, s31
	s_cbranch_execz .LBB4_815
.LBB4_1118:                             ;   in Loop: Header=BB4_393 Depth=4
	v_cmp_ne_u16_e64 vcc_lo, 0, v181
	v_mov_b32_e32 v180, 0
	s_and_not1_b32 s13, s13, exec_lo
	s_delay_alu instid0(VALU_DEP_2) | instskip(NEXT) | instid1(SALU_CYCLE_1)
	s_and_b32 s29, vcc_lo, exec_lo
	s_or_b32 s13, s13, s29
	s_or_b32 exec_lo, exec_lo, s31
	s_and_saveexec_b32 s29, s13
	s_cbranch_execnz .LBB4_816
	s_branch .LBB4_817
.LBB4_1119:                             ;   in Loop: Header=BB4_393 Depth=4
	s_mov_b32 s13, -1
	s_mov_b32 s34, exec_lo
                                        ; implicit-def: $sgpr29
	v_cmpx_eq_u16_e64 0x80, v180
; %bb.1120:                             ;   in Loop: Header=BB4_393 Depth=4
	s_mov_b32 s29, 0x7f800001
	s_xor_b32 s13, exec_lo, -1
; %bb.1121:                             ;   in Loop: Header=BB4_393 Depth=4
	s_or_b32 exec_lo, exec_lo, s34
	s_delay_alu instid0(SALU_CYCLE_1)
	s_and_b32 s13, s13, exec_lo
	s_or_saveexec_b32 s31, s31
	v_mov_b32_e32 v179, s29
	s_xor_b32 exec_lo, exec_lo, s31
	s_cbranch_execz .LBB4_827
.LBB4_1122:                             ;   in Loop: Header=BB4_393 Depth=4
	v_cmp_ne_u16_e64 vcc_lo, 0, v180
	v_mov_b32_e32 v179, 0
	s_and_not1_b32 s13, s13, exec_lo
	s_delay_alu instid0(VALU_DEP_2) | instskip(NEXT) | instid1(SALU_CYCLE_1)
	s_and_b32 s29, vcc_lo, exec_lo
	s_or_b32 s13, s13, s29
	s_or_b32 exec_lo, exec_lo, s31
	s_and_saveexec_b32 s29, s13
	s_cbranch_execnz .LBB4_828
	s_branch .LBB4_829
.LBB4_1123:                             ;   in Loop: Header=BB4_393 Depth=4
	s_mov_b32 s13, -1
	s_mov_b32 s34, exec_lo
                                        ; implicit-def: $sgpr29
	v_cmpx_eq_u16_e32 0x80, v14
; %bb.1124:                             ;   in Loop: Header=BB4_393 Depth=4
	s_mov_b32 s29, 0x7f800001
	s_xor_b32 s13, exec_lo, -1
; %bb.1125:                             ;   in Loop: Header=BB4_393 Depth=4
	s_or_b32 exec_lo, exec_lo, s34
	s_delay_alu instid0(SALU_CYCLE_1)
	s_and_b32 s13, s13, exec_lo
	s_or_saveexec_b32 s31, s31
	v_mov_b32_e32 v180, s29
	s_xor_b32 exec_lo, exec_lo, s31
	s_cbranch_execz .LBB4_831
.LBB4_1126:                             ;   in Loop: Header=BB4_393 Depth=4
	v_cmp_ne_u16_e32 vcc_lo, 0, v14
	v_mov_b32_e32 v180, 0
	s_and_not1_b32 s13, s13, exec_lo
	s_and_b32 s29, vcc_lo, exec_lo
	s_delay_alu instid0(SALU_CYCLE_1)
	s_or_b32 s13, s13, s29
	s_or_b32 exec_lo, exec_lo, s31
	s_and_saveexec_b32 s29, s13
	s_cbranch_execnz .LBB4_832
	s_branch .LBB4_833
.LBB4_1127:                             ;   in Loop: Header=BB4_393 Depth=4
	s_mov_b32 s13, -1
	s_mov_b32 s34, exec_lo
                                        ; implicit-def: $sgpr29
	v_cmpx_eq_u16_e64 0x80, v179
; %bb.1128:                             ;   in Loop: Header=BB4_393 Depth=4
	s_mov_b32 s29, 0x7f800001
	s_xor_b32 s13, exec_lo, -1
; %bb.1129:                             ;   in Loop: Header=BB4_393 Depth=4
	s_or_b32 exec_lo, exec_lo, s34
	s_delay_alu instid0(SALU_CYCLE_1)
	s_and_b32 s13, s13, exec_lo
                                        ; implicit-def: $vgpr179
	s_or_saveexec_b32 s31, s31
	v_mov_b32_e32 v14, s29
	s_xor_b32 exec_lo, exec_lo, s31
	s_cbranch_execz .LBB4_843
.LBB4_1130:                             ;   in Loop: Header=BB4_393 Depth=4
	v_cmp_ne_u16_e64 vcc_lo, 0, v179
	v_mov_b32_e32 v14, 0
	s_and_not1_b32 s13, s13, exec_lo
	s_delay_alu instid0(VALU_DEP_2) | instskip(NEXT) | instid1(SALU_CYCLE_1)
	s_and_b32 s29, vcc_lo, exec_lo
	s_or_b32 s13, s13, s29
	s_or_b32 exec_lo, exec_lo, s31
	s_and_saveexec_b32 s29, s13
	s_cbranch_execnz .LBB4_844
	s_branch .LBB4_845
.LBB4_1131:                             ;   in Loop: Header=BB4_393 Depth=4
	s_mov_b32 s13, -1
	s_mov_b32 s34, exec_lo
                                        ; implicit-def: $sgpr29
	v_cmpx_eq_u16_e64 0x80, v180
; %bb.1132:                             ;   in Loop: Header=BB4_393 Depth=4
	s_mov_b32 s29, 0x7f800001
	s_xor_b32 s13, exec_lo, -1
; %bb.1133:                             ;   in Loop: Header=BB4_393 Depth=4
	s_or_b32 exec_lo, exec_lo, s34
	s_delay_alu instid0(SALU_CYCLE_1)
	s_and_b32 s13, s13, exec_lo
                                        ; implicit-def: $vgpr180
	s_or_saveexec_b32 s31, s31
	v_mov_b32_e32 v179, s29
	s_xor_b32 exec_lo, exec_lo, s31
	s_cbranch_execz .LBB4_847
.LBB4_1134:                             ;   in Loop: Header=BB4_393 Depth=4
	v_cmp_ne_u16_e64 vcc_lo, 0, v180
	v_mov_b32_e32 v179, 0
	s_and_not1_b32 s13, s13, exec_lo
	s_delay_alu instid0(VALU_DEP_2) | instskip(NEXT) | instid1(SALU_CYCLE_1)
	s_and_b32 s29, vcc_lo, exec_lo
	s_or_b32 s13, s13, s29
	s_or_b32 exec_lo, exec_lo, s31
	s_and_saveexec_b32 s29, s13
	s_cbranch_execnz .LBB4_848
	s_branch .LBB4_849
.LBB4_1135:                             ;   in Loop: Header=BB4_393 Depth=4
	s_mov_b32 s13, -1
	s_mov_b32 s34, exec_lo
                                        ; implicit-def: $sgpr29
	v_cmpx_eq_u16_e64 0x80, v180
; %bb.1136:                             ;   in Loop: Header=BB4_393 Depth=4
	s_mov_b32 s29, 0x7f800001
	s_xor_b32 s13, exec_lo, -1
; %bb.1137:                             ;   in Loop: Header=BB4_393 Depth=4
	s_or_b32 exec_lo, exec_lo, s34
	s_delay_alu instid0(SALU_CYCLE_1)
	s_and_b32 s13, s13, exec_lo
	s_or_saveexec_b32 s31, s31
	v_mov_b32_e32 v179, s29
	s_xor_b32 exec_lo, exec_lo, s31
	s_cbranch_execz .LBB4_859
.LBB4_1138:                             ;   in Loop: Header=BB4_393 Depth=4
	v_cmp_ne_u16_e64 vcc_lo, 0, v180
	v_mov_b32_e32 v179, 0
	s_and_not1_b32 s13, s13, exec_lo
	s_delay_alu instid0(VALU_DEP_2) | instskip(NEXT) | instid1(SALU_CYCLE_1)
	s_and_b32 s29, vcc_lo, exec_lo
	s_or_b32 s13, s13, s29
	s_or_b32 exec_lo, exec_lo, s31
	s_and_saveexec_b32 s29, s13
	s_cbranch_execnz .LBB4_860
	s_branch .LBB4_861
.LBB4_1139:                             ;   in Loop: Header=BB4_393 Depth=4
	s_mov_b32 s13, -1
	s_mov_b32 s34, exec_lo
                                        ; implicit-def: $sgpr29
	v_cmpx_eq_u16_e64 0x80, v180
; %bb.1140:                             ;   in Loop: Header=BB4_393 Depth=4
	s_mov_b32 s29, 0x7f800001
	s_xor_b32 s13, exec_lo, -1
; %bb.1141:                             ;   in Loop: Header=BB4_393 Depth=4
	s_or_b32 exec_lo, exec_lo, s34
	s_delay_alu instid0(SALU_CYCLE_1)
	s_and_b32 s13, s13, exec_lo
	s_or_saveexec_b32 s31, s31
	v_mov_b32_e32 v181, s29
	s_xor_b32 exec_lo, exec_lo, s31
	s_cbranch_execz .LBB4_863
.LBB4_1142:                             ;   in Loop: Header=BB4_393 Depth=4
	v_cmp_ne_u16_e64 vcc_lo, 0, v180
	v_mov_b32_e32 v181, 0
	s_and_not1_b32 s13, s13, exec_lo
	s_delay_alu instid0(VALU_DEP_2) | instskip(NEXT) | instid1(SALU_CYCLE_1)
	s_and_b32 s29, vcc_lo, exec_lo
	s_or_b32 s13, s13, s29
	s_or_b32 exec_lo, exec_lo, s31
	s_and_saveexec_b32 s29, s13
	s_cbranch_execnz .LBB4_864
	s_branch .LBB4_865
.LBB4_1143:                             ;   in Loop: Header=BB4_393 Depth=4
	s_mov_b32 s13, -1
	s_mov_b32 s34, exec_lo
                                        ; implicit-def: $sgpr29
	v_cmpx_eq_u16_e64 0x80, v182
; %bb.1144:                             ;   in Loop: Header=BB4_393 Depth=4
	s_mov_b32 s29, 0x7f800001
	s_xor_b32 s13, exec_lo, -1
; %bb.1145:                             ;   in Loop: Header=BB4_393 Depth=4
	s_or_b32 exec_lo, exec_lo, s34
	s_delay_alu instid0(SALU_CYCLE_1)
	s_and_b32 s13, s13, exec_lo
                                        ; implicit-def: $vgpr182
	s_or_saveexec_b32 s31, s31
	v_mov_b32_e32 v180, s29
	s_xor_b32 exec_lo, exec_lo, s31
	s_cbranch_execz .LBB4_875
.LBB4_1146:                             ;   in Loop: Header=BB4_393 Depth=4
	v_cmp_ne_u16_e64 vcc_lo, 0, v182
	v_mov_b32_e32 v180, 0
	s_and_not1_b32 s13, s13, exec_lo
	s_delay_alu instid0(VALU_DEP_2) | instskip(NEXT) | instid1(SALU_CYCLE_1)
	s_and_b32 s29, vcc_lo, exec_lo
	s_or_b32 s13, s13, s29
	s_or_b32 exec_lo, exec_lo, s31
	s_and_saveexec_b32 s29, s13
	s_cbranch_execnz .LBB4_876
	s_branch .LBB4_877
.LBB4_1147:                             ;   in Loop: Header=BB4_393 Depth=4
	s_mov_b32 s13, -1
	s_mov_b32 s34, exec_lo
                                        ; implicit-def: $sgpr29
	v_cmpx_eq_u16_e64 0x80, v183
; %bb.1148:                             ;   in Loop: Header=BB4_393 Depth=4
	s_mov_b32 s29, 0x7f800001
	s_xor_b32 s13, exec_lo, -1
; %bb.1149:                             ;   in Loop: Header=BB4_393 Depth=4
	s_or_b32 exec_lo, exec_lo, s34
	s_delay_alu instid0(SALU_CYCLE_1)
	s_and_b32 s13, s13, exec_lo
                                        ; implicit-def: $vgpr183
	s_or_saveexec_b32 s31, s31
	v_mov_b32_e32 v182, s29
	s_xor_b32 exec_lo, exec_lo, s31
	s_cbranch_execz .LBB4_879
.LBB4_1150:                             ;   in Loop: Header=BB4_393 Depth=4
	v_cmp_ne_u16_e64 vcc_lo, 0, v183
	v_mov_b32_e32 v182, 0
	s_and_not1_b32 s13, s13, exec_lo
	s_delay_alu instid0(VALU_DEP_2) | instskip(NEXT) | instid1(SALU_CYCLE_1)
	s_and_b32 s29, vcc_lo, exec_lo
	s_or_b32 s13, s13, s29
	s_or_b32 exec_lo, exec_lo, s31
	s_and_saveexec_b32 s29, s13
	s_cbranch_execnz .LBB4_880
	s_branch .LBB4_881
.LBB4_1151:                             ;   in Loop: Header=BB4_393 Depth=4
	s_mov_b32 s13, -1
	s_mov_b32 s34, exec_lo
                                        ; implicit-def: $sgpr29
	v_cmpx_eq_u16_e64 0x80, v182
; %bb.1152:                             ;   in Loop: Header=BB4_393 Depth=4
	s_mov_b32 s29, 0x7f800001
	s_xor_b32 s13, exec_lo, -1
; %bb.1153:                             ;   in Loop: Header=BB4_393 Depth=4
	s_or_b32 exec_lo, exec_lo, s34
	s_delay_alu instid0(SALU_CYCLE_1)
	s_and_b32 s13, s13, exec_lo
	s_or_saveexec_b32 s31, s31
	v_mov_b32_e32 v181, s29
	s_xor_b32 exec_lo, exec_lo, s31
	s_cbranch_execz .LBB4_891
.LBB4_1154:                             ;   in Loop: Header=BB4_393 Depth=4
	v_cmp_ne_u16_e64 vcc_lo, 0, v182
	v_mov_b32_e32 v181, 0
	s_and_not1_b32 s13, s13, exec_lo
	s_delay_alu instid0(VALU_DEP_2) | instskip(NEXT) | instid1(SALU_CYCLE_1)
	s_and_b32 s29, vcc_lo, exec_lo
	s_or_b32 s13, s13, s29
	s_or_b32 exec_lo, exec_lo, s31
	s_and_saveexec_b32 s29, s13
	s_cbranch_execnz .LBB4_892
	s_branch .LBB4_893
.LBB4_1155:                             ;   in Loop: Header=BB4_393 Depth=4
	s_mov_b32 s13, -1
	s_mov_b32 s34, exec_lo
                                        ; implicit-def: $sgpr29
	v_cmpx_eq_u16_e32 0x80, v15
; %bb.1156:                             ;   in Loop: Header=BB4_393 Depth=4
	s_mov_b32 s29, 0x7f800001
	s_xor_b32 s13, exec_lo, -1
; %bb.1157:                             ;   in Loop: Header=BB4_393 Depth=4
	s_or_b32 exec_lo, exec_lo, s34
	s_delay_alu instid0(SALU_CYCLE_1)
	s_and_b32 s13, s13, exec_lo
	s_or_saveexec_b32 s31, s31
	v_mov_b32_e32 v182, s29
	s_xor_b32 exec_lo, exec_lo, s31
	s_cbranch_execz .LBB4_895
.LBB4_1158:                             ;   in Loop: Header=BB4_393 Depth=4
	v_cmp_ne_u16_e32 vcc_lo, 0, v15
	v_mov_b32_e32 v182, 0
	s_and_not1_b32 s13, s13, exec_lo
	s_and_b32 s29, vcc_lo, exec_lo
	s_delay_alu instid0(SALU_CYCLE_1)
	s_or_b32 s13, s13, s29
	s_or_b32 exec_lo, exec_lo, s31
	s_and_saveexec_b32 s29, s13
	s_cbranch_execnz .LBB4_896
	s_branch .LBB4_897
.LBB4_1159:                             ;   in Loop: Header=BB4_305 Depth=3
	s_or_b32 exec_lo, exec_lo, s30
.LBB4_1160:                             ;   in Loop: Header=BB4_305 Depth=3
	s_delay_alu instid0(SALU_CYCLE_1) | instskip(SKIP_4) | instid1(VALU_DEP_2)
	s_or_b32 exec_lo, exec_lo, s14
	v_lshlrev_b32_e32 v22, 10, v147
	v_mov_b32_e32 v14, 0
	s_mov_b32 s13, 0
	s_mov_b32 s30, exec_lo
                                        ; implicit-def: $vgpr15
                                        ; implicit-def: $vgpr16
                                        ; implicit-def: $vgpr8
	v_cmpx_ne_u32_e64 v69, v22
	s_cbranch_execz .LBB4_1553
; %bb.1161:                             ;   in Loop: Header=BB4_305 Depth=3
	v_lshlrev_b32_e32 v2, 5, v2
	v_sub_nc_u32_e32 v9, v69, v22
	s_mov_b32 s31, exec_lo
	s_delay_alu instid0(VALU_DEP_2) | instskip(NEXT) | instid1(VALU_DEP_2)
	v_sub_nc_u32_e32 v2, v100, v2
	v_ashrrev_i32_e32 v10, 31, v9
	s_delay_alu instid0(VALU_DEP_2) | instskip(NEXT) | instid1(VALU_DEP_2)
	v_ashrrev_i32_e32 v8, 31, v2
	v_lshrrev_b32_e32 v10, 23, v10
	s_delay_alu instid0(VALU_DEP_2) | instskip(NEXT) | instid1(VALU_DEP_2)
	v_lshrrev_b32_e32 v8, 27, v8
	v_add_nc_u32_e32 v10, v9, v10
	s_delay_alu instid0(VALU_DEP_2) | instskip(NEXT) | instid1(VALU_DEP_1)
	v_add_nc_u32_e32 v8, v2, v8
	v_and_b32_e32 v11, 0xffffffe0, v8
	s_delay_alu instid0(VALU_DEP_1) | instskip(NEXT) | instid1(VALU_DEP_4)
	v_sub_nc_u32_e32 v23, v2, v11
	v_and_b32_e32 v2, 0xfffffe00, v10
	v_ashrrev_i32_e32 v11, 5, v8
	v_ashrrev_i32_e32 v10, 9, v10
	s_delay_alu instid0(VALU_DEP_4) | instskip(NEXT) | instid1(VALU_DEP_4)
	v_lshlrev_b32_e32 v8, 4, v23
	v_sub_nc_u32_e32 v80, v9, v2
	s_delay_alu instid0(VALU_DEP_2) | instskip(NEXT) | instid1(VALU_DEP_2)
	v_lshl_add_u32 v8, v11, 9, v8
	v_cmp_lt_i32_e32 vcc_lo, 15, v80
	s_delay_alu instid0(VALU_DEP_2) | instskip(SKIP_1) | instid1(VALU_DEP_1)
	v_sub_nc_u32_e32 v82, v9, v8
	v_add_co_ci_u32_e64 v10, s13, 0, v10, vcc_lo
	v_sub_nc_u32_e32 v81, v10, v11
	s_delay_alu instid0(VALU_DEP_3)
	v_cmpx_lt_i32_e32 15, v82
	s_cbranch_execz .LBB4_1550
; %bb.1162:                             ;   in Loop: Header=BB4_305 Depth=3
	s_cbranch_execz .LBB4_1163
; %bb.6765:
	s_getpc_b64 s[46:47]
.Lpost_getpc156:
	s_add_u32 s46, s46, (.LBB4_6411-.Lpost_getpc156)&4294967295
	s_addc_u32 s47, s47, (.LBB4_6411-.Lpost_getpc156)>>32
	s_setpc_b64 s[46:47]
.LBB4_1163:                             ;   in Loop: Header=BB4_305 Depth=3
	ds_load_b128 v[9:12], v0
	ds_load_b64 v[13:14], v0
	v_add_nc_u32_e32 v8, v8, v22
	s_mov_b32 s34, 0
	s_delay_alu instid0(VALU_DEP_1) | instskip(SKIP_2) | instid1(VALU_DEP_1)
	v_ashrrev_i32_e32 v15, 31, v8
	s_waitcnt lgkmcnt(1)
	v_add_co_u32 v16, s13, v9, v8
	v_add_co_ci_u32_e64 v17, s13, v10, v15, s13
	v_add_co_u32 v18, s13, v11, v8
	s_delay_alu instid0(VALU_DEP_1) | instskip(SKIP_2) | instid1(VALU_DEP_1)
	v_add_co_ci_u32_e64 v19, s13, v12, v15, s13
	s_waitcnt lgkmcnt(0)
	v_add_co_u32 v20, s13, v13, v8
	v_add_co_ci_u32_e64 v21, s13, v14, v15, s13
	s_branch .LBB4_1167
.LBB4_1164:                             ;   in Loop: Header=BB4_1167 Depth=4
	s_or_b32 exec_lo, exec_lo, s13
	s_delay_alu instid0(VALU_DEP_1) | instskip(NEXT) | instid1(VALU_DEP_2)
	v_lshrrev_b32_e32 v161, 20, v161
	v_min_i32_e32 v162, 15, v15
	v_cmp_gt_i32_e64 s13, 16, v15
	v_lshrrev_b32_e32 v11, 24, v11
	s_delay_alu instid0(VALU_DEP_3) | instskip(NEXT) | instid1(VALU_DEP_3)
	v_lshlrev_b32_e32 v162, 3, v162
	v_cndmask_b32_e64 v161, 7, v161, s13
	s_delay_alu instid0(VALU_DEP_3) | instskip(NEXT) | instid1(VALU_DEP_3)
	v_and_b32_e32 v11, 0x80, v11
	v_and_b32_e32 v162, 0xf8, v162
	s_delay_alu instid0(VALU_DEP_3) | instskip(SKIP_1) | instid1(VALU_DEP_2)
	v_and_b32_e32 v163, 7, v161
	v_or_b32_e32 v15, v15, v161
	v_or3_b32 v11, v11, v162, v163
	s_delay_alu instid0(VALU_DEP_2) | instskip(NEXT) | instid1(VALU_DEP_2)
	v_cmp_ne_u32_e64 s13, 0, v15
	v_lshlrev_b32_e32 v11, 8, v11
	s_delay_alu instid0(VALU_DEP_1)
	v_cndmask_b32_e64 v15, 0, v11, s13
.LBB4_1165:                             ;   in Loop: Header=BB4_1167 Depth=4
	s_or_b32 exec_lo, exec_lo, s35
.LBB4_1166:                             ;   in Loop: Header=BB4_1167 Depth=4
	s_delay_alu instid0(SALU_CYCLE_1)
	s_or_b32 exec_lo, exec_lo, s29
	v_or_b32_e32 v9, v9, v148
	v_and_b32_e32 v11, 0xff, v85
	v_lshlrev_b32_e32 v84, 8, v84
	v_and_b32_e32 v85, 0xff, v150
	v_lshlrev_b32_e32 v148, 8, v149
	v_or_b32_e32 v15, v15, v160
	v_and_b32_e32 v12, 0xff, v12
	v_lshlrev_b32_e32 v8, 24, v8
	v_lshlrev_b32_e32 v9, 16, v9
	;; [unrolled: 1-line block ×3, first 2 shown]
	v_perm_b32 v83, v84, v83, 0xc0c0500
	v_lshlrev_b32_e32 v10, 24, v10
	v_lshlrev_b32_e32 v84, 16, v85
	v_perm_b32 v13, v148, v13, 0xc0c0500
	v_and_b32_e32 v14, 0xff, v14
	v_lshlrev_b32_e32 v15, 16, v15
	v_add_co_u32 v16, s13, v16, v117
	v_or3_b32 v9, v147, v12, v9
	v_or3_b32 v8, v8, v11, v83
	;; [unrolled: 1-line block ×4, first 2 shown]
	v_sub_nc_u32_e32 v82, v82, v101
	v_add_co_ci_u32_e64 v17, s13, v17, v118, s13
	v_add_co_u32 v18, s13, v18, v117
	s_delay_alu instid0(VALU_DEP_1) | instskip(SKIP_3) | instid1(VALU_DEP_1)
	v_add_co_ci_u32_e64 v19, s13, v19, v118, s13
	global_store_b128 v[20:21], v[8:11], off glc slc dlc
	v_cmp_gt_i32_e64 s13, 16, v82
	v_add_co_u32 v20, s14, v20, v117
	v_add_co_ci_u32_e64 v21, s14, v21, v118, s14
	v_sub_nc_u32_e32 v81, v81, v97
	s_delay_alu instid0(VALU_DEP_4) | instskip(NEXT) | instid1(SALU_CYCLE_1)
	s_or_b32 s34, s13, s34
	s_and_not1_b32 exec_lo, exec_lo, s34
	s_cbranch_execz .LBB4_1549
.LBB4_1167:                             ;   Parent Loop BB4_51 Depth=1
                                        ;     Parent Loop BB4_303 Depth=2
                                        ;       Parent Loop BB4_305 Depth=3
                                        ; =>      This Inner Loop Header: Depth=4
	global_load_b128 v[12:15], v[16:17], off slc dlc
	global_load_b128 v[8:11], v[18:19], off slc dlc
	s_mov_b32 s14, 0
	s_mov_b32 s35, exec_lo
                                        ; implicit-def: $sgpr29
	s_waitcnt vmcnt(1)
	v_and_b32_e32 v84, 0xff, v12
	s_delay_alu instid0(VALU_DEP_1)
	v_cmpx_lt_i16_e32 0x7f, v84
	s_xor_b32 s35, exec_lo, s35
	s_cbranch_execnz .LBB4_1421
; %bb.1168:                             ;   in Loop: Header=BB4_1167 Depth=4
	s_or_saveexec_b32 s35, s35
	v_mov_b32_e32 v83, s29
	s_xor_b32 exec_lo, exec_lo, s35
	s_cbranch_execnz .LBB4_1424
.LBB4_1169:                             ;   in Loop: Header=BB4_1167 Depth=4
	s_or_b32 exec_lo, exec_lo, s35
	s_and_saveexec_b32 s29, s14
	s_cbranch_execz .LBB4_1171
.LBB4_1170:                             ;   in Loop: Header=BB4_1167 Depth=4
	v_and_b32_e32 v83, 7, v12
	v_bfe_u32 v147, v12, 3, 4
	v_lshlrev_b32_e32 v148, 24, v12
	s_delay_alu instid0(VALU_DEP_3) | instskip(NEXT) | instid1(VALU_DEP_3)
	v_clz_i32_u32_e32 v84, v83
	v_cmp_eq_u32_e64 s13, 0, v147
	s_delay_alu instid0(VALU_DEP_2) | instskip(NEXT) | instid1(VALU_DEP_1)
	v_min_u32_e32 v84, 32, v84
	v_subrev_nc_u32_e32 v85, 28, v84
	v_sub_nc_u32_e32 v84, 29, v84
	s_delay_alu instid0(VALU_DEP_2) | instskip(NEXT) | instid1(VALU_DEP_2)
	v_lshlrev_b32_e32 v85, v85, v12
	v_cndmask_b32_e64 v84, v147, v84, s13
	s_delay_alu instid0(VALU_DEP_2) | instskip(NEXT) | instid1(VALU_DEP_2)
	v_and_b32_e32 v85, 7, v85
	v_lshl_add_u32 v84, v84, 23, 0x3b800000
	s_delay_alu instid0(VALU_DEP_2) | instskip(SKIP_1) | instid1(VALU_DEP_2)
	v_cndmask_b32_e64 v83, v83, v85, s13
	v_and_b32_e32 v85, 0x80000000, v148
	v_lshlrev_b32_e32 v83, 20, v83
	s_delay_alu instid0(VALU_DEP_1)
	v_or3_b32 v83, v85, v84, v83
.LBB4_1171:                             ;   in Loop: Header=BB4_1167 Depth=4
	s_or_b32 exec_lo, exec_lo, s29
	s_waitcnt vmcnt(0)
	v_and_b32_e32 v85, 0xff, v8
	s_mov_b32 s14, 0
	s_mov_b32 s35, exec_lo
                                        ; implicit-def: $sgpr29
	s_delay_alu instid0(VALU_DEP_1)
	v_cmpx_lt_i16_e32 0x7f, v85
	s_xor_b32 s35, exec_lo, s35
	s_cbranch_execnz .LBB4_1425
; %bb.1172:                             ;   in Loop: Header=BB4_1167 Depth=4
	s_or_saveexec_b32 s35, s35
	v_mov_b32_e32 v84, s29
	s_xor_b32 exec_lo, exec_lo, s35
	s_cbranch_execnz .LBB4_1428
.LBB4_1173:                             ;   in Loop: Header=BB4_1167 Depth=4
	s_or_b32 exec_lo, exec_lo, s35
	s_and_saveexec_b32 s29, s14
	s_cbranch_execz .LBB4_1175
.LBB4_1174:                             ;   in Loop: Header=BB4_1167 Depth=4
	v_and_b32_e32 v84, 7, v8
	v_bfe_u32 v148, v8, 3, 4
	v_lshlrev_b32_e32 v149, 24, v8
	s_delay_alu instid0(VALU_DEP_3) | instskip(NEXT) | instid1(VALU_DEP_3)
	v_clz_i32_u32_e32 v85, v84
	v_cmp_eq_u32_e64 s13, 0, v148
	s_delay_alu instid0(VALU_DEP_2) | instskip(NEXT) | instid1(VALU_DEP_1)
	v_min_u32_e32 v85, 32, v85
	v_subrev_nc_u32_e32 v147, 28, v85
	v_sub_nc_u32_e32 v85, 29, v85
	s_delay_alu instid0(VALU_DEP_2) | instskip(NEXT) | instid1(VALU_DEP_2)
	v_lshlrev_b32_e32 v147, v147, v8
	v_cndmask_b32_e64 v85, v148, v85, s13
	s_delay_alu instid0(VALU_DEP_2) | instskip(NEXT) | instid1(VALU_DEP_2)
	v_and_b32_e32 v147, 7, v147
	v_lshl_add_u32 v85, v85, 23, 0x3b800000
	s_delay_alu instid0(VALU_DEP_2) | instskip(SKIP_1) | instid1(VALU_DEP_2)
	v_cndmask_b32_e64 v84, v84, v147, s13
	v_and_b32_e32 v147, 0x80000000, v149
	v_lshlrev_b32_e32 v84, 20, v84
	s_delay_alu instid0(VALU_DEP_1)
	v_or3_b32 v84, v147, v85, v84
.LBB4_1175:                             ;   in Loop: Header=BB4_1167 Depth=4
	s_or_b32 exec_lo, exec_lo, s29
	s_delay_alu instid0(VALU_DEP_1) | instskip(NEXT) | instid1(VALU_DEP_1)
	v_add_f32_e32 v84, v83, v84
	v_and_b32_e32 v83, 0x7f800000, v84
	s_delay_alu instid0(VALU_DEP_1) | instskip(SKIP_1) | instid1(VALU_DEP_2)
	v_cmp_ne_u32_e64 s13, 0x7f800000, v83
	v_mov_b32_e32 v83, 0x80
	s_and_saveexec_b32 s29, s13
	s_cbranch_execz .LBB4_1183
; %bb.1176:                             ;   in Loop: Header=BB4_1167 Depth=4
	v_mov_b32_e32 v83, 0
	s_mov_b32 s35, exec_lo
	v_cmpx_ne_u32_e32 0, v84
	s_cbranch_execz .LBB4_1182
; %bb.1177:                             ;   in Loop: Header=BB4_1167 Depth=4
	v_bfe_u32 v83, v84, 23, 8
	v_and_b32_e32 v85, 0x7fffff, v84
	s_delay_alu instid0(VALU_DEP_2) | instskip(SKIP_1) | instid1(VALU_DEP_3)
	v_sub_nc_u32_e32 v147, 0x78, v83
	v_cmp_gt_u32_e64 s13, 0x79, v83
	v_or_b32_e32 v148, 0x800000, v85
	s_delay_alu instid0(VALU_DEP_2) | instskip(SKIP_2) | instid1(VALU_DEP_2)
	v_cndmask_b32_e64 v147, 0, v147, s13
	v_cmp_eq_u32_e64 s13, 0, v83
	v_add_nc_u32_e32 v83, 0xffffff89, v83
	v_cndmask_b32_e64 v147, v147, 0x77, s13
	v_cndmask_b32_e64 v85, v148, v85, s13
	s_delay_alu instid0(VALU_DEP_3) | instskip(NEXT) | instid1(VALU_DEP_3)
	v_cndmask_b32_e64 v83, v83, 0xffffff8a, s13
	v_lshl_add_u32 v148, 0x100000, v147, -1
	s_delay_alu instid0(VALU_DEP_3) | instskip(SKIP_1) | instid1(VALU_DEP_4)
	v_lshrrev_b32_e32 v149, v147, v85
	v_lshlrev_b32_e64 v151, v147, 0x80000
	v_add_nc_u32_e32 v147, v147, v83
	s_delay_alu instid0(VALU_DEP_4) | instskip(NEXT) | instid1(VALU_DEP_4)
	v_and_b32_e32 v85, v148, v85
	v_bfe_u32 v150, v149, 20, 1
	s_delay_alu instid0(VALU_DEP_2) | instskip(NEXT) | instid1(VALU_DEP_2)
	v_cmp_eq_u32_e64 s14, v85, v151
	v_add_nc_u32_e32 v148, -1, v150
	s_delay_alu instid0(VALU_DEP_1) | instskip(SKIP_2) | instid1(VALU_DEP_2)
	v_cndmask_b32_e64 v85, 0, v148, s14
	v_lshrrev_b32_e32 v148, 23, v149
	s_mov_b32 s14, exec_lo
	v_add_nc_u32_e32 v85, v85, v149
	s_delay_alu instid0(VALU_DEP_2) | instskip(NEXT) | instid1(VALU_DEP_2)
	v_xor_b32_e32 v148, 1, v148
	v_and_b32_e32 v83, 0xfffff, v85
	s_delay_alu instid0(VALU_DEP_1) | instskip(NEXT) | instid1(VALU_DEP_3)
	v_add_nc_u32_e32 v85, v83, v149
                                        ; implicit-def: $vgpr83
	v_cmpx_ne_u32_e64 v147, v148
	s_xor_b32 s14, exec_lo, s14
; %bb.1178:                             ;   in Loop: Header=BB4_1167 Depth=4
	s_delay_alu instid0(VALU_DEP_2) | instskip(SKIP_1) | instid1(VALU_DEP_2)
	v_cmp_lt_u32_e64 s13, 0xffffff, v85
	v_sub_nc_u32_e32 v83, v147, v148
	v_cndmask_b32_e64 v147, 0, 1, s13
	s_delay_alu instid0(VALU_DEP_2) | instskip(NEXT) | instid1(VALU_DEP_2)
	v_add_co_ci_u32_e64 v83, s13, 0, v83, s13
	v_lshrrev_b32_e32 v85, v147, v85
; %bb.1179:                             ;   in Loop: Header=BB4_1167 Depth=4
	s_and_not1_saveexec_b32 s13, s14
; %bb.1180:                             ;   in Loop: Header=BB4_1167 Depth=4
	s_delay_alu instid0(VALU_DEP_1)
	v_bfe_u32 v83, v85, 23, 1
; %bb.1181:                             ;   in Loop: Header=BB4_1167 Depth=4
	s_or_b32 exec_lo, exec_lo, s13
	v_lshrrev_b32_e32 v85, 20, v85
	s_delay_alu instid0(VALU_DEP_2) | instskip(SKIP_2) | instid1(VALU_DEP_3)
	v_cmp_gt_i32_e64 s13, 16, v83
	v_lshrrev_b32_e32 v84, 24, v84
	v_min_i32_e32 v147, 15, v83
	v_cndmask_b32_e64 v85, 7, v85, s13
	s_delay_alu instid0(VALU_DEP_3) | instskip(NEXT) | instid1(VALU_DEP_3)
	v_and_b32_e32 v84, 0x80, v84
	v_lshlrev_b32_e32 v147, 3, v147
	s_delay_alu instid0(VALU_DEP_3) | instskip(SKIP_1) | instid1(VALU_DEP_2)
	v_and_b32_e32 v148, 7, v85
	v_or_b32_e32 v83, v83, v85
	v_or3_b32 v84, v147, v84, v148
	s_delay_alu instid0(VALU_DEP_2) | instskip(NEXT) | instid1(VALU_DEP_1)
	v_cmp_ne_u32_e64 s13, 0, v83
	v_cndmask_b32_e64 v83, 0, v84, s13
.LBB4_1182:                             ;   in Loop: Header=BB4_1167 Depth=4
	s_or_b32 exec_lo, exec_lo, s35
.LBB4_1183:                             ;   in Loop: Header=BB4_1167 Depth=4
	s_delay_alu instid0(SALU_CYCLE_1) | instskip(SKIP_3) | instid1(VALU_DEP_1)
	s_or_b32 exec_lo, exec_lo, s29
	v_lshrrev_b16 v85, 8, v12
	s_mov_b32 s14, 0
	s_mov_b32 s35, exec_lo
                                        ; implicit-def: $sgpr29
	v_cmpx_lt_i16_e32 0x7f, v85
	s_xor_b32 s35, exec_lo, s35
	s_cbranch_execnz .LBB4_1429
; %bb.1184:                             ;   in Loop: Header=BB4_1167 Depth=4
	s_or_saveexec_b32 s35, s35
	v_mov_b32_e32 v84, s29
	s_xor_b32 exec_lo, exec_lo, s35
	s_cbranch_execnz .LBB4_1432
.LBB4_1185:                             ;   in Loop: Header=BB4_1167 Depth=4
	s_or_b32 exec_lo, exec_lo, s35
	s_and_saveexec_b32 s29, s14
	s_cbranch_execz .LBB4_1187
.LBB4_1186:                             ;   in Loop: Header=BB4_1167 Depth=4
	v_and_b32_e32 v84, 0xffff, v85
	v_lshlrev_b32_e32 v85, 24, v85
	s_delay_alu instid0(VALU_DEP_2) | instskip(NEXT) | instid1(VALU_DEP_2)
	v_and_b32_e32 v147, 7, v84
	v_and_b32_e32 v85, 0x80000000, v85
	s_delay_alu instid0(VALU_DEP_2) | instskip(NEXT) | instid1(VALU_DEP_1)
	v_clz_i32_u32_e32 v148, v147
	v_min_u32_e32 v148, 32, v148
	s_delay_alu instid0(VALU_DEP_1) | instskip(SKIP_1) | instid1(VALU_DEP_2)
	v_subrev_nc_u32_e32 v149, 28, v148
	v_sub_nc_u32_e32 v148, 29, v148
	v_lshlrev_b32_e32 v149, v149, v84
	v_bfe_u32 v84, v84, 3, 4
	s_delay_alu instid0(VALU_DEP_2) | instskip(NEXT) | instid1(VALU_DEP_2)
	v_and_b32_e32 v149, 7, v149
	v_cmp_eq_u32_e64 s13, 0, v84
	s_delay_alu instid0(VALU_DEP_1) | instskip(NEXT) | instid1(VALU_DEP_3)
	v_cndmask_b32_e64 v84, v84, v148, s13
	v_cndmask_b32_e64 v147, v147, v149, s13
	s_delay_alu instid0(VALU_DEP_2) | instskip(NEXT) | instid1(VALU_DEP_2)
	v_lshl_add_u32 v84, v84, 23, 0x3b800000
	v_lshlrev_b32_e32 v147, 20, v147
	s_delay_alu instid0(VALU_DEP_1)
	v_or3_b32 v84, v85, v84, v147
.LBB4_1187:                             ;   in Loop: Header=BB4_1167 Depth=4
	s_or_b32 exec_lo, exec_lo, s29
	v_lshrrev_b16 v85, 8, v8
	s_mov_b32 s14, 0
	s_mov_b32 s35, exec_lo
                                        ; implicit-def: $sgpr29
	s_delay_alu instid0(VALU_DEP_1)
	v_cmpx_lt_i16_e32 0x7f, v85
	s_xor_b32 s35, exec_lo, s35
	s_cbranch_execnz .LBB4_1433
; %bb.1188:                             ;   in Loop: Header=BB4_1167 Depth=4
	s_or_saveexec_b32 s35, s35
	v_mov_b32_e32 v147, s29
	s_xor_b32 exec_lo, exec_lo, s35
	s_cbranch_execnz .LBB4_1436
.LBB4_1189:                             ;   in Loop: Header=BB4_1167 Depth=4
	s_or_b32 exec_lo, exec_lo, s35
	s_and_saveexec_b32 s29, s14
	s_cbranch_execz .LBB4_1191
.LBB4_1190:                             ;   in Loop: Header=BB4_1167 Depth=4
	v_and_b32_e32 v147, 0xffff, v85
	v_lshlrev_b32_e32 v85, 24, v85
	s_delay_alu instid0(VALU_DEP_2) | instskip(NEXT) | instid1(VALU_DEP_2)
	v_and_b32_e32 v148, 7, v147
	v_and_b32_e32 v85, 0x80000000, v85
	s_delay_alu instid0(VALU_DEP_2) | instskip(NEXT) | instid1(VALU_DEP_1)
	v_clz_i32_u32_e32 v149, v148
	v_min_u32_e32 v149, 32, v149
	s_delay_alu instid0(VALU_DEP_1) | instskip(SKIP_1) | instid1(VALU_DEP_2)
	v_subrev_nc_u32_e32 v150, 28, v149
	v_sub_nc_u32_e32 v149, 29, v149
	v_lshlrev_b32_e32 v150, v150, v147
	v_bfe_u32 v147, v147, 3, 4
	s_delay_alu instid0(VALU_DEP_2) | instskip(NEXT) | instid1(VALU_DEP_2)
	v_and_b32_e32 v150, 7, v150
	v_cmp_eq_u32_e64 s13, 0, v147
	s_delay_alu instid0(VALU_DEP_1) | instskip(NEXT) | instid1(VALU_DEP_3)
	v_cndmask_b32_e64 v147, v147, v149, s13
	v_cndmask_b32_e64 v148, v148, v150, s13
	s_delay_alu instid0(VALU_DEP_2) | instskip(NEXT) | instid1(VALU_DEP_2)
	v_lshl_add_u32 v147, v147, 23, 0x3b800000
	v_lshlrev_b32_e32 v148, 20, v148
	s_delay_alu instid0(VALU_DEP_1)
	v_or3_b32 v147, v85, v147, v148
.LBB4_1191:                             ;   in Loop: Header=BB4_1167 Depth=4
	s_or_b32 exec_lo, exec_lo, s29
	s_delay_alu instid0(VALU_DEP_1) | instskip(NEXT) | instid1(VALU_DEP_1)
	v_add_f32_e32 v85, v84, v147
	v_and_b32_e32 v84, 0x7f800000, v85
	s_delay_alu instid0(VALU_DEP_1) | instskip(SKIP_1) | instid1(VALU_DEP_2)
	v_cmp_ne_u32_e64 s13, 0x7f800000, v84
	v_mov_b32_e32 v84, 0x80
	s_and_saveexec_b32 s29, s13
	s_cbranch_execz .LBB4_1199
; %bb.1192:                             ;   in Loop: Header=BB4_1167 Depth=4
	v_mov_b32_e32 v84, 0
	s_mov_b32 s35, exec_lo
	v_cmpx_ne_u32_e32 0, v85
	s_cbranch_execz .LBB4_1198
; %bb.1193:                             ;   in Loop: Header=BB4_1167 Depth=4
	v_bfe_u32 v84, v85, 23, 8
	v_and_b32_e32 v147, 0x7fffff, v85
	s_delay_alu instid0(VALU_DEP_2) | instskip(SKIP_1) | instid1(VALU_DEP_3)
	v_sub_nc_u32_e32 v148, 0x78, v84
	v_cmp_gt_u32_e64 s13, 0x79, v84
	v_or_b32_e32 v149, 0x800000, v147
	s_delay_alu instid0(VALU_DEP_2) | instskip(SKIP_2) | instid1(VALU_DEP_2)
	v_cndmask_b32_e64 v148, 0, v148, s13
	v_cmp_eq_u32_e64 s13, 0, v84
	v_add_nc_u32_e32 v84, 0xffffff89, v84
	v_cndmask_b32_e64 v148, v148, 0x77, s13
	v_cndmask_b32_e64 v147, v149, v147, s13
	s_delay_alu instid0(VALU_DEP_3) | instskip(NEXT) | instid1(VALU_DEP_3)
	v_cndmask_b32_e64 v84, v84, 0xffffff8a, s13
	v_lshl_add_u32 v149, 0x100000, v148, -1
	s_delay_alu instid0(VALU_DEP_3) | instskip(SKIP_1) | instid1(VALU_DEP_4)
	v_lshrrev_b32_e32 v150, v148, v147
	v_lshlrev_b32_e64 v160, v148, 0x80000
	v_add_nc_u32_e32 v148, v148, v84
	s_delay_alu instid0(VALU_DEP_4) | instskip(NEXT) | instid1(VALU_DEP_4)
	v_and_b32_e32 v147, v149, v147
	v_bfe_u32 v151, v150, 20, 1
	s_delay_alu instid0(VALU_DEP_2) | instskip(NEXT) | instid1(VALU_DEP_2)
	v_cmp_eq_u32_e64 s14, v147, v160
	v_add_nc_u32_e32 v149, -1, v151
	s_delay_alu instid0(VALU_DEP_1) | instskip(SKIP_2) | instid1(VALU_DEP_2)
	v_cndmask_b32_e64 v147, 0, v149, s14
	v_lshrrev_b32_e32 v149, 23, v150
	s_mov_b32 s14, exec_lo
	v_add_nc_u32_e32 v147, v147, v150
	s_delay_alu instid0(VALU_DEP_2) | instskip(NEXT) | instid1(VALU_DEP_2)
	v_xor_b32_e32 v149, 1, v149
	v_and_b32_e32 v84, 0xfffff, v147
	s_delay_alu instid0(VALU_DEP_1) | instskip(NEXT) | instid1(VALU_DEP_3)
	v_add_nc_u32_e32 v147, v84, v150
                                        ; implicit-def: $vgpr84
	v_cmpx_ne_u32_e64 v148, v149
	s_xor_b32 s14, exec_lo, s14
; %bb.1194:                             ;   in Loop: Header=BB4_1167 Depth=4
	s_delay_alu instid0(VALU_DEP_2) | instskip(SKIP_1) | instid1(VALU_DEP_2)
	v_cmp_lt_u32_e64 s13, 0xffffff, v147
	v_sub_nc_u32_e32 v84, v148, v149
	v_cndmask_b32_e64 v148, 0, 1, s13
	s_delay_alu instid0(VALU_DEP_2) | instskip(NEXT) | instid1(VALU_DEP_2)
	v_add_co_ci_u32_e64 v84, s13, 0, v84, s13
	v_lshrrev_b32_e32 v147, v148, v147
; %bb.1195:                             ;   in Loop: Header=BB4_1167 Depth=4
	s_and_not1_saveexec_b32 s13, s14
; %bb.1196:                             ;   in Loop: Header=BB4_1167 Depth=4
	s_delay_alu instid0(VALU_DEP_1)
	v_bfe_u32 v84, v147, 23, 1
; %bb.1197:                             ;   in Loop: Header=BB4_1167 Depth=4
	s_or_b32 exec_lo, exec_lo, s13
	v_lshrrev_b32_e32 v147, 20, v147
	s_delay_alu instid0(VALU_DEP_2) | instskip(SKIP_2) | instid1(VALU_DEP_3)
	v_cmp_gt_i32_e64 s13, 16, v84
	v_lshrrev_b32_e32 v85, 24, v85
	v_min_i32_e32 v148, 15, v84
	v_cndmask_b32_e64 v147, 7, v147, s13
	s_delay_alu instid0(VALU_DEP_3) | instskip(NEXT) | instid1(VALU_DEP_3)
	v_and_b32_e32 v85, 0x80, v85
	v_lshlrev_b32_e32 v148, 3, v148
	s_delay_alu instid0(VALU_DEP_3) | instskip(SKIP_1) | instid1(VALU_DEP_2)
	v_and_b32_e32 v149, 7, v147
	v_or_b32_e32 v84, v84, v147
	v_or3_b32 v85, v148, v85, v149
	s_delay_alu instid0(VALU_DEP_2) | instskip(NEXT) | instid1(VALU_DEP_1)
	v_cmp_ne_u32_e64 s13, 0, v84
	v_cndmask_b32_e64 v84, 0, v85, s13
.LBB4_1198:                             ;   in Loop: Header=BB4_1167 Depth=4
	s_or_b32 exec_lo, exec_lo, s35
.LBB4_1199:                             ;   in Loop: Header=BB4_1167 Depth=4
	s_delay_alu instid0(SALU_CYCLE_1) | instskip(SKIP_3) | instid1(VALU_DEP_1)
	s_or_b32 exec_lo, exec_lo, s29
	v_lshrrev_b32_e32 v147, 16, v12
	s_mov_b32 s14, 0
	s_mov_b32 s35, exec_lo
                                        ; implicit-def: $sgpr29
	v_and_b32_e32 v148, 0xff, v147
	s_delay_alu instid0(VALU_DEP_1)
	v_cmpx_lt_i16_e64 0x7f, v148
	s_xor_b32 s35, exec_lo, s35
	s_cbranch_execnz .LBB4_1437
; %bb.1200:                             ;   in Loop: Header=BB4_1167 Depth=4
	s_or_saveexec_b32 s35, s35
	v_mov_b32_e32 v85, s29
	s_xor_b32 exec_lo, exec_lo, s35
	s_cbranch_execnz .LBB4_1440
.LBB4_1201:                             ;   in Loop: Header=BB4_1167 Depth=4
	s_or_b32 exec_lo, exec_lo, s35
	s_and_saveexec_b32 s29, s14
	s_cbranch_execz .LBB4_1203
.LBB4_1202:                             ;   in Loop: Header=BB4_1167 Depth=4
	v_bfe_u32 v85, v12, 16, 3
	v_lshlrev_b32_e32 v150, 8, v12
	s_delay_alu instid0(VALU_DEP_2) | instskip(NEXT) | instid1(VALU_DEP_1)
	v_clz_i32_u32_e32 v148, v85
	v_min_u32_e32 v148, 32, v148
	s_delay_alu instid0(VALU_DEP_1) | instskip(SKIP_1) | instid1(VALU_DEP_2)
	v_subrev_nc_u32_e32 v149, 28, v148
	v_sub_nc_u32_e32 v148, 29, v148
	v_lshlrev_b32_e32 v147, v149, v147
	v_bfe_u32 v149, v12, 19, 4
	s_delay_alu instid0(VALU_DEP_2) | instskip(NEXT) | instid1(VALU_DEP_2)
	v_and_b32_e32 v147, 7, v147
	v_cmp_eq_u32_e64 s13, 0, v149
	s_delay_alu instid0(VALU_DEP_1) | instskip(NEXT) | instid1(VALU_DEP_3)
	v_cndmask_b32_e64 v148, v149, v148, s13
	v_cndmask_b32_e64 v85, v85, v147, s13
	v_and_b32_e32 v147, 0x80000000, v150
	s_delay_alu instid0(VALU_DEP_3) | instskip(NEXT) | instid1(VALU_DEP_3)
	v_lshl_add_u32 v148, v148, 23, 0x3b800000
	v_lshlrev_b32_e32 v85, 20, v85
	s_delay_alu instid0(VALU_DEP_1)
	v_or3_b32 v85, v147, v148, v85
.LBB4_1203:                             ;   in Loop: Header=BB4_1167 Depth=4
	s_or_b32 exec_lo, exec_lo, s29
	v_lshrrev_b32_e32 v147, 16, v8
	s_mov_b32 s14, 0
	s_mov_b32 s35, exec_lo
                                        ; implicit-def: $sgpr29
	s_delay_alu instid0(VALU_DEP_1) | instskip(NEXT) | instid1(VALU_DEP_1)
	v_and_b32_e32 v149, 0xff, v147
	v_cmpx_lt_i16_e64 0x7f, v149
	s_xor_b32 s35, exec_lo, s35
	s_cbranch_execnz .LBB4_1441
; %bb.1204:                             ;   in Loop: Header=BB4_1167 Depth=4
	s_or_saveexec_b32 s35, s35
	v_mov_b32_e32 v148, s29
	s_xor_b32 exec_lo, exec_lo, s35
	s_cbranch_execnz .LBB4_1444
.LBB4_1205:                             ;   in Loop: Header=BB4_1167 Depth=4
	s_or_b32 exec_lo, exec_lo, s35
	s_and_saveexec_b32 s29, s14
	s_cbranch_execz .LBB4_1207
.LBB4_1206:                             ;   in Loop: Header=BB4_1167 Depth=4
	v_bfe_u32 v148, v8, 16, 3
	v_lshlrev_b32_e32 v151, 8, v8
	s_delay_alu instid0(VALU_DEP_2) | instskip(NEXT) | instid1(VALU_DEP_1)
	v_clz_i32_u32_e32 v149, v148
	v_min_u32_e32 v149, 32, v149
	s_delay_alu instid0(VALU_DEP_1) | instskip(SKIP_1) | instid1(VALU_DEP_2)
	v_subrev_nc_u32_e32 v150, 28, v149
	v_sub_nc_u32_e32 v149, 29, v149
	v_lshlrev_b32_e32 v147, v150, v147
	v_bfe_u32 v150, v8, 19, 4
	s_delay_alu instid0(VALU_DEP_2) | instskip(NEXT) | instid1(VALU_DEP_2)
	v_and_b32_e32 v147, 7, v147
	v_cmp_eq_u32_e64 s13, 0, v150
	s_delay_alu instid0(VALU_DEP_1) | instskip(NEXT) | instid1(VALU_DEP_3)
	v_cndmask_b32_e64 v149, v150, v149, s13
	v_cndmask_b32_e64 v147, v148, v147, s13
	v_and_b32_e32 v148, 0x80000000, v151
	s_delay_alu instid0(VALU_DEP_3) | instskip(NEXT) | instid1(VALU_DEP_3)
	v_lshl_add_u32 v149, v149, 23, 0x3b800000
	v_lshlrev_b32_e32 v147, 20, v147
	s_delay_alu instid0(VALU_DEP_1)
	v_or3_b32 v148, v148, v149, v147
.LBB4_1207:                             ;   in Loop: Header=BB4_1167 Depth=4
	s_or_b32 exec_lo, exec_lo, s29
	s_delay_alu instid0(VALU_DEP_1) | instskip(NEXT) | instid1(VALU_DEP_1)
	v_add_f32_e32 v147, v85, v148
	v_and_b32_e32 v85, 0x7f800000, v147
	s_delay_alu instid0(VALU_DEP_1) | instskip(SKIP_1) | instid1(VALU_DEP_2)
	v_cmp_ne_u32_e64 s13, 0x7f800000, v85
	v_mov_b32_e32 v85, 0x80
	s_and_saveexec_b32 s29, s13
	s_cbranch_execz .LBB4_1215
; %bb.1208:                             ;   in Loop: Header=BB4_1167 Depth=4
	v_mov_b32_e32 v85, 0
	s_mov_b32 s35, exec_lo
	v_cmpx_ne_u32_e32 0, v147
	s_cbranch_execz .LBB4_1214
; %bb.1209:                             ;   in Loop: Header=BB4_1167 Depth=4
	v_bfe_u32 v85, v147, 23, 8
	v_and_b32_e32 v148, 0x7fffff, v147
	s_delay_alu instid0(VALU_DEP_2) | instskip(SKIP_1) | instid1(VALU_DEP_3)
	v_sub_nc_u32_e32 v149, 0x78, v85
	v_cmp_gt_u32_e64 s13, 0x79, v85
	v_or_b32_e32 v150, 0x800000, v148
	s_delay_alu instid0(VALU_DEP_2) | instskip(SKIP_2) | instid1(VALU_DEP_2)
	v_cndmask_b32_e64 v149, 0, v149, s13
	v_cmp_eq_u32_e64 s13, 0, v85
	v_add_nc_u32_e32 v85, 0xffffff89, v85
	v_cndmask_b32_e64 v149, v149, 0x77, s13
	v_cndmask_b32_e64 v148, v150, v148, s13
	s_delay_alu instid0(VALU_DEP_3) | instskip(NEXT) | instid1(VALU_DEP_3)
	v_cndmask_b32_e64 v85, v85, 0xffffff8a, s13
	v_lshl_add_u32 v150, 0x100000, v149, -1
	s_delay_alu instid0(VALU_DEP_3) | instskip(SKIP_1) | instid1(VALU_DEP_4)
	v_lshrrev_b32_e32 v151, v149, v148
	v_lshlrev_b32_e64 v161, v149, 0x80000
	v_add_nc_u32_e32 v149, v149, v85
	s_delay_alu instid0(VALU_DEP_4) | instskip(NEXT) | instid1(VALU_DEP_4)
	v_and_b32_e32 v148, v150, v148
	v_bfe_u32 v160, v151, 20, 1
	s_delay_alu instid0(VALU_DEP_2) | instskip(NEXT) | instid1(VALU_DEP_2)
	v_cmp_eq_u32_e64 s14, v148, v161
	v_add_nc_u32_e32 v150, -1, v160
	s_delay_alu instid0(VALU_DEP_1) | instskip(SKIP_2) | instid1(VALU_DEP_2)
	v_cndmask_b32_e64 v148, 0, v150, s14
	v_lshrrev_b32_e32 v150, 23, v151
	s_mov_b32 s14, exec_lo
	v_add_nc_u32_e32 v148, v148, v151
	s_delay_alu instid0(VALU_DEP_2) | instskip(NEXT) | instid1(VALU_DEP_2)
	v_xor_b32_e32 v150, 1, v150
	v_and_b32_e32 v85, 0xfffff, v148
	s_delay_alu instid0(VALU_DEP_1) | instskip(NEXT) | instid1(VALU_DEP_3)
	v_add_nc_u32_e32 v148, v85, v151
                                        ; implicit-def: $vgpr85
	v_cmpx_ne_u32_e64 v149, v150
	s_xor_b32 s14, exec_lo, s14
; %bb.1210:                             ;   in Loop: Header=BB4_1167 Depth=4
	s_delay_alu instid0(VALU_DEP_2) | instskip(SKIP_1) | instid1(VALU_DEP_2)
	v_cmp_lt_u32_e64 s13, 0xffffff, v148
	v_sub_nc_u32_e32 v85, v149, v150
	v_cndmask_b32_e64 v149, 0, 1, s13
	s_delay_alu instid0(VALU_DEP_2) | instskip(NEXT) | instid1(VALU_DEP_2)
	v_add_co_ci_u32_e64 v85, s13, 0, v85, s13
	v_lshrrev_b32_e32 v148, v149, v148
; %bb.1211:                             ;   in Loop: Header=BB4_1167 Depth=4
	s_and_not1_saveexec_b32 s13, s14
; %bb.1212:                             ;   in Loop: Header=BB4_1167 Depth=4
	s_delay_alu instid0(VALU_DEP_1)
	v_bfe_u32 v85, v148, 23, 1
; %bb.1213:                             ;   in Loop: Header=BB4_1167 Depth=4
	s_or_b32 exec_lo, exec_lo, s13
	v_lshrrev_b32_e32 v148, 20, v148
	s_delay_alu instid0(VALU_DEP_2) | instskip(SKIP_2) | instid1(VALU_DEP_3)
	v_cmp_gt_i32_e64 s13, 16, v85
	v_lshrrev_b32_e32 v147, 24, v147
	v_min_i32_e32 v149, 15, v85
	v_cndmask_b32_e64 v148, 7, v148, s13
	s_delay_alu instid0(VALU_DEP_3) | instskip(NEXT) | instid1(VALU_DEP_3)
	v_and_b32_e32 v147, 0x80, v147
	v_lshlrev_b32_e32 v149, 3, v149
	s_delay_alu instid0(VALU_DEP_3) | instskip(SKIP_1) | instid1(VALU_DEP_2)
	v_and_b32_e32 v150, 7, v148
	v_or_b32_e32 v85, v85, v148
	v_or3_b32 v147, v149, v147, v150
	s_delay_alu instid0(VALU_DEP_2) | instskip(NEXT) | instid1(VALU_DEP_1)
	v_cmp_ne_u32_e64 s13, 0, v85
	v_cndmask_b32_e64 v85, 0, v147, s13
.LBB4_1214:                             ;   in Loop: Header=BB4_1167 Depth=4
	s_or_b32 exec_lo, exec_lo, s35
.LBB4_1215:                             ;   in Loop: Header=BB4_1167 Depth=4
	s_delay_alu instid0(SALU_CYCLE_1) | instskip(SKIP_3) | instid1(VALU_DEP_1)
	s_or_b32 exec_lo, exec_lo, s29
	v_lshrrev_b32_e32 v148, 24, v12
	s_mov_b32 s14, 0
	s_mov_b32 s35, exec_lo
                                        ; implicit-def: $sgpr29
	v_cmpx_lt_i16_e64 0x7f, v148
	s_xor_b32 s35, exec_lo, s35
	s_cbranch_execnz .LBB4_1445
; %bb.1216:                             ;   in Loop: Header=BB4_1167 Depth=4
	s_or_saveexec_b32 s35, s35
	v_mov_b32_e32 v147, s29
	s_xor_b32 exec_lo, exec_lo, s35
	s_cbranch_execnz .LBB4_1448
.LBB4_1217:                             ;   in Loop: Header=BB4_1167 Depth=4
	s_or_b32 exec_lo, exec_lo, s35
	s_and_saveexec_b32 s29, s14
	s_cbranch_execz .LBB4_1219
.LBB4_1218:                             ;   in Loop: Header=BB4_1167 Depth=4
	v_bfe_u32 v147, v12, 24, 3
	s_delay_alu instid0(VALU_DEP_1) | instskip(NEXT) | instid1(VALU_DEP_1)
	v_clz_i32_u32_e32 v149, v147
	v_min_u32_e32 v149, 32, v149
	s_delay_alu instid0(VALU_DEP_1) | instskip(SKIP_1) | instid1(VALU_DEP_2)
	v_subrev_nc_u32_e32 v150, 28, v149
	v_sub_nc_u32_e32 v149, 29, v149
	v_lshlrev_b32_e32 v148, v150, v148
	v_bfe_u32 v150, v12, 27, 4
	v_and_b32_e32 v12, 0x80000000, v12
	s_delay_alu instid0(VALU_DEP_3) | instskip(NEXT) | instid1(VALU_DEP_3)
	v_and_b32_e32 v148, 7, v148
	v_cmp_eq_u32_e64 s13, 0, v150
	s_delay_alu instid0(VALU_DEP_1) | instskip(NEXT) | instid1(VALU_DEP_3)
	v_cndmask_b32_e64 v149, v150, v149, s13
	v_cndmask_b32_e64 v147, v147, v148, s13
	s_delay_alu instid0(VALU_DEP_2) | instskip(NEXT) | instid1(VALU_DEP_2)
	v_lshl_add_u32 v148, v149, 23, 0x3b800000
	v_lshlrev_b32_e32 v147, 20, v147
	s_delay_alu instid0(VALU_DEP_1)
	v_or3_b32 v147, v12, v148, v147
.LBB4_1219:                             ;   in Loop: Header=BB4_1167 Depth=4
	s_or_b32 exec_lo, exec_lo, s29
	v_lshrrev_b32_e32 v12, 24, v8
	s_mov_b32 s14, 0
	s_mov_b32 s35, exec_lo
                                        ; implicit-def: $sgpr29
	s_delay_alu instid0(VALU_DEP_1)
	v_cmpx_lt_i16_e32 0x7f, v12
	s_xor_b32 s35, exec_lo, s35
	s_cbranch_execnz .LBB4_1449
; %bb.1220:                             ;   in Loop: Header=BB4_1167 Depth=4
	s_or_saveexec_b32 s35, s35
	v_mov_b32_e32 v148, s29
	s_xor_b32 exec_lo, exec_lo, s35
	s_cbranch_execnz .LBB4_1452
.LBB4_1221:                             ;   in Loop: Header=BB4_1167 Depth=4
	s_or_b32 exec_lo, exec_lo, s35
	s_and_saveexec_b32 s29, s14
	s_cbranch_execz .LBB4_1223
.LBB4_1222:                             ;   in Loop: Header=BB4_1167 Depth=4
	v_bfe_u32 v148, v8, 24, 3
	s_delay_alu instid0(VALU_DEP_1) | instskip(NEXT) | instid1(VALU_DEP_1)
	v_clz_i32_u32_e32 v149, v148
	v_min_u32_e32 v149, 32, v149
	s_delay_alu instid0(VALU_DEP_1) | instskip(SKIP_1) | instid1(VALU_DEP_2)
	v_subrev_nc_u32_e32 v150, 28, v149
	v_sub_nc_u32_e32 v149, 29, v149
	v_lshlrev_b32_e32 v12, v150, v12
	v_bfe_u32 v150, v8, 27, 4
	v_and_b32_e32 v8, 0x80000000, v8
	s_delay_alu instid0(VALU_DEP_3) | instskip(NEXT) | instid1(VALU_DEP_3)
	v_and_b32_e32 v12, 7, v12
	v_cmp_eq_u32_e64 s13, 0, v150
	s_delay_alu instid0(VALU_DEP_1) | instskip(NEXT) | instid1(VALU_DEP_3)
	v_cndmask_b32_e64 v149, v150, v149, s13
	v_cndmask_b32_e64 v12, v148, v12, s13
	s_delay_alu instid0(VALU_DEP_2) | instskip(NEXT) | instid1(VALU_DEP_2)
	v_lshl_add_u32 v148, v149, 23, 0x3b800000
	v_lshlrev_b32_e32 v12, 20, v12
	s_delay_alu instid0(VALU_DEP_1)
	v_or3_b32 v148, v8, v148, v12
.LBB4_1223:                             ;   in Loop: Header=BB4_1167 Depth=4
	s_or_b32 exec_lo, exec_lo, s29
	s_delay_alu instid0(VALU_DEP_1) | instskip(NEXT) | instid1(VALU_DEP_1)
	v_add_f32_e32 v12, v147, v148
	v_and_b32_e32 v8, 0x7f800000, v12
	s_delay_alu instid0(VALU_DEP_1) | instskip(SKIP_1) | instid1(VALU_DEP_2)
	v_cmp_ne_u32_e64 s13, 0x7f800000, v8
	v_mov_b32_e32 v8, 0x80
	s_and_saveexec_b32 s29, s13
	s_cbranch_execz .LBB4_1231
; %bb.1224:                             ;   in Loop: Header=BB4_1167 Depth=4
	v_mov_b32_e32 v8, 0
	s_mov_b32 s35, exec_lo
	v_cmpx_ne_u32_e32 0, v12
	s_cbranch_execz .LBB4_1230
; %bb.1225:                             ;   in Loop: Header=BB4_1167 Depth=4
	v_bfe_u32 v8, v12, 23, 8
	v_and_b32_e32 v147, 0x7fffff, v12
	s_delay_alu instid0(VALU_DEP_2) | instskip(SKIP_1) | instid1(VALU_DEP_3)
	v_sub_nc_u32_e32 v148, 0x78, v8
	v_cmp_gt_u32_e64 s13, 0x79, v8
	v_or_b32_e32 v149, 0x800000, v147
	s_delay_alu instid0(VALU_DEP_2) | instskip(SKIP_2) | instid1(VALU_DEP_2)
	v_cndmask_b32_e64 v148, 0, v148, s13
	v_cmp_eq_u32_e64 s13, 0, v8
	v_add_nc_u32_e32 v8, 0xffffff89, v8
	v_cndmask_b32_e64 v148, v148, 0x77, s13
	v_cndmask_b32_e64 v147, v149, v147, s13
	s_delay_alu instid0(VALU_DEP_3) | instskip(NEXT) | instid1(VALU_DEP_3)
	v_cndmask_b32_e64 v8, v8, 0xffffff8a, s13
	v_lshl_add_u32 v149, 0x100000, v148, -1
	s_delay_alu instid0(VALU_DEP_3) | instskip(SKIP_1) | instid1(VALU_DEP_4)
	v_lshrrev_b32_e32 v150, v148, v147
	v_lshlrev_b32_e64 v160, v148, 0x80000
	v_add_nc_u32_e32 v148, v148, v8
	s_delay_alu instid0(VALU_DEP_4) | instskip(NEXT) | instid1(VALU_DEP_4)
	v_and_b32_e32 v147, v149, v147
	v_bfe_u32 v151, v150, 20, 1
	s_delay_alu instid0(VALU_DEP_2) | instskip(NEXT) | instid1(VALU_DEP_2)
	v_cmp_eq_u32_e64 s14, v147, v160
	v_add_nc_u32_e32 v149, -1, v151
	s_delay_alu instid0(VALU_DEP_1) | instskip(SKIP_2) | instid1(VALU_DEP_2)
	v_cndmask_b32_e64 v147, 0, v149, s14
	v_lshrrev_b32_e32 v149, 23, v150
	s_mov_b32 s14, exec_lo
	v_add_nc_u32_e32 v147, v147, v150
	s_delay_alu instid0(VALU_DEP_2) | instskip(NEXT) | instid1(VALU_DEP_2)
	v_xor_b32_e32 v149, 1, v149
	v_and_b32_e32 v8, 0xfffff, v147
	s_delay_alu instid0(VALU_DEP_1) | instskip(NEXT) | instid1(VALU_DEP_3)
	v_add_nc_u32_e32 v147, v8, v150
                                        ; implicit-def: $vgpr8
	v_cmpx_ne_u32_e64 v148, v149
	s_xor_b32 s14, exec_lo, s14
; %bb.1226:                             ;   in Loop: Header=BB4_1167 Depth=4
	s_delay_alu instid0(VALU_DEP_2) | instskip(SKIP_1) | instid1(VALU_DEP_2)
	v_cmp_lt_u32_e64 s13, 0xffffff, v147
	v_sub_nc_u32_e32 v8, v148, v149
	v_cndmask_b32_e64 v148, 0, 1, s13
	s_delay_alu instid0(VALU_DEP_2) | instskip(NEXT) | instid1(VALU_DEP_2)
	v_add_co_ci_u32_e64 v8, s13, 0, v8, s13
	v_lshrrev_b32_e32 v147, v148, v147
; %bb.1227:                             ;   in Loop: Header=BB4_1167 Depth=4
	s_and_not1_saveexec_b32 s13, s14
; %bb.1228:                             ;   in Loop: Header=BB4_1167 Depth=4
	s_delay_alu instid0(VALU_DEP_1)
	v_bfe_u32 v8, v147, 23, 1
; %bb.1229:                             ;   in Loop: Header=BB4_1167 Depth=4
	s_or_b32 exec_lo, exec_lo, s13
	v_lshrrev_b32_e32 v147, 20, v147
	s_delay_alu instid0(VALU_DEP_2) | instskip(SKIP_2) | instid1(VALU_DEP_3)
	v_cmp_gt_i32_e64 s13, 16, v8
	v_lshrrev_b32_e32 v12, 24, v12
	v_min_i32_e32 v148, 15, v8
	v_cndmask_b32_e64 v147, 7, v147, s13
	s_delay_alu instid0(VALU_DEP_3) | instskip(NEXT) | instid1(VALU_DEP_3)
	v_and_b32_e32 v12, 0x80, v12
	v_lshlrev_b32_e32 v148, 3, v148
	s_delay_alu instid0(VALU_DEP_3) | instskip(SKIP_1) | instid1(VALU_DEP_2)
	v_and_b32_e32 v149, 7, v147
	v_or_b32_e32 v8, v8, v147
	v_or3_b32 v12, v148, v12, v149
	s_delay_alu instid0(VALU_DEP_2) | instskip(NEXT) | instid1(VALU_DEP_1)
	v_cmp_ne_u32_e64 s13, 0, v8
	v_cndmask_b32_e64 v8, 0, v12, s13
.LBB4_1230:                             ;   in Loop: Header=BB4_1167 Depth=4
	s_or_b32 exec_lo, exec_lo, s35
.LBB4_1231:                             ;   in Loop: Header=BB4_1167 Depth=4
	s_delay_alu instid0(SALU_CYCLE_1) | instskip(SKIP_3) | instid1(VALU_DEP_1)
	s_or_b32 exec_lo, exec_lo, s29
	v_and_b32_e32 v147, 0xff, v13
	s_mov_b32 s14, 0
	s_mov_b32 s35, exec_lo
                                        ; implicit-def: $sgpr29
	v_cmpx_lt_i16_e64 0x7f, v147
	s_xor_b32 s35, exec_lo, s35
	s_cbranch_execnz .LBB4_1453
; %bb.1232:                             ;   in Loop: Header=BB4_1167 Depth=4
	s_or_saveexec_b32 s35, s35
	v_mov_b32_e32 v12, s29
	s_xor_b32 exec_lo, exec_lo, s35
	s_cbranch_execnz .LBB4_1456
.LBB4_1233:                             ;   in Loop: Header=BB4_1167 Depth=4
	s_or_b32 exec_lo, exec_lo, s35
	s_and_saveexec_b32 s29, s14
	s_cbranch_execz .LBB4_1235
.LBB4_1234:                             ;   in Loop: Header=BB4_1167 Depth=4
	v_and_b32_e32 v12, 7, v13
	v_bfe_u32 v149, v13, 3, 4
	v_lshlrev_b32_e32 v150, 24, v13
	s_delay_alu instid0(VALU_DEP_3) | instskip(NEXT) | instid1(VALU_DEP_3)
	v_clz_i32_u32_e32 v147, v12
	v_cmp_eq_u32_e64 s13, 0, v149
	s_delay_alu instid0(VALU_DEP_2) | instskip(NEXT) | instid1(VALU_DEP_1)
	v_min_u32_e32 v147, 32, v147
	v_subrev_nc_u32_e32 v148, 28, v147
	v_sub_nc_u32_e32 v147, 29, v147
	s_delay_alu instid0(VALU_DEP_2) | instskip(NEXT) | instid1(VALU_DEP_2)
	v_lshlrev_b32_e32 v148, v148, v13
	v_cndmask_b32_e64 v147, v149, v147, s13
	s_delay_alu instid0(VALU_DEP_2) | instskip(NEXT) | instid1(VALU_DEP_2)
	v_and_b32_e32 v148, 7, v148
	v_lshl_add_u32 v147, v147, 23, 0x3b800000
	s_delay_alu instid0(VALU_DEP_2) | instskip(SKIP_1) | instid1(VALU_DEP_2)
	v_cndmask_b32_e64 v12, v12, v148, s13
	v_and_b32_e32 v148, 0x80000000, v150
	v_lshlrev_b32_e32 v12, 20, v12
	s_delay_alu instid0(VALU_DEP_1)
	v_or3_b32 v12, v148, v147, v12
.LBB4_1235:                             ;   in Loop: Header=BB4_1167 Depth=4
	s_or_b32 exec_lo, exec_lo, s29
	v_and_b32_e32 v148, 0xff, v9
	s_mov_b32 s14, 0
	s_mov_b32 s35, exec_lo
                                        ; implicit-def: $sgpr29
	s_delay_alu instid0(VALU_DEP_1)
	v_cmpx_lt_i16_e64 0x7f, v148
	s_xor_b32 s35, exec_lo, s35
	s_cbranch_execnz .LBB4_1457
; %bb.1236:                             ;   in Loop: Header=BB4_1167 Depth=4
	s_or_saveexec_b32 s35, s35
	v_mov_b32_e32 v147, s29
	s_xor_b32 exec_lo, exec_lo, s35
	s_cbranch_execnz .LBB4_1460
.LBB4_1237:                             ;   in Loop: Header=BB4_1167 Depth=4
	s_or_b32 exec_lo, exec_lo, s35
	s_and_saveexec_b32 s29, s14
	s_cbranch_execz .LBB4_1239
.LBB4_1238:                             ;   in Loop: Header=BB4_1167 Depth=4
	v_and_b32_e32 v147, 7, v9
	v_bfe_u32 v150, v9, 3, 4
	v_lshlrev_b32_e32 v151, 24, v9
	s_delay_alu instid0(VALU_DEP_3) | instskip(NEXT) | instid1(VALU_DEP_3)
	v_clz_i32_u32_e32 v148, v147
	v_cmp_eq_u32_e64 s13, 0, v150
	s_delay_alu instid0(VALU_DEP_2) | instskip(NEXT) | instid1(VALU_DEP_1)
	v_min_u32_e32 v148, 32, v148
	v_subrev_nc_u32_e32 v149, 28, v148
	v_sub_nc_u32_e32 v148, 29, v148
	s_delay_alu instid0(VALU_DEP_2) | instskip(NEXT) | instid1(VALU_DEP_2)
	v_lshlrev_b32_e32 v149, v149, v9
	v_cndmask_b32_e64 v148, v150, v148, s13
	s_delay_alu instid0(VALU_DEP_2) | instskip(NEXT) | instid1(VALU_DEP_2)
	v_and_b32_e32 v149, 7, v149
	v_lshl_add_u32 v148, v148, 23, 0x3b800000
	s_delay_alu instid0(VALU_DEP_2) | instskip(SKIP_1) | instid1(VALU_DEP_2)
	v_cndmask_b32_e64 v147, v147, v149, s13
	v_and_b32_e32 v149, 0x80000000, v151
	v_lshlrev_b32_e32 v147, 20, v147
	s_delay_alu instid0(VALU_DEP_1)
	v_or3_b32 v147, v149, v148, v147
.LBB4_1239:                             ;   in Loop: Header=BB4_1167 Depth=4
	s_or_b32 exec_lo, exec_lo, s29
	s_delay_alu instid0(VALU_DEP_1) | instskip(NEXT) | instid1(VALU_DEP_1)
	v_add_f32_e32 v147, v12, v147
	v_and_b32_e32 v12, 0x7f800000, v147
	s_delay_alu instid0(VALU_DEP_1) | instskip(SKIP_1) | instid1(VALU_DEP_2)
	v_cmp_ne_u32_e64 s13, 0x7f800000, v12
	v_mov_b32_e32 v12, 0x80
	s_and_saveexec_b32 s29, s13
	s_cbranch_execz .LBB4_1247
; %bb.1240:                             ;   in Loop: Header=BB4_1167 Depth=4
	v_mov_b32_e32 v12, 0
	s_mov_b32 s35, exec_lo
	v_cmpx_ne_u32_e32 0, v147
	s_cbranch_execz .LBB4_1246
; %bb.1241:                             ;   in Loop: Header=BB4_1167 Depth=4
	v_bfe_u32 v12, v147, 23, 8
	v_and_b32_e32 v148, 0x7fffff, v147
	s_delay_alu instid0(VALU_DEP_2) | instskip(SKIP_1) | instid1(VALU_DEP_3)
	v_sub_nc_u32_e32 v149, 0x78, v12
	v_cmp_gt_u32_e64 s13, 0x79, v12
	v_or_b32_e32 v150, 0x800000, v148
	s_delay_alu instid0(VALU_DEP_2) | instskip(SKIP_2) | instid1(VALU_DEP_2)
	v_cndmask_b32_e64 v149, 0, v149, s13
	v_cmp_eq_u32_e64 s13, 0, v12
	v_add_nc_u32_e32 v12, 0xffffff89, v12
	v_cndmask_b32_e64 v149, v149, 0x77, s13
	v_cndmask_b32_e64 v148, v150, v148, s13
	s_delay_alu instid0(VALU_DEP_3) | instskip(NEXT) | instid1(VALU_DEP_3)
	v_cndmask_b32_e64 v12, v12, 0xffffff8a, s13
	v_lshl_add_u32 v150, 0x100000, v149, -1
	s_delay_alu instid0(VALU_DEP_3) | instskip(SKIP_1) | instid1(VALU_DEP_4)
	v_lshrrev_b32_e32 v151, v149, v148
	v_lshlrev_b32_e64 v161, v149, 0x80000
	v_add_nc_u32_e32 v149, v149, v12
	s_delay_alu instid0(VALU_DEP_4) | instskip(NEXT) | instid1(VALU_DEP_4)
	v_and_b32_e32 v148, v150, v148
	v_bfe_u32 v160, v151, 20, 1
	s_delay_alu instid0(VALU_DEP_2) | instskip(NEXT) | instid1(VALU_DEP_2)
	v_cmp_eq_u32_e64 s14, v148, v161
	v_add_nc_u32_e32 v150, -1, v160
	s_delay_alu instid0(VALU_DEP_1) | instskip(SKIP_2) | instid1(VALU_DEP_2)
	v_cndmask_b32_e64 v148, 0, v150, s14
	v_lshrrev_b32_e32 v150, 23, v151
	s_mov_b32 s14, exec_lo
	v_add_nc_u32_e32 v148, v148, v151
	s_delay_alu instid0(VALU_DEP_2) | instskip(NEXT) | instid1(VALU_DEP_2)
	v_xor_b32_e32 v150, 1, v150
	v_and_b32_e32 v12, 0xfffff, v148
	s_delay_alu instid0(VALU_DEP_1) | instskip(NEXT) | instid1(VALU_DEP_3)
	v_add_nc_u32_e32 v148, v12, v151
                                        ; implicit-def: $vgpr12
	v_cmpx_ne_u32_e64 v149, v150
	s_xor_b32 s14, exec_lo, s14
; %bb.1242:                             ;   in Loop: Header=BB4_1167 Depth=4
	s_delay_alu instid0(VALU_DEP_2) | instskip(SKIP_1) | instid1(VALU_DEP_2)
	v_cmp_lt_u32_e64 s13, 0xffffff, v148
	v_sub_nc_u32_e32 v12, v149, v150
	v_cndmask_b32_e64 v149, 0, 1, s13
	s_delay_alu instid0(VALU_DEP_2) | instskip(NEXT) | instid1(VALU_DEP_2)
	v_add_co_ci_u32_e64 v12, s13, 0, v12, s13
	v_lshrrev_b32_e32 v148, v149, v148
; %bb.1243:                             ;   in Loop: Header=BB4_1167 Depth=4
	s_and_not1_saveexec_b32 s13, s14
; %bb.1244:                             ;   in Loop: Header=BB4_1167 Depth=4
	s_delay_alu instid0(VALU_DEP_1)
	v_bfe_u32 v12, v148, 23, 1
; %bb.1245:                             ;   in Loop: Header=BB4_1167 Depth=4
	s_or_b32 exec_lo, exec_lo, s13
	v_lshrrev_b32_e32 v148, 20, v148
	s_delay_alu instid0(VALU_DEP_2) | instskip(SKIP_2) | instid1(VALU_DEP_3)
	v_cmp_gt_i32_e64 s13, 16, v12
	v_lshrrev_b32_e32 v147, 24, v147
	v_min_i32_e32 v149, 15, v12
	v_cndmask_b32_e64 v148, 7, v148, s13
	s_delay_alu instid0(VALU_DEP_3) | instskip(NEXT) | instid1(VALU_DEP_3)
	v_and_b32_e32 v147, 0x80, v147
	v_lshlrev_b32_e32 v149, 3, v149
	s_delay_alu instid0(VALU_DEP_3) | instskip(SKIP_1) | instid1(VALU_DEP_2)
	v_and_b32_e32 v150, 7, v148
	v_or_b32_e32 v12, v12, v148
	v_or3_b32 v147, v149, v147, v150
	s_delay_alu instid0(VALU_DEP_2) | instskip(NEXT) | instid1(VALU_DEP_1)
	v_cmp_ne_u32_e64 s13, 0, v12
	v_cndmask_b32_e64 v12, 0, v147, s13
.LBB4_1246:                             ;   in Loop: Header=BB4_1167 Depth=4
	s_or_b32 exec_lo, exec_lo, s35
.LBB4_1247:                             ;   in Loop: Header=BB4_1167 Depth=4
	s_delay_alu instid0(SALU_CYCLE_1) | instskip(SKIP_3) | instid1(VALU_DEP_1)
	s_or_b32 exec_lo, exec_lo, s29
	v_lshrrev_b16 v148, 8, v13
	s_mov_b32 s14, 0
	s_mov_b32 s35, exec_lo
                                        ; implicit-def: $sgpr29
	v_cmpx_lt_i16_e64 0x7f, v148
	s_xor_b32 s35, exec_lo, s35
	s_cbranch_execnz .LBB4_1461
; %bb.1248:                             ;   in Loop: Header=BB4_1167 Depth=4
	s_or_saveexec_b32 s35, s35
	v_mov_b32_e32 v147, s29
	s_xor_b32 exec_lo, exec_lo, s35
	s_cbranch_execnz .LBB4_1464
.LBB4_1249:                             ;   in Loop: Header=BB4_1167 Depth=4
	s_or_b32 exec_lo, exec_lo, s35
	s_and_saveexec_b32 s29, s14
	s_cbranch_execz .LBB4_1251
.LBB4_1250:                             ;   in Loop: Header=BB4_1167 Depth=4
	v_and_b32_e32 v147, 0xffff, v148
	v_lshlrev_b32_e32 v148, 24, v148
	s_delay_alu instid0(VALU_DEP_2) | instskip(NEXT) | instid1(VALU_DEP_2)
	v_and_b32_e32 v149, 7, v147
	v_and_b32_e32 v148, 0x80000000, v148
	s_delay_alu instid0(VALU_DEP_2) | instskip(NEXT) | instid1(VALU_DEP_1)
	v_clz_i32_u32_e32 v150, v149
	v_min_u32_e32 v150, 32, v150
	s_delay_alu instid0(VALU_DEP_1) | instskip(SKIP_1) | instid1(VALU_DEP_2)
	v_subrev_nc_u32_e32 v151, 28, v150
	v_sub_nc_u32_e32 v150, 29, v150
	v_lshlrev_b32_e32 v151, v151, v147
	v_bfe_u32 v147, v147, 3, 4
	s_delay_alu instid0(VALU_DEP_2) | instskip(NEXT) | instid1(VALU_DEP_2)
	v_and_b32_e32 v151, 7, v151
	v_cmp_eq_u32_e64 s13, 0, v147
	s_delay_alu instid0(VALU_DEP_1) | instskip(NEXT) | instid1(VALU_DEP_3)
	v_cndmask_b32_e64 v147, v147, v150, s13
	v_cndmask_b32_e64 v149, v149, v151, s13
	s_delay_alu instid0(VALU_DEP_2) | instskip(NEXT) | instid1(VALU_DEP_2)
	v_lshl_add_u32 v147, v147, 23, 0x3b800000
	v_lshlrev_b32_e32 v149, 20, v149
	s_delay_alu instid0(VALU_DEP_1)
	v_or3_b32 v147, v148, v147, v149
.LBB4_1251:                             ;   in Loop: Header=BB4_1167 Depth=4
	s_or_b32 exec_lo, exec_lo, s29
	v_lshrrev_b16 v148, 8, v9
	s_mov_b32 s14, 0
	s_mov_b32 s35, exec_lo
                                        ; implicit-def: $sgpr29
	s_delay_alu instid0(VALU_DEP_1)
	v_cmpx_lt_i16_e64 0x7f, v148
	s_xor_b32 s35, exec_lo, s35
	s_cbranch_execnz .LBB4_1465
; %bb.1252:                             ;   in Loop: Header=BB4_1167 Depth=4
	s_or_saveexec_b32 s35, s35
	v_mov_b32_e32 v149, s29
	s_xor_b32 exec_lo, exec_lo, s35
	s_cbranch_execnz .LBB4_1468
.LBB4_1253:                             ;   in Loop: Header=BB4_1167 Depth=4
	s_or_b32 exec_lo, exec_lo, s35
	s_and_saveexec_b32 s29, s14
	s_cbranch_execz .LBB4_1255
.LBB4_1254:                             ;   in Loop: Header=BB4_1167 Depth=4
	v_and_b32_e32 v149, 0xffff, v148
	v_lshlrev_b32_e32 v148, 24, v148
	s_delay_alu instid0(VALU_DEP_2) | instskip(NEXT) | instid1(VALU_DEP_2)
	v_and_b32_e32 v150, 7, v149
	v_and_b32_e32 v148, 0x80000000, v148
	s_delay_alu instid0(VALU_DEP_2) | instskip(NEXT) | instid1(VALU_DEP_1)
	v_clz_i32_u32_e32 v151, v150
	v_min_u32_e32 v151, 32, v151
	s_delay_alu instid0(VALU_DEP_1) | instskip(SKIP_1) | instid1(VALU_DEP_2)
	v_subrev_nc_u32_e32 v160, 28, v151
	v_sub_nc_u32_e32 v151, 29, v151
	v_lshlrev_b32_e32 v160, v160, v149
	v_bfe_u32 v149, v149, 3, 4
	s_delay_alu instid0(VALU_DEP_2) | instskip(NEXT) | instid1(VALU_DEP_2)
	v_and_b32_e32 v160, 7, v160
	v_cmp_eq_u32_e64 s13, 0, v149
	s_delay_alu instid0(VALU_DEP_1) | instskip(NEXT) | instid1(VALU_DEP_3)
	v_cndmask_b32_e64 v149, v149, v151, s13
	v_cndmask_b32_e64 v150, v150, v160, s13
	s_delay_alu instid0(VALU_DEP_2) | instskip(NEXT) | instid1(VALU_DEP_2)
	v_lshl_add_u32 v149, v149, 23, 0x3b800000
	v_lshlrev_b32_e32 v150, 20, v150
	s_delay_alu instid0(VALU_DEP_1)
	v_or3_b32 v149, v148, v149, v150
.LBB4_1255:                             ;   in Loop: Header=BB4_1167 Depth=4
	s_or_b32 exec_lo, exec_lo, s29
	s_delay_alu instid0(VALU_DEP_1) | instskip(NEXT) | instid1(VALU_DEP_1)
	v_add_f32_e32 v148, v147, v149
	v_and_b32_e32 v147, 0x7f800000, v148
	s_delay_alu instid0(VALU_DEP_1) | instskip(SKIP_1) | instid1(VALU_DEP_2)
	v_cmp_ne_u32_e64 s13, 0x7f800000, v147
	v_mov_b32_e32 v147, 0x8000
	s_and_saveexec_b32 s29, s13
	s_cbranch_execz .LBB4_1263
; %bb.1256:                             ;   in Loop: Header=BB4_1167 Depth=4
	v_mov_b32_e32 v147, 0
	s_mov_b32 s35, exec_lo
	v_cmpx_ne_u32_e32 0, v148
	s_cbranch_execz .LBB4_1262
; %bb.1257:                             ;   in Loop: Header=BB4_1167 Depth=4
	v_bfe_u32 v147, v148, 23, 8
	v_and_b32_e32 v149, 0x7fffff, v148
	s_delay_alu instid0(VALU_DEP_2) | instskip(SKIP_1) | instid1(VALU_DEP_3)
	v_sub_nc_u32_e32 v150, 0x78, v147
	v_cmp_gt_u32_e64 s13, 0x79, v147
	v_or_b32_e32 v151, 0x800000, v149
	s_delay_alu instid0(VALU_DEP_2) | instskip(SKIP_2) | instid1(VALU_DEP_2)
	v_cndmask_b32_e64 v150, 0, v150, s13
	v_cmp_eq_u32_e64 s13, 0, v147
	v_add_nc_u32_e32 v147, 0xffffff89, v147
	v_cndmask_b32_e64 v150, v150, 0x77, s13
	v_cndmask_b32_e64 v149, v151, v149, s13
	s_delay_alu instid0(VALU_DEP_3) | instskip(NEXT) | instid1(VALU_DEP_3)
	v_cndmask_b32_e64 v147, v147, 0xffffff8a, s13
	v_lshl_add_u32 v151, 0x100000, v150, -1
	s_delay_alu instid0(VALU_DEP_3) | instskip(SKIP_1) | instid1(VALU_DEP_4)
	v_lshrrev_b32_e32 v160, v150, v149
	v_lshlrev_b32_e64 v162, v150, 0x80000
	v_add_nc_u32_e32 v150, v150, v147
	s_delay_alu instid0(VALU_DEP_4) | instskip(NEXT) | instid1(VALU_DEP_4)
	v_and_b32_e32 v149, v151, v149
	v_bfe_u32 v161, v160, 20, 1
	s_delay_alu instid0(VALU_DEP_2) | instskip(NEXT) | instid1(VALU_DEP_2)
	v_cmp_eq_u32_e64 s14, v149, v162
	v_add_nc_u32_e32 v151, -1, v161
	s_delay_alu instid0(VALU_DEP_1) | instskip(SKIP_2) | instid1(VALU_DEP_2)
	v_cndmask_b32_e64 v149, 0, v151, s14
	v_lshrrev_b32_e32 v151, 23, v160
	s_mov_b32 s14, exec_lo
	v_add_nc_u32_e32 v149, v149, v160
	s_delay_alu instid0(VALU_DEP_2) | instskip(NEXT) | instid1(VALU_DEP_2)
	v_xor_b32_e32 v151, 1, v151
	v_and_b32_e32 v147, 0xfffff, v149
	s_delay_alu instid0(VALU_DEP_1) | instskip(NEXT) | instid1(VALU_DEP_3)
	v_add_nc_u32_e32 v149, v147, v160
                                        ; implicit-def: $vgpr147
	v_cmpx_ne_u32_e64 v150, v151
	s_xor_b32 s14, exec_lo, s14
; %bb.1258:                             ;   in Loop: Header=BB4_1167 Depth=4
	s_delay_alu instid0(VALU_DEP_2) | instskip(SKIP_1) | instid1(VALU_DEP_2)
	v_cmp_lt_u32_e64 s13, 0xffffff, v149
	v_sub_nc_u32_e32 v147, v150, v151
	v_cndmask_b32_e64 v150, 0, 1, s13
	s_delay_alu instid0(VALU_DEP_2) | instskip(NEXT) | instid1(VALU_DEP_2)
	v_add_co_ci_u32_e64 v147, s13, 0, v147, s13
	v_lshrrev_b32_e32 v149, v150, v149
; %bb.1259:                             ;   in Loop: Header=BB4_1167 Depth=4
	s_and_not1_saveexec_b32 s13, s14
; %bb.1260:                             ;   in Loop: Header=BB4_1167 Depth=4
	s_delay_alu instid0(VALU_DEP_1)
	v_bfe_u32 v147, v149, 23, 1
; %bb.1261:                             ;   in Loop: Header=BB4_1167 Depth=4
	s_or_b32 exec_lo, exec_lo, s13
	v_lshrrev_b32_e32 v149, 20, v149
	s_delay_alu instid0(VALU_DEP_2) | instskip(SKIP_2) | instid1(VALU_DEP_3)
	v_min_i32_e32 v150, 15, v147
	v_cmp_gt_i32_e64 s13, 16, v147
	v_lshrrev_b32_e32 v148, 24, v148
	v_lshlrev_b32_e32 v150, 3, v150
	s_delay_alu instid0(VALU_DEP_3) | instskip(NEXT) | instid1(VALU_DEP_3)
	v_cndmask_b32_e64 v149, 7, v149, s13
	v_and_b32_e32 v148, 0x80, v148
	s_delay_alu instid0(VALU_DEP_3) | instskip(NEXT) | instid1(VALU_DEP_3)
	v_and_b32_e32 v150, 0xf8, v150
	v_and_b32_e32 v151, 7, v149
	v_or_b32_e32 v147, v147, v149
	s_delay_alu instid0(VALU_DEP_2) | instskip(NEXT) | instid1(VALU_DEP_2)
	v_or3_b32 v148, v148, v150, v151
	v_cmp_ne_u32_e64 s13, 0, v147
	s_delay_alu instid0(VALU_DEP_2) | instskip(NEXT) | instid1(VALU_DEP_1)
	v_lshlrev_b32_e32 v148, 8, v148
	v_cndmask_b32_e64 v147, 0, v148, s13
.LBB4_1262:                             ;   in Loop: Header=BB4_1167 Depth=4
	s_or_b32 exec_lo, exec_lo, s35
.LBB4_1263:                             ;   in Loop: Header=BB4_1167 Depth=4
	s_delay_alu instid0(SALU_CYCLE_1) | instskip(SKIP_3) | instid1(VALU_DEP_1)
	s_or_b32 exec_lo, exec_lo, s29
	v_lshrrev_b32_e32 v149, 16, v13
	s_mov_b32 s14, 0
	s_mov_b32 s35, exec_lo
                                        ; implicit-def: $sgpr29
	v_and_b32_e32 v150, 0xff, v149
	s_delay_alu instid0(VALU_DEP_1)
	v_cmpx_lt_i16_e64 0x7f, v150
	s_xor_b32 s35, exec_lo, s35
	s_cbranch_execnz .LBB4_1469
; %bb.1264:                             ;   in Loop: Header=BB4_1167 Depth=4
	s_or_saveexec_b32 s35, s35
	v_mov_b32_e32 v148, s29
	s_xor_b32 exec_lo, exec_lo, s35
	s_cbranch_execnz .LBB4_1472
.LBB4_1265:                             ;   in Loop: Header=BB4_1167 Depth=4
	s_or_b32 exec_lo, exec_lo, s35
	s_and_saveexec_b32 s29, s14
	s_cbranch_execz .LBB4_1267
.LBB4_1266:                             ;   in Loop: Header=BB4_1167 Depth=4
	v_bfe_u32 v148, v13, 16, 3
	v_lshlrev_b32_e32 v160, 8, v13
	s_delay_alu instid0(VALU_DEP_2) | instskip(NEXT) | instid1(VALU_DEP_1)
	v_clz_i32_u32_e32 v150, v148
	v_min_u32_e32 v150, 32, v150
	s_delay_alu instid0(VALU_DEP_1) | instskip(SKIP_1) | instid1(VALU_DEP_2)
	v_subrev_nc_u32_e32 v151, 28, v150
	v_sub_nc_u32_e32 v150, 29, v150
	v_lshlrev_b32_e32 v149, v151, v149
	v_bfe_u32 v151, v13, 19, 4
	s_delay_alu instid0(VALU_DEP_2) | instskip(NEXT) | instid1(VALU_DEP_2)
	v_and_b32_e32 v149, 7, v149
	v_cmp_eq_u32_e64 s13, 0, v151
	s_delay_alu instid0(VALU_DEP_1) | instskip(NEXT) | instid1(VALU_DEP_3)
	v_cndmask_b32_e64 v150, v151, v150, s13
	v_cndmask_b32_e64 v148, v148, v149, s13
	v_and_b32_e32 v149, 0x80000000, v160
	s_delay_alu instid0(VALU_DEP_3) | instskip(NEXT) | instid1(VALU_DEP_3)
	v_lshl_add_u32 v150, v150, 23, 0x3b800000
	v_lshlrev_b32_e32 v148, 20, v148
	s_delay_alu instid0(VALU_DEP_1)
	v_or3_b32 v148, v149, v150, v148
.LBB4_1267:                             ;   in Loop: Header=BB4_1167 Depth=4
	s_or_b32 exec_lo, exec_lo, s29
	v_lshrrev_b32_e32 v149, 16, v9
	s_mov_b32 s14, 0
	s_mov_b32 s35, exec_lo
                                        ; implicit-def: $sgpr29
	s_delay_alu instid0(VALU_DEP_1) | instskip(NEXT) | instid1(VALU_DEP_1)
	v_and_b32_e32 v151, 0xff, v149
	v_cmpx_lt_i16_e64 0x7f, v151
	s_xor_b32 s35, exec_lo, s35
	s_cbranch_execnz .LBB4_1473
; %bb.1268:                             ;   in Loop: Header=BB4_1167 Depth=4
	s_or_saveexec_b32 s35, s35
	v_mov_b32_e32 v150, s29
	s_xor_b32 exec_lo, exec_lo, s35
	s_cbranch_execnz .LBB4_1476
.LBB4_1269:                             ;   in Loop: Header=BB4_1167 Depth=4
	s_or_b32 exec_lo, exec_lo, s35
	s_and_saveexec_b32 s29, s14
	s_cbranch_execz .LBB4_1271
.LBB4_1270:                             ;   in Loop: Header=BB4_1167 Depth=4
	v_bfe_u32 v150, v9, 16, 3
	v_lshlrev_b32_e32 v161, 8, v9
	s_delay_alu instid0(VALU_DEP_2) | instskip(NEXT) | instid1(VALU_DEP_1)
	v_clz_i32_u32_e32 v151, v150
	v_min_u32_e32 v151, 32, v151
	s_delay_alu instid0(VALU_DEP_1) | instskip(SKIP_1) | instid1(VALU_DEP_2)
	v_subrev_nc_u32_e32 v160, 28, v151
	v_sub_nc_u32_e32 v151, 29, v151
	v_lshlrev_b32_e32 v149, v160, v149
	v_bfe_u32 v160, v9, 19, 4
	s_delay_alu instid0(VALU_DEP_2) | instskip(NEXT) | instid1(VALU_DEP_2)
	v_and_b32_e32 v149, 7, v149
	v_cmp_eq_u32_e64 s13, 0, v160
	s_delay_alu instid0(VALU_DEP_1) | instskip(NEXT) | instid1(VALU_DEP_3)
	v_cndmask_b32_e64 v151, v160, v151, s13
	v_cndmask_b32_e64 v149, v150, v149, s13
	v_and_b32_e32 v150, 0x80000000, v161
	s_delay_alu instid0(VALU_DEP_3) | instskip(NEXT) | instid1(VALU_DEP_3)
	v_lshl_add_u32 v151, v151, 23, 0x3b800000
	v_lshlrev_b32_e32 v149, 20, v149
	s_delay_alu instid0(VALU_DEP_1)
	v_or3_b32 v150, v150, v151, v149
.LBB4_1271:                             ;   in Loop: Header=BB4_1167 Depth=4
	s_or_b32 exec_lo, exec_lo, s29
	s_delay_alu instid0(VALU_DEP_1) | instskip(NEXT) | instid1(VALU_DEP_1)
	v_add_f32_e32 v149, v148, v150
	v_and_b32_e32 v148, 0x7f800000, v149
	s_delay_alu instid0(VALU_DEP_1) | instskip(SKIP_1) | instid1(VALU_DEP_2)
	v_cmp_ne_u32_e64 s13, 0x7f800000, v148
	v_mov_b32_e32 v148, 0x80
	s_and_saveexec_b32 s29, s13
	s_cbranch_execz .LBB4_1279
; %bb.1272:                             ;   in Loop: Header=BB4_1167 Depth=4
	v_mov_b32_e32 v148, 0
	s_mov_b32 s35, exec_lo
	v_cmpx_ne_u32_e32 0, v149
	s_cbranch_execz .LBB4_1278
; %bb.1273:                             ;   in Loop: Header=BB4_1167 Depth=4
	v_bfe_u32 v148, v149, 23, 8
	v_and_b32_e32 v150, 0x7fffff, v149
	s_delay_alu instid0(VALU_DEP_2) | instskip(SKIP_1) | instid1(VALU_DEP_3)
	v_sub_nc_u32_e32 v151, 0x78, v148
	v_cmp_gt_u32_e64 s13, 0x79, v148
	v_or_b32_e32 v160, 0x800000, v150
	s_delay_alu instid0(VALU_DEP_2) | instskip(SKIP_2) | instid1(VALU_DEP_2)
	v_cndmask_b32_e64 v151, 0, v151, s13
	v_cmp_eq_u32_e64 s13, 0, v148
	v_add_nc_u32_e32 v148, 0xffffff89, v148
	v_cndmask_b32_e64 v151, v151, 0x77, s13
	v_cndmask_b32_e64 v150, v160, v150, s13
	s_delay_alu instid0(VALU_DEP_3) | instskip(NEXT) | instid1(VALU_DEP_3)
	v_cndmask_b32_e64 v148, v148, 0xffffff8a, s13
	v_lshl_add_u32 v160, 0x100000, v151, -1
	s_delay_alu instid0(VALU_DEP_3) | instskip(SKIP_1) | instid1(VALU_DEP_4)
	v_lshrrev_b32_e32 v161, v151, v150
	v_lshlrev_b32_e64 v163, v151, 0x80000
	v_add_nc_u32_e32 v151, v151, v148
	s_delay_alu instid0(VALU_DEP_4) | instskip(NEXT) | instid1(VALU_DEP_4)
	v_and_b32_e32 v150, v160, v150
	v_bfe_u32 v162, v161, 20, 1
	s_delay_alu instid0(VALU_DEP_2) | instskip(NEXT) | instid1(VALU_DEP_2)
	v_cmp_eq_u32_e64 s14, v150, v163
	v_add_nc_u32_e32 v160, -1, v162
	s_delay_alu instid0(VALU_DEP_1) | instskip(SKIP_2) | instid1(VALU_DEP_2)
	v_cndmask_b32_e64 v150, 0, v160, s14
	v_lshrrev_b32_e32 v160, 23, v161
	s_mov_b32 s14, exec_lo
	v_add_nc_u32_e32 v150, v150, v161
	s_delay_alu instid0(VALU_DEP_2) | instskip(NEXT) | instid1(VALU_DEP_2)
	v_xor_b32_e32 v160, 1, v160
	v_and_b32_e32 v148, 0xfffff, v150
	s_delay_alu instid0(VALU_DEP_1) | instskip(NEXT) | instid1(VALU_DEP_3)
	v_add_nc_u32_e32 v150, v148, v161
                                        ; implicit-def: $vgpr148
	v_cmpx_ne_u32_e64 v151, v160
	s_xor_b32 s14, exec_lo, s14
; %bb.1274:                             ;   in Loop: Header=BB4_1167 Depth=4
	s_delay_alu instid0(VALU_DEP_2) | instskip(SKIP_1) | instid1(VALU_DEP_2)
	v_cmp_lt_u32_e64 s13, 0xffffff, v150
	v_sub_nc_u32_e32 v148, v151, v160
	v_cndmask_b32_e64 v151, 0, 1, s13
	s_delay_alu instid0(VALU_DEP_2) | instskip(NEXT) | instid1(VALU_DEP_2)
	v_add_co_ci_u32_e64 v148, s13, 0, v148, s13
	v_lshrrev_b32_e32 v150, v151, v150
; %bb.1275:                             ;   in Loop: Header=BB4_1167 Depth=4
	s_and_not1_saveexec_b32 s13, s14
; %bb.1276:                             ;   in Loop: Header=BB4_1167 Depth=4
	s_delay_alu instid0(VALU_DEP_1)
	v_bfe_u32 v148, v150, 23, 1
; %bb.1277:                             ;   in Loop: Header=BB4_1167 Depth=4
	s_or_b32 exec_lo, exec_lo, s13
	v_lshrrev_b32_e32 v150, 20, v150
	s_delay_alu instid0(VALU_DEP_2) | instskip(SKIP_2) | instid1(VALU_DEP_3)
	v_min_i32_e32 v151, 15, v148
	v_cmp_gt_i32_e64 s13, 16, v148
	v_lshrrev_b32_e32 v149, 24, v149
	v_lshlrev_b32_e32 v151, 3, v151
	s_delay_alu instid0(VALU_DEP_3) | instskip(NEXT) | instid1(VALU_DEP_3)
	v_cndmask_b32_e64 v150, 7, v150, s13
	v_and_b32_e32 v149, 0x80, v149
	s_delay_alu instid0(VALU_DEP_3) | instskip(NEXT) | instid1(VALU_DEP_3)
	v_and_b32_e32 v151, 0xf8, v151
	v_and_b32_e32 v160, 7, v150
	v_or_b32_e32 v148, v148, v150
	s_delay_alu instid0(VALU_DEP_2) | instskip(NEXT) | instid1(VALU_DEP_2)
	v_or3_b32 v149, v151, v149, v160
	v_cmp_ne_u32_e64 s13, 0, v148
	s_delay_alu instid0(VALU_DEP_1)
	v_cndmask_b32_e64 v148, 0, v149, s13
.LBB4_1278:                             ;   in Loop: Header=BB4_1167 Depth=4
	s_or_b32 exec_lo, exec_lo, s35
.LBB4_1279:                             ;   in Loop: Header=BB4_1167 Depth=4
	s_delay_alu instid0(SALU_CYCLE_1) | instskip(SKIP_3) | instid1(VALU_DEP_1)
	s_or_b32 exec_lo, exec_lo, s29
	v_lshrrev_b32_e32 v150, 24, v13
	s_mov_b32 s14, 0
	s_mov_b32 s35, exec_lo
                                        ; implicit-def: $sgpr29
	v_cmpx_lt_i16_e64 0x7f, v150
	s_xor_b32 s35, exec_lo, s35
	s_cbranch_execnz .LBB4_1477
; %bb.1280:                             ;   in Loop: Header=BB4_1167 Depth=4
	s_or_saveexec_b32 s35, s35
	v_mov_b32_e32 v149, s29
	s_xor_b32 exec_lo, exec_lo, s35
	s_cbranch_execnz .LBB4_1480
.LBB4_1281:                             ;   in Loop: Header=BB4_1167 Depth=4
	s_or_b32 exec_lo, exec_lo, s35
	s_and_saveexec_b32 s29, s14
	s_cbranch_execz .LBB4_1283
.LBB4_1282:                             ;   in Loop: Header=BB4_1167 Depth=4
	v_bfe_u32 v149, v13, 24, 3
	s_delay_alu instid0(VALU_DEP_1) | instskip(NEXT) | instid1(VALU_DEP_1)
	v_clz_i32_u32_e32 v151, v149
	v_min_u32_e32 v151, 32, v151
	s_delay_alu instid0(VALU_DEP_1) | instskip(SKIP_1) | instid1(VALU_DEP_2)
	v_subrev_nc_u32_e32 v160, 28, v151
	v_sub_nc_u32_e32 v151, 29, v151
	v_lshlrev_b32_e32 v150, v160, v150
	v_bfe_u32 v160, v13, 27, 4
	v_and_b32_e32 v13, 0x80000000, v13
	s_delay_alu instid0(VALU_DEP_3) | instskip(NEXT) | instid1(VALU_DEP_3)
	v_and_b32_e32 v150, 7, v150
	v_cmp_eq_u32_e64 s13, 0, v160
	s_delay_alu instid0(VALU_DEP_1) | instskip(NEXT) | instid1(VALU_DEP_3)
	v_cndmask_b32_e64 v151, v160, v151, s13
	v_cndmask_b32_e64 v149, v149, v150, s13
	s_delay_alu instid0(VALU_DEP_2) | instskip(NEXT) | instid1(VALU_DEP_2)
	v_lshl_add_u32 v150, v151, 23, 0x3b800000
	v_lshlrev_b32_e32 v149, 20, v149
	s_delay_alu instid0(VALU_DEP_1)
	v_or3_b32 v149, v13, v150, v149
.LBB4_1283:                             ;   in Loop: Header=BB4_1167 Depth=4
	s_or_b32 exec_lo, exec_lo, s29
	v_lshrrev_b32_e32 v13, 24, v9
	s_mov_b32 s14, 0
	s_mov_b32 s35, exec_lo
                                        ; implicit-def: $sgpr29
	s_delay_alu instid0(VALU_DEP_1)
	v_cmpx_lt_i16_e32 0x7f, v13
	s_xor_b32 s35, exec_lo, s35
	s_cbranch_execnz .LBB4_1481
; %bb.1284:                             ;   in Loop: Header=BB4_1167 Depth=4
	s_or_saveexec_b32 s35, s35
	v_mov_b32_e32 v150, s29
	s_xor_b32 exec_lo, exec_lo, s35
	s_cbranch_execnz .LBB4_1484
.LBB4_1285:                             ;   in Loop: Header=BB4_1167 Depth=4
	s_or_b32 exec_lo, exec_lo, s35
	s_and_saveexec_b32 s29, s14
	s_cbranch_execz .LBB4_1287
.LBB4_1286:                             ;   in Loop: Header=BB4_1167 Depth=4
	v_bfe_u32 v150, v9, 24, 3
	s_delay_alu instid0(VALU_DEP_1) | instskip(NEXT) | instid1(VALU_DEP_1)
	v_clz_i32_u32_e32 v151, v150
	v_min_u32_e32 v151, 32, v151
	s_delay_alu instid0(VALU_DEP_1) | instskip(SKIP_1) | instid1(VALU_DEP_2)
	v_subrev_nc_u32_e32 v160, 28, v151
	v_sub_nc_u32_e32 v151, 29, v151
	v_lshlrev_b32_e32 v13, v160, v13
	v_bfe_u32 v160, v9, 27, 4
	v_and_b32_e32 v9, 0x80000000, v9
	s_delay_alu instid0(VALU_DEP_3) | instskip(NEXT) | instid1(VALU_DEP_3)
	v_and_b32_e32 v13, 7, v13
	v_cmp_eq_u32_e64 s13, 0, v160
	s_delay_alu instid0(VALU_DEP_1) | instskip(NEXT) | instid1(VALU_DEP_3)
	v_cndmask_b32_e64 v151, v160, v151, s13
	v_cndmask_b32_e64 v13, v150, v13, s13
	s_delay_alu instid0(VALU_DEP_2) | instskip(NEXT) | instid1(VALU_DEP_2)
	v_lshl_add_u32 v150, v151, 23, 0x3b800000
	v_lshlrev_b32_e32 v13, 20, v13
	s_delay_alu instid0(VALU_DEP_1)
	v_or3_b32 v150, v9, v150, v13
.LBB4_1287:                             ;   in Loop: Header=BB4_1167 Depth=4
	s_or_b32 exec_lo, exec_lo, s29
	s_delay_alu instid0(VALU_DEP_1) | instskip(NEXT) | instid1(VALU_DEP_1)
	v_add_f32_e32 v13, v149, v150
	v_and_b32_e32 v9, 0x7f800000, v13
	s_delay_alu instid0(VALU_DEP_1) | instskip(SKIP_1) | instid1(VALU_DEP_2)
	v_cmp_ne_u32_e64 s13, 0x7f800000, v9
	v_mov_b32_e32 v9, 0x8000
	s_and_saveexec_b32 s29, s13
	s_cbranch_execz .LBB4_1295
; %bb.1288:                             ;   in Loop: Header=BB4_1167 Depth=4
	v_mov_b32_e32 v9, 0
	s_mov_b32 s35, exec_lo
	v_cmpx_ne_u32_e32 0, v13
	s_cbranch_execz .LBB4_1294
; %bb.1289:                             ;   in Loop: Header=BB4_1167 Depth=4
	v_bfe_u32 v9, v13, 23, 8
	v_and_b32_e32 v149, 0x7fffff, v13
	s_delay_alu instid0(VALU_DEP_2) | instskip(SKIP_1) | instid1(VALU_DEP_3)
	v_sub_nc_u32_e32 v150, 0x78, v9
	v_cmp_gt_u32_e64 s13, 0x79, v9
	v_or_b32_e32 v151, 0x800000, v149
	s_delay_alu instid0(VALU_DEP_2) | instskip(SKIP_2) | instid1(VALU_DEP_2)
	v_cndmask_b32_e64 v150, 0, v150, s13
	v_cmp_eq_u32_e64 s13, 0, v9
	v_add_nc_u32_e32 v9, 0xffffff89, v9
	v_cndmask_b32_e64 v150, v150, 0x77, s13
	v_cndmask_b32_e64 v149, v151, v149, s13
	s_delay_alu instid0(VALU_DEP_3) | instskip(NEXT) | instid1(VALU_DEP_3)
	v_cndmask_b32_e64 v9, v9, 0xffffff8a, s13
	v_lshl_add_u32 v151, 0x100000, v150, -1
	s_delay_alu instid0(VALU_DEP_3) | instskip(SKIP_1) | instid1(VALU_DEP_4)
	v_lshrrev_b32_e32 v160, v150, v149
	v_lshlrev_b32_e64 v162, v150, 0x80000
	v_add_nc_u32_e32 v150, v150, v9
	s_delay_alu instid0(VALU_DEP_4) | instskip(NEXT) | instid1(VALU_DEP_4)
	v_and_b32_e32 v149, v151, v149
	v_bfe_u32 v161, v160, 20, 1
	s_delay_alu instid0(VALU_DEP_2) | instskip(NEXT) | instid1(VALU_DEP_2)
	v_cmp_eq_u32_e64 s14, v149, v162
	v_add_nc_u32_e32 v151, -1, v161
	s_delay_alu instid0(VALU_DEP_1) | instskip(SKIP_2) | instid1(VALU_DEP_2)
	v_cndmask_b32_e64 v149, 0, v151, s14
	v_lshrrev_b32_e32 v151, 23, v160
	s_mov_b32 s14, exec_lo
	v_add_nc_u32_e32 v149, v149, v160
	s_delay_alu instid0(VALU_DEP_2) | instskip(NEXT) | instid1(VALU_DEP_2)
	v_xor_b32_e32 v151, 1, v151
	v_and_b32_e32 v9, 0xfffff, v149
	s_delay_alu instid0(VALU_DEP_1) | instskip(NEXT) | instid1(VALU_DEP_3)
	v_add_nc_u32_e32 v149, v9, v160
                                        ; implicit-def: $vgpr9
	v_cmpx_ne_u32_e64 v150, v151
	s_xor_b32 s14, exec_lo, s14
; %bb.1290:                             ;   in Loop: Header=BB4_1167 Depth=4
	s_delay_alu instid0(VALU_DEP_2) | instskip(SKIP_1) | instid1(VALU_DEP_2)
	v_cmp_lt_u32_e64 s13, 0xffffff, v149
	v_sub_nc_u32_e32 v9, v150, v151
	v_cndmask_b32_e64 v150, 0, 1, s13
	s_delay_alu instid0(VALU_DEP_2) | instskip(NEXT) | instid1(VALU_DEP_2)
	v_add_co_ci_u32_e64 v9, s13, 0, v9, s13
	v_lshrrev_b32_e32 v149, v150, v149
; %bb.1291:                             ;   in Loop: Header=BB4_1167 Depth=4
	s_and_not1_saveexec_b32 s13, s14
; %bb.1292:                             ;   in Loop: Header=BB4_1167 Depth=4
	s_delay_alu instid0(VALU_DEP_1)
	v_bfe_u32 v9, v149, 23, 1
; %bb.1293:                             ;   in Loop: Header=BB4_1167 Depth=4
	s_or_b32 exec_lo, exec_lo, s13
	v_lshrrev_b32_e32 v149, 20, v149
	s_delay_alu instid0(VALU_DEP_2) | instskip(SKIP_2) | instid1(VALU_DEP_3)
	v_min_i32_e32 v150, 15, v9
	v_cmp_gt_i32_e64 s13, 16, v9
	v_lshrrev_b32_e32 v13, 24, v13
	v_lshlrev_b32_e32 v150, 3, v150
	s_delay_alu instid0(VALU_DEP_3) | instskip(NEXT) | instid1(VALU_DEP_3)
	v_cndmask_b32_e64 v149, 7, v149, s13
	v_and_b32_e32 v13, 0x80, v13
	s_delay_alu instid0(VALU_DEP_3) | instskip(NEXT) | instid1(VALU_DEP_3)
	v_and_b32_e32 v150, 0xf8, v150
	v_and_b32_e32 v151, 7, v149
	v_or_b32_e32 v9, v9, v149
	s_delay_alu instid0(VALU_DEP_2) | instskip(NEXT) | instid1(VALU_DEP_2)
	v_or3_b32 v13, v13, v150, v151
	v_cmp_ne_u32_e64 s13, 0, v9
	s_delay_alu instid0(VALU_DEP_2) | instskip(NEXT) | instid1(VALU_DEP_1)
	v_lshlrev_b32_e32 v13, 8, v13
	v_cndmask_b32_e64 v9, 0, v13, s13
.LBB4_1294:                             ;   in Loop: Header=BB4_1167 Depth=4
	s_or_b32 exec_lo, exec_lo, s35
.LBB4_1295:                             ;   in Loop: Header=BB4_1167 Depth=4
	s_delay_alu instid0(SALU_CYCLE_1) | instskip(SKIP_3) | instid1(VALU_DEP_1)
	s_or_b32 exec_lo, exec_lo, s29
	v_and_b32_e32 v149, 0xff, v14
	s_mov_b32 s14, 0
	s_mov_b32 s35, exec_lo
                                        ; implicit-def: $sgpr29
	v_cmpx_lt_i16_e64 0x7f, v149
	s_xor_b32 s35, exec_lo, s35
	s_cbranch_execnz .LBB4_1485
; %bb.1296:                             ;   in Loop: Header=BB4_1167 Depth=4
	s_or_saveexec_b32 s35, s35
	v_mov_b32_e32 v13, s29
	s_xor_b32 exec_lo, exec_lo, s35
	s_cbranch_execnz .LBB4_1488
.LBB4_1297:                             ;   in Loop: Header=BB4_1167 Depth=4
	s_or_b32 exec_lo, exec_lo, s35
	s_and_saveexec_b32 s29, s14
	s_cbranch_execz .LBB4_1299
.LBB4_1298:                             ;   in Loop: Header=BB4_1167 Depth=4
	v_and_b32_e32 v13, 7, v14
	v_bfe_u32 v151, v14, 3, 4
	v_lshlrev_b32_e32 v160, 24, v14
	s_delay_alu instid0(VALU_DEP_3) | instskip(NEXT) | instid1(VALU_DEP_3)
	v_clz_i32_u32_e32 v149, v13
	v_cmp_eq_u32_e64 s13, 0, v151
	s_delay_alu instid0(VALU_DEP_2) | instskip(NEXT) | instid1(VALU_DEP_1)
	v_min_u32_e32 v149, 32, v149
	v_subrev_nc_u32_e32 v150, 28, v149
	v_sub_nc_u32_e32 v149, 29, v149
	s_delay_alu instid0(VALU_DEP_2) | instskip(NEXT) | instid1(VALU_DEP_2)
	v_lshlrev_b32_e32 v150, v150, v14
	v_cndmask_b32_e64 v149, v151, v149, s13
	s_delay_alu instid0(VALU_DEP_2) | instskip(NEXT) | instid1(VALU_DEP_2)
	v_and_b32_e32 v150, 7, v150
	v_lshl_add_u32 v149, v149, 23, 0x3b800000
	s_delay_alu instid0(VALU_DEP_2) | instskip(SKIP_1) | instid1(VALU_DEP_2)
	v_cndmask_b32_e64 v13, v13, v150, s13
	v_and_b32_e32 v150, 0x80000000, v160
	v_lshlrev_b32_e32 v13, 20, v13
	s_delay_alu instid0(VALU_DEP_1)
	v_or3_b32 v13, v150, v149, v13
.LBB4_1299:                             ;   in Loop: Header=BB4_1167 Depth=4
	s_or_b32 exec_lo, exec_lo, s29
	v_and_b32_e32 v150, 0xff, v10
	s_mov_b32 s14, 0
	s_mov_b32 s35, exec_lo
                                        ; implicit-def: $sgpr29
	s_delay_alu instid0(VALU_DEP_1)
	v_cmpx_lt_i16_e64 0x7f, v150
	s_xor_b32 s35, exec_lo, s35
	s_cbranch_execnz .LBB4_1489
; %bb.1300:                             ;   in Loop: Header=BB4_1167 Depth=4
	s_or_saveexec_b32 s35, s35
	v_mov_b32_e32 v149, s29
	s_xor_b32 exec_lo, exec_lo, s35
	s_cbranch_execnz .LBB4_1492
.LBB4_1301:                             ;   in Loop: Header=BB4_1167 Depth=4
	s_or_b32 exec_lo, exec_lo, s35
	s_and_saveexec_b32 s29, s14
	s_cbranch_execz .LBB4_1303
.LBB4_1302:                             ;   in Loop: Header=BB4_1167 Depth=4
	v_and_b32_e32 v149, 7, v10
	v_bfe_u32 v160, v10, 3, 4
	v_lshlrev_b32_e32 v161, 24, v10
	s_delay_alu instid0(VALU_DEP_3) | instskip(NEXT) | instid1(VALU_DEP_3)
	v_clz_i32_u32_e32 v150, v149
	v_cmp_eq_u32_e64 s13, 0, v160
	s_delay_alu instid0(VALU_DEP_2) | instskip(NEXT) | instid1(VALU_DEP_1)
	v_min_u32_e32 v150, 32, v150
	v_subrev_nc_u32_e32 v151, 28, v150
	v_sub_nc_u32_e32 v150, 29, v150
	s_delay_alu instid0(VALU_DEP_2) | instskip(NEXT) | instid1(VALU_DEP_2)
	v_lshlrev_b32_e32 v151, v151, v10
	v_cndmask_b32_e64 v150, v160, v150, s13
	s_delay_alu instid0(VALU_DEP_2) | instskip(NEXT) | instid1(VALU_DEP_2)
	v_and_b32_e32 v151, 7, v151
	v_lshl_add_u32 v150, v150, 23, 0x3b800000
	s_delay_alu instid0(VALU_DEP_2) | instskip(SKIP_1) | instid1(VALU_DEP_2)
	v_cndmask_b32_e64 v149, v149, v151, s13
	v_and_b32_e32 v151, 0x80000000, v161
	v_lshlrev_b32_e32 v149, 20, v149
	s_delay_alu instid0(VALU_DEP_1)
	v_or3_b32 v149, v151, v150, v149
.LBB4_1303:                             ;   in Loop: Header=BB4_1167 Depth=4
	s_or_b32 exec_lo, exec_lo, s29
	s_delay_alu instid0(VALU_DEP_1) | instskip(NEXT) | instid1(VALU_DEP_1)
	v_add_f32_e32 v149, v13, v149
	v_and_b32_e32 v13, 0x7f800000, v149
	s_delay_alu instid0(VALU_DEP_1) | instskip(SKIP_1) | instid1(VALU_DEP_2)
	v_cmp_ne_u32_e64 s13, 0x7f800000, v13
	v_mov_b32_e32 v13, 0x80
	s_and_saveexec_b32 s29, s13
	s_cbranch_execz .LBB4_1311
; %bb.1304:                             ;   in Loop: Header=BB4_1167 Depth=4
	v_mov_b32_e32 v13, 0
	s_mov_b32 s35, exec_lo
	v_cmpx_ne_u32_e32 0, v149
	s_cbranch_execz .LBB4_1310
; %bb.1305:                             ;   in Loop: Header=BB4_1167 Depth=4
	v_bfe_u32 v13, v149, 23, 8
	v_and_b32_e32 v150, 0x7fffff, v149
	s_delay_alu instid0(VALU_DEP_2) | instskip(SKIP_1) | instid1(VALU_DEP_3)
	v_sub_nc_u32_e32 v151, 0x78, v13
	v_cmp_gt_u32_e64 s13, 0x79, v13
	v_or_b32_e32 v160, 0x800000, v150
	s_delay_alu instid0(VALU_DEP_2) | instskip(SKIP_2) | instid1(VALU_DEP_2)
	v_cndmask_b32_e64 v151, 0, v151, s13
	v_cmp_eq_u32_e64 s13, 0, v13
	v_add_nc_u32_e32 v13, 0xffffff89, v13
	v_cndmask_b32_e64 v151, v151, 0x77, s13
	v_cndmask_b32_e64 v150, v160, v150, s13
	s_delay_alu instid0(VALU_DEP_3) | instskip(NEXT) | instid1(VALU_DEP_3)
	v_cndmask_b32_e64 v13, v13, 0xffffff8a, s13
	v_lshl_add_u32 v160, 0x100000, v151, -1
	s_delay_alu instid0(VALU_DEP_3) | instskip(SKIP_1) | instid1(VALU_DEP_4)
	v_lshrrev_b32_e32 v161, v151, v150
	v_lshlrev_b32_e64 v163, v151, 0x80000
	v_add_nc_u32_e32 v151, v151, v13
	s_delay_alu instid0(VALU_DEP_4) | instskip(NEXT) | instid1(VALU_DEP_4)
	v_and_b32_e32 v150, v160, v150
	v_bfe_u32 v162, v161, 20, 1
	s_delay_alu instid0(VALU_DEP_2) | instskip(NEXT) | instid1(VALU_DEP_2)
	v_cmp_eq_u32_e64 s14, v150, v163
	v_add_nc_u32_e32 v160, -1, v162
	s_delay_alu instid0(VALU_DEP_1) | instskip(SKIP_2) | instid1(VALU_DEP_2)
	v_cndmask_b32_e64 v150, 0, v160, s14
	v_lshrrev_b32_e32 v160, 23, v161
	s_mov_b32 s14, exec_lo
	v_add_nc_u32_e32 v150, v150, v161
	s_delay_alu instid0(VALU_DEP_2) | instskip(NEXT) | instid1(VALU_DEP_2)
	v_xor_b32_e32 v160, 1, v160
	v_and_b32_e32 v13, 0xfffff, v150
	s_delay_alu instid0(VALU_DEP_1) | instskip(NEXT) | instid1(VALU_DEP_3)
	v_add_nc_u32_e32 v150, v13, v161
                                        ; implicit-def: $vgpr13
	v_cmpx_ne_u32_e64 v151, v160
	s_xor_b32 s14, exec_lo, s14
; %bb.1306:                             ;   in Loop: Header=BB4_1167 Depth=4
	s_delay_alu instid0(VALU_DEP_2) | instskip(SKIP_1) | instid1(VALU_DEP_2)
	v_cmp_lt_u32_e64 s13, 0xffffff, v150
	v_sub_nc_u32_e32 v13, v151, v160
	v_cndmask_b32_e64 v151, 0, 1, s13
	s_delay_alu instid0(VALU_DEP_2) | instskip(NEXT) | instid1(VALU_DEP_2)
	v_add_co_ci_u32_e64 v13, s13, 0, v13, s13
	v_lshrrev_b32_e32 v150, v151, v150
; %bb.1307:                             ;   in Loop: Header=BB4_1167 Depth=4
	s_and_not1_saveexec_b32 s13, s14
; %bb.1308:                             ;   in Loop: Header=BB4_1167 Depth=4
	s_delay_alu instid0(VALU_DEP_1)
	v_bfe_u32 v13, v150, 23, 1
; %bb.1309:                             ;   in Loop: Header=BB4_1167 Depth=4
	s_or_b32 exec_lo, exec_lo, s13
	v_lshrrev_b32_e32 v150, 20, v150
	s_delay_alu instid0(VALU_DEP_2) | instskip(SKIP_2) | instid1(VALU_DEP_3)
	v_cmp_gt_i32_e64 s13, 16, v13
	v_lshrrev_b32_e32 v149, 24, v149
	v_min_i32_e32 v151, 15, v13
	v_cndmask_b32_e64 v150, 7, v150, s13
	s_delay_alu instid0(VALU_DEP_3) | instskip(NEXT) | instid1(VALU_DEP_3)
	v_and_b32_e32 v149, 0x80, v149
	v_lshlrev_b32_e32 v151, 3, v151
	s_delay_alu instid0(VALU_DEP_3) | instskip(SKIP_1) | instid1(VALU_DEP_2)
	v_and_b32_e32 v160, 7, v150
	v_or_b32_e32 v13, v13, v150
	v_or3_b32 v149, v151, v149, v160
	s_delay_alu instid0(VALU_DEP_2) | instskip(NEXT) | instid1(VALU_DEP_1)
	v_cmp_ne_u32_e64 s13, 0, v13
	v_cndmask_b32_e64 v13, 0, v149, s13
.LBB4_1310:                             ;   in Loop: Header=BB4_1167 Depth=4
	s_or_b32 exec_lo, exec_lo, s35
.LBB4_1311:                             ;   in Loop: Header=BB4_1167 Depth=4
	s_delay_alu instid0(SALU_CYCLE_1) | instskip(SKIP_3) | instid1(VALU_DEP_1)
	s_or_b32 exec_lo, exec_lo, s29
	v_lshrrev_b16 v150, 8, v14
	s_mov_b32 s14, 0
	s_mov_b32 s35, exec_lo
                                        ; implicit-def: $sgpr29
	v_cmpx_lt_i16_e64 0x7f, v150
	s_xor_b32 s35, exec_lo, s35
	s_cbranch_execnz .LBB4_1493
; %bb.1312:                             ;   in Loop: Header=BB4_1167 Depth=4
	s_or_saveexec_b32 s35, s35
	v_mov_b32_e32 v149, s29
	s_xor_b32 exec_lo, exec_lo, s35
	s_cbranch_execnz .LBB4_1496
.LBB4_1313:                             ;   in Loop: Header=BB4_1167 Depth=4
	s_or_b32 exec_lo, exec_lo, s35
	s_and_saveexec_b32 s29, s14
	s_cbranch_execz .LBB4_1315
.LBB4_1314:                             ;   in Loop: Header=BB4_1167 Depth=4
	v_and_b32_e32 v149, 0xffff, v150
	v_lshlrev_b32_e32 v150, 24, v150
	s_delay_alu instid0(VALU_DEP_2) | instskip(NEXT) | instid1(VALU_DEP_2)
	v_and_b32_e32 v151, 7, v149
	v_and_b32_e32 v150, 0x80000000, v150
	s_delay_alu instid0(VALU_DEP_2) | instskip(NEXT) | instid1(VALU_DEP_1)
	v_clz_i32_u32_e32 v160, v151
	v_min_u32_e32 v160, 32, v160
	s_delay_alu instid0(VALU_DEP_1) | instskip(SKIP_1) | instid1(VALU_DEP_2)
	v_subrev_nc_u32_e32 v161, 28, v160
	v_sub_nc_u32_e32 v160, 29, v160
	v_lshlrev_b32_e32 v161, v161, v149
	v_bfe_u32 v149, v149, 3, 4
	s_delay_alu instid0(VALU_DEP_2) | instskip(NEXT) | instid1(VALU_DEP_2)
	v_and_b32_e32 v161, 7, v161
	v_cmp_eq_u32_e64 s13, 0, v149
	s_delay_alu instid0(VALU_DEP_1) | instskip(NEXT) | instid1(VALU_DEP_3)
	v_cndmask_b32_e64 v149, v149, v160, s13
	v_cndmask_b32_e64 v151, v151, v161, s13
	s_delay_alu instid0(VALU_DEP_2) | instskip(NEXT) | instid1(VALU_DEP_2)
	v_lshl_add_u32 v149, v149, 23, 0x3b800000
	v_lshlrev_b32_e32 v151, 20, v151
	s_delay_alu instid0(VALU_DEP_1)
	v_or3_b32 v149, v150, v149, v151
.LBB4_1315:                             ;   in Loop: Header=BB4_1167 Depth=4
	s_or_b32 exec_lo, exec_lo, s29
	v_lshrrev_b16 v150, 8, v10
	s_mov_b32 s14, 0
	s_mov_b32 s35, exec_lo
                                        ; implicit-def: $sgpr29
	s_delay_alu instid0(VALU_DEP_1)
	v_cmpx_lt_i16_e64 0x7f, v150
	s_xor_b32 s35, exec_lo, s35
	s_cbranch_execnz .LBB4_1497
; %bb.1316:                             ;   in Loop: Header=BB4_1167 Depth=4
	s_or_saveexec_b32 s35, s35
	v_mov_b32_e32 v151, s29
	s_xor_b32 exec_lo, exec_lo, s35
	s_cbranch_execnz .LBB4_1500
.LBB4_1317:                             ;   in Loop: Header=BB4_1167 Depth=4
	s_or_b32 exec_lo, exec_lo, s35
	s_and_saveexec_b32 s29, s14
	s_cbranch_execz .LBB4_1319
.LBB4_1318:                             ;   in Loop: Header=BB4_1167 Depth=4
	v_and_b32_e32 v151, 0xffff, v150
	v_lshlrev_b32_e32 v150, 24, v150
	s_delay_alu instid0(VALU_DEP_2) | instskip(NEXT) | instid1(VALU_DEP_2)
	v_and_b32_e32 v160, 7, v151
	v_and_b32_e32 v150, 0x80000000, v150
	s_delay_alu instid0(VALU_DEP_2) | instskip(NEXT) | instid1(VALU_DEP_1)
	v_clz_i32_u32_e32 v161, v160
	v_min_u32_e32 v161, 32, v161
	s_delay_alu instid0(VALU_DEP_1) | instskip(SKIP_1) | instid1(VALU_DEP_2)
	v_subrev_nc_u32_e32 v162, 28, v161
	v_sub_nc_u32_e32 v161, 29, v161
	v_lshlrev_b32_e32 v162, v162, v151
	v_bfe_u32 v151, v151, 3, 4
	s_delay_alu instid0(VALU_DEP_2) | instskip(NEXT) | instid1(VALU_DEP_2)
	v_and_b32_e32 v162, 7, v162
	v_cmp_eq_u32_e64 s13, 0, v151
	s_delay_alu instid0(VALU_DEP_1) | instskip(NEXT) | instid1(VALU_DEP_3)
	v_cndmask_b32_e64 v151, v151, v161, s13
	v_cndmask_b32_e64 v160, v160, v162, s13
	s_delay_alu instid0(VALU_DEP_2) | instskip(NEXT) | instid1(VALU_DEP_2)
	v_lshl_add_u32 v151, v151, 23, 0x3b800000
	v_lshlrev_b32_e32 v160, 20, v160
	s_delay_alu instid0(VALU_DEP_1)
	v_or3_b32 v151, v150, v151, v160
.LBB4_1319:                             ;   in Loop: Header=BB4_1167 Depth=4
	s_or_b32 exec_lo, exec_lo, s29
	s_delay_alu instid0(VALU_DEP_1) | instskip(NEXT) | instid1(VALU_DEP_1)
	v_add_f32_e32 v150, v149, v151
	v_and_b32_e32 v149, 0x7f800000, v150
	s_delay_alu instid0(VALU_DEP_1) | instskip(SKIP_1) | instid1(VALU_DEP_2)
	v_cmp_ne_u32_e64 s13, 0x7f800000, v149
	v_mov_b32_e32 v149, 0x80
	s_and_saveexec_b32 s29, s13
	s_cbranch_execz .LBB4_1327
; %bb.1320:                             ;   in Loop: Header=BB4_1167 Depth=4
	v_mov_b32_e32 v149, 0
	s_mov_b32 s35, exec_lo
	v_cmpx_ne_u32_e32 0, v150
	s_cbranch_execz .LBB4_1326
; %bb.1321:                             ;   in Loop: Header=BB4_1167 Depth=4
	v_bfe_u32 v149, v150, 23, 8
	v_and_b32_e32 v151, 0x7fffff, v150
	s_delay_alu instid0(VALU_DEP_2) | instskip(SKIP_1) | instid1(VALU_DEP_3)
	v_sub_nc_u32_e32 v160, 0x78, v149
	v_cmp_gt_u32_e64 s13, 0x79, v149
	v_or_b32_e32 v161, 0x800000, v151
	s_delay_alu instid0(VALU_DEP_2) | instskip(SKIP_2) | instid1(VALU_DEP_2)
	v_cndmask_b32_e64 v160, 0, v160, s13
	v_cmp_eq_u32_e64 s13, 0, v149
	v_add_nc_u32_e32 v149, 0xffffff89, v149
	v_cndmask_b32_e64 v160, v160, 0x77, s13
	v_cndmask_b32_e64 v151, v161, v151, s13
	s_delay_alu instid0(VALU_DEP_3) | instskip(NEXT) | instid1(VALU_DEP_3)
	v_cndmask_b32_e64 v149, v149, 0xffffff8a, s13
	v_lshl_add_u32 v161, 0x100000, v160, -1
	s_delay_alu instid0(VALU_DEP_3) | instskip(SKIP_1) | instid1(VALU_DEP_4)
	v_lshrrev_b32_e32 v162, v160, v151
	v_lshlrev_b32_e64 v164, v160, 0x80000
	v_add_nc_u32_e32 v160, v160, v149
	s_delay_alu instid0(VALU_DEP_4) | instskip(NEXT) | instid1(VALU_DEP_4)
	v_and_b32_e32 v151, v161, v151
	v_bfe_u32 v163, v162, 20, 1
	s_delay_alu instid0(VALU_DEP_2) | instskip(NEXT) | instid1(VALU_DEP_2)
	v_cmp_eq_u32_e64 s14, v151, v164
	v_add_nc_u32_e32 v161, -1, v163
	s_delay_alu instid0(VALU_DEP_1) | instskip(SKIP_2) | instid1(VALU_DEP_2)
	v_cndmask_b32_e64 v151, 0, v161, s14
	v_lshrrev_b32_e32 v161, 23, v162
	s_mov_b32 s14, exec_lo
	v_add_nc_u32_e32 v151, v151, v162
	s_delay_alu instid0(VALU_DEP_2) | instskip(NEXT) | instid1(VALU_DEP_2)
	v_xor_b32_e32 v161, 1, v161
	v_and_b32_e32 v149, 0xfffff, v151
	s_delay_alu instid0(VALU_DEP_1) | instskip(NEXT) | instid1(VALU_DEP_3)
	v_add_nc_u32_e32 v151, v149, v162
                                        ; implicit-def: $vgpr149
	v_cmpx_ne_u32_e64 v160, v161
	s_xor_b32 s14, exec_lo, s14
; %bb.1322:                             ;   in Loop: Header=BB4_1167 Depth=4
	s_delay_alu instid0(VALU_DEP_2) | instskip(SKIP_1) | instid1(VALU_DEP_2)
	v_cmp_lt_u32_e64 s13, 0xffffff, v151
	v_sub_nc_u32_e32 v149, v160, v161
	v_cndmask_b32_e64 v160, 0, 1, s13
	s_delay_alu instid0(VALU_DEP_2) | instskip(NEXT) | instid1(VALU_DEP_2)
	v_add_co_ci_u32_e64 v149, s13, 0, v149, s13
	v_lshrrev_b32_e32 v151, v160, v151
; %bb.1323:                             ;   in Loop: Header=BB4_1167 Depth=4
	s_and_not1_saveexec_b32 s13, s14
; %bb.1324:                             ;   in Loop: Header=BB4_1167 Depth=4
	s_delay_alu instid0(VALU_DEP_1)
	v_bfe_u32 v149, v151, 23, 1
; %bb.1325:                             ;   in Loop: Header=BB4_1167 Depth=4
	s_or_b32 exec_lo, exec_lo, s13
	v_lshrrev_b32_e32 v151, 20, v151
	s_delay_alu instid0(VALU_DEP_2) | instskip(SKIP_2) | instid1(VALU_DEP_3)
	v_cmp_gt_i32_e64 s13, 16, v149
	v_lshrrev_b32_e32 v150, 24, v150
	v_min_i32_e32 v160, 15, v149
	v_cndmask_b32_e64 v151, 7, v151, s13
	s_delay_alu instid0(VALU_DEP_3) | instskip(NEXT) | instid1(VALU_DEP_3)
	v_and_b32_e32 v150, 0x80, v150
	v_lshlrev_b32_e32 v160, 3, v160
	s_delay_alu instid0(VALU_DEP_3) | instskip(SKIP_1) | instid1(VALU_DEP_2)
	v_and_b32_e32 v161, 7, v151
	v_or_b32_e32 v149, v149, v151
	v_or3_b32 v150, v160, v150, v161
	s_delay_alu instid0(VALU_DEP_2) | instskip(NEXT) | instid1(VALU_DEP_1)
	v_cmp_ne_u32_e64 s13, 0, v149
	v_cndmask_b32_e64 v149, 0, v150, s13
.LBB4_1326:                             ;   in Loop: Header=BB4_1167 Depth=4
	s_or_b32 exec_lo, exec_lo, s35
.LBB4_1327:                             ;   in Loop: Header=BB4_1167 Depth=4
	s_delay_alu instid0(SALU_CYCLE_1) | instskip(SKIP_3) | instid1(VALU_DEP_1)
	s_or_b32 exec_lo, exec_lo, s29
	v_lshrrev_b32_e32 v151, 16, v14
	s_mov_b32 s14, 0
	s_mov_b32 s35, exec_lo
                                        ; implicit-def: $sgpr29
	v_and_b32_e32 v160, 0xff, v151
	s_delay_alu instid0(VALU_DEP_1)
	v_cmpx_lt_i16_e64 0x7f, v160
	s_xor_b32 s35, exec_lo, s35
	s_cbranch_execnz .LBB4_1501
; %bb.1328:                             ;   in Loop: Header=BB4_1167 Depth=4
	s_or_saveexec_b32 s35, s35
	v_mov_b32_e32 v150, s29
	s_xor_b32 exec_lo, exec_lo, s35
	s_cbranch_execnz .LBB4_1504
.LBB4_1329:                             ;   in Loop: Header=BB4_1167 Depth=4
	s_or_b32 exec_lo, exec_lo, s35
	s_and_saveexec_b32 s29, s14
	s_cbranch_execz .LBB4_1331
.LBB4_1330:                             ;   in Loop: Header=BB4_1167 Depth=4
	v_bfe_u32 v150, v14, 16, 3
	v_lshlrev_b32_e32 v162, 8, v14
	s_delay_alu instid0(VALU_DEP_2) | instskip(NEXT) | instid1(VALU_DEP_1)
	v_clz_i32_u32_e32 v160, v150
	v_min_u32_e32 v160, 32, v160
	s_delay_alu instid0(VALU_DEP_1) | instskip(SKIP_1) | instid1(VALU_DEP_2)
	v_subrev_nc_u32_e32 v161, 28, v160
	v_sub_nc_u32_e32 v160, 29, v160
	v_lshlrev_b32_e32 v151, v161, v151
	v_bfe_u32 v161, v14, 19, 4
	s_delay_alu instid0(VALU_DEP_2) | instskip(NEXT) | instid1(VALU_DEP_2)
	v_and_b32_e32 v151, 7, v151
	v_cmp_eq_u32_e64 s13, 0, v161
	s_delay_alu instid0(VALU_DEP_1) | instskip(NEXT) | instid1(VALU_DEP_3)
	v_cndmask_b32_e64 v160, v161, v160, s13
	v_cndmask_b32_e64 v150, v150, v151, s13
	v_and_b32_e32 v151, 0x80000000, v162
	s_delay_alu instid0(VALU_DEP_3) | instskip(NEXT) | instid1(VALU_DEP_3)
	v_lshl_add_u32 v160, v160, 23, 0x3b800000
	v_lshlrev_b32_e32 v150, 20, v150
	s_delay_alu instid0(VALU_DEP_1)
	v_or3_b32 v150, v151, v160, v150
.LBB4_1331:                             ;   in Loop: Header=BB4_1167 Depth=4
	s_or_b32 exec_lo, exec_lo, s29
	v_lshrrev_b32_e32 v151, 16, v10
	s_mov_b32 s14, 0
	s_mov_b32 s35, exec_lo
                                        ; implicit-def: $sgpr29
	s_delay_alu instid0(VALU_DEP_1) | instskip(NEXT) | instid1(VALU_DEP_1)
	v_and_b32_e32 v161, 0xff, v151
	v_cmpx_lt_i16_e64 0x7f, v161
	s_xor_b32 s35, exec_lo, s35
	s_cbranch_execnz .LBB4_1505
; %bb.1332:                             ;   in Loop: Header=BB4_1167 Depth=4
	s_or_saveexec_b32 s35, s35
	v_mov_b32_e32 v160, s29
	s_xor_b32 exec_lo, exec_lo, s35
	s_cbranch_execnz .LBB4_1508
.LBB4_1333:                             ;   in Loop: Header=BB4_1167 Depth=4
	s_or_b32 exec_lo, exec_lo, s35
	s_and_saveexec_b32 s29, s14
	s_cbranch_execz .LBB4_1335
.LBB4_1334:                             ;   in Loop: Header=BB4_1167 Depth=4
	v_bfe_u32 v160, v10, 16, 3
	v_lshlrev_b32_e32 v163, 8, v10
	s_delay_alu instid0(VALU_DEP_2) | instskip(NEXT) | instid1(VALU_DEP_1)
	v_clz_i32_u32_e32 v161, v160
	v_min_u32_e32 v161, 32, v161
	s_delay_alu instid0(VALU_DEP_1) | instskip(SKIP_1) | instid1(VALU_DEP_2)
	v_subrev_nc_u32_e32 v162, 28, v161
	v_sub_nc_u32_e32 v161, 29, v161
	v_lshlrev_b32_e32 v151, v162, v151
	v_bfe_u32 v162, v10, 19, 4
	s_delay_alu instid0(VALU_DEP_2) | instskip(NEXT) | instid1(VALU_DEP_2)
	v_and_b32_e32 v151, 7, v151
	v_cmp_eq_u32_e64 s13, 0, v162
	s_delay_alu instid0(VALU_DEP_1) | instskip(NEXT) | instid1(VALU_DEP_3)
	v_cndmask_b32_e64 v161, v162, v161, s13
	v_cndmask_b32_e64 v151, v160, v151, s13
	v_and_b32_e32 v160, 0x80000000, v163
	s_delay_alu instid0(VALU_DEP_3) | instskip(NEXT) | instid1(VALU_DEP_3)
	v_lshl_add_u32 v161, v161, 23, 0x3b800000
	v_lshlrev_b32_e32 v151, 20, v151
	s_delay_alu instid0(VALU_DEP_1)
	v_or3_b32 v160, v160, v161, v151
.LBB4_1335:                             ;   in Loop: Header=BB4_1167 Depth=4
	s_or_b32 exec_lo, exec_lo, s29
	s_delay_alu instid0(VALU_DEP_1) | instskip(NEXT) | instid1(VALU_DEP_1)
	v_add_f32_e32 v151, v150, v160
	v_and_b32_e32 v150, 0x7f800000, v151
	s_delay_alu instid0(VALU_DEP_1) | instskip(SKIP_1) | instid1(VALU_DEP_2)
	v_cmp_ne_u32_e64 s13, 0x7f800000, v150
	v_mov_b32_e32 v150, 0x80
	s_and_saveexec_b32 s29, s13
	s_cbranch_execz .LBB4_1343
; %bb.1336:                             ;   in Loop: Header=BB4_1167 Depth=4
	v_mov_b32_e32 v150, 0
	s_mov_b32 s35, exec_lo
	v_cmpx_ne_u32_e32 0, v151
	s_cbranch_execz .LBB4_1342
; %bb.1337:                             ;   in Loop: Header=BB4_1167 Depth=4
	v_bfe_u32 v150, v151, 23, 8
	v_and_b32_e32 v160, 0x7fffff, v151
	s_delay_alu instid0(VALU_DEP_2) | instskip(SKIP_1) | instid1(VALU_DEP_3)
	v_sub_nc_u32_e32 v161, 0x78, v150
	v_cmp_gt_u32_e64 s13, 0x79, v150
	v_or_b32_e32 v162, 0x800000, v160
	s_delay_alu instid0(VALU_DEP_2) | instskip(SKIP_2) | instid1(VALU_DEP_2)
	v_cndmask_b32_e64 v161, 0, v161, s13
	v_cmp_eq_u32_e64 s13, 0, v150
	v_add_nc_u32_e32 v150, 0xffffff89, v150
	v_cndmask_b32_e64 v161, v161, 0x77, s13
	v_cndmask_b32_e64 v160, v162, v160, s13
	s_delay_alu instid0(VALU_DEP_3) | instskip(NEXT) | instid1(VALU_DEP_3)
	v_cndmask_b32_e64 v150, v150, 0xffffff8a, s13
	v_lshl_add_u32 v162, 0x100000, v161, -1
	s_delay_alu instid0(VALU_DEP_3) | instskip(SKIP_1) | instid1(VALU_DEP_4)
	v_lshrrev_b32_e32 v163, v161, v160
	v_lshlrev_b32_e64 v165, v161, 0x80000
	v_add_nc_u32_e32 v161, v161, v150
	s_delay_alu instid0(VALU_DEP_4) | instskip(NEXT) | instid1(VALU_DEP_4)
	v_and_b32_e32 v160, v162, v160
	v_bfe_u32 v164, v163, 20, 1
	s_delay_alu instid0(VALU_DEP_2) | instskip(NEXT) | instid1(VALU_DEP_2)
	v_cmp_eq_u32_e64 s14, v160, v165
	v_add_nc_u32_e32 v162, -1, v164
	s_delay_alu instid0(VALU_DEP_1) | instskip(SKIP_2) | instid1(VALU_DEP_2)
	v_cndmask_b32_e64 v160, 0, v162, s14
	v_lshrrev_b32_e32 v162, 23, v163
	s_mov_b32 s14, exec_lo
	v_add_nc_u32_e32 v160, v160, v163
	s_delay_alu instid0(VALU_DEP_2) | instskip(NEXT) | instid1(VALU_DEP_2)
	v_xor_b32_e32 v162, 1, v162
	v_and_b32_e32 v150, 0xfffff, v160
	s_delay_alu instid0(VALU_DEP_1) | instskip(NEXT) | instid1(VALU_DEP_3)
	v_add_nc_u32_e32 v160, v150, v163
                                        ; implicit-def: $vgpr150
	v_cmpx_ne_u32_e64 v161, v162
	s_xor_b32 s14, exec_lo, s14
; %bb.1338:                             ;   in Loop: Header=BB4_1167 Depth=4
	s_delay_alu instid0(VALU_DEP_2) | instskip(SKIP_1) | instid1(VALU_DEP_2)
	v_cmp_lt_u32_e64 s13, 0xffffff, v160
	v_sub_nc_u32_e32 v150, v161, v162
	v_cndmask_b32_e64 v161, 0, 1, s13
	s_delay_alu instid0(VALU_DEP_2) | instskip(NEXT) | instid1(VALU_DEP_2)
	v_add_co_ci_u32_e64 v150, s13, 0, v150, s13
	v_lshrrev_b32_e32 v160, v161, v160
; %bb.1339:                             ;   in Loop: Header=BB4_1167 Depth=4
	s_and_not1_saveexec_b32 s13, s14
; %bb.1340:                             ;   in Loop: Header=BB4_1167 Depth=4
	s_delay_alu instid0(VALU_DEP_1)
	v_bfe_u32 v150, v160, 23, 1
; %bb.1341:                             ;   in Loop: Header=BB4_1167 Depth=4
	s_or_b32 exec_lo, exec_lo, s13
	v_lshrrev_b32_e32 v160, 20, v160
	s_delay_alu instid0(VALU_DEP_2) | instskip(SKIP_2) | instid1(VALU_DEP_3)
	v_cmp_gt_i32_e64 s13, 16, v150
	v_lshrrev_b32_e32 v151, 24, v151
	v_min_i32_e32 v161, 15, v150
	v_cndmask_b32_e64 v160, 7, v160, s13
	s_delay_alu instid0(VALU_DEP_3) | instskip(NEXT) | instid1(VALU_DEP_3)
	v_and_b32_e32 v151, 0x80, v151
	v_lshlrev_b32_e32 v161, 3, v161
	s_delay_alu instid0(VALU_DEP_3) | instskip(SKIP_1) | instid1(VALU_DEP_2)
	v_and_b32_e32 v162, 7, v160
	v_or_b32_e32 v150, v150, v160
	v_or3_b32 v151, v161, v151, v162
	s_delay_alu instid0(VALU_DEP_2) | instskip(NEXT) | instid1(VALU_DEP_1)
	v_cmp_ne_u32_e64 s13, 0, v150
	v_cndmask_b32_e64 v150, 0, v151, s13
.LBB4_1342:                             ;   in Loop: Header=BB4_1167 Depth=4
	s_or_b32 exec_lo, exec_lo, s35
.LBB4_1343:                             ;   in Loop: Header=BB4_1167 Depth=4
	s_delay_alu instid0(SALU_CYCLE_1) | instskip(SKIP_3) | instid1(VALU_DEP_1)
	s_or_b32 exec_lo, exec_lo, s29
	v_lshrrev_b32_e32 v160, 24, v14
	s_mov_b32 s14, 0
	s_mov_b32 s35, exec_lo
                                        ; implicit-def: $sgpr29
	v_cmpx_lt_i16_e64 0x7f, v160
	s_xor_b32 s35, exec_lo, s35
	s_cbranch_execnz .LBB4_1509
; %bb.1344:                             ;   in Loop: Header=BB4_1167 Depth=4
	s_or_saveexec_b32 s35, s35
	v_mov_b32_e32 v151, s29
	s_xor_b32 exec_lo, exec_lo, s35
	s_cbranch_execnz .LBB4_1512
.LBB4_1345:                             ;   in Loop: Header=BB4_1167 Depth=4
	s_or_b32 exec_lo, exec_lo, s35
	s_and_saveexec_b32 s29, s14
	s_cbranch_execz .LBB4_1347
.LBB4_1346:                             ;   in Loop: Header=BB4_1167 Depth=4
	v_bfe_u32 v151, v14, 24, 3
	s_delay_alu instid0(VALU_DEP_1) | instskip(NEXT) | instid1(VALU_DEP_1)
	v_clz_i32_u32_e32 v161, v151
	v_min_u32_e32 v161, 32, v161
	s_delay_alu instid0(VALU_DEP_1) | instskip(SKIP_1) | instid1(VALU_DEP_2)
	v_subrev_nc_u32_e32 v162, 28, v161
	v_sub_nc_u32_e32 v161, 29, v161
	v_lshlrev_b32_e32 v160, v162, v160
	v_bfe_u32 v162, v14, 27, 4
	v_and_b32_e32 v14, 0x80000000, v14
	s_delay_alu instid0(VALU_DEP_3) | instskip(NEXT) | instid1(VALU_DEP_3)
	v_and_b32_e32 v160, 7, v160
	v_cmp_eq_u32_e64 s13, 0, v162
	s_delay_alu instid0(VALU_DEP_1) | instskip(NEXT) | instid1(VALU_DEP_3)
	v_cndmask_b32_e64 v161, v162, v161, s13
	v_cndmask_b32_e64 v151, v151, v160, s13
	s_delay_alu instid0(VALU_DEP_2) | instskip(NEXT) | instid1(VALU_DEP_2)
	v_lshl_add_u32 v160, v161, 23, 0x3b800000
	v_lshlrev_b32_e32 v151, 20, v151
	s_delay_alu instid0(VALU_DEP_1)
	v_or3_b32 v151, v14, v160, v151
.LBB4_1347:                             ;   in Loop: Header=BB4_1167 Depth=4
	s_or_b32 exec_lo, exec_lo, s29
	v_lshrrev_b32_e32 v14, 24, v10
	s_mov_b32 s14, 0
	s_mov_b32 s35, exec_lo
                                        ; implicit-def: $sgpr29
	s_delay_alu instid0(VALU_DEP_1)
	v_cmpx_lt_i16_e32 0x7f, v14
	s_xor_b32 s35, exec_lo, s35
	s_cbranch_execnz .LBB4_1513
; %bb.1348:                             ;   in Loop: Header=BB4_1167 Depth=4
	s_or_saveexec_b32 s35, s35
	v_mov_b32_e32 v160, s29
	s_xor_b32 exec_lo, exec_lo, s35
	s_cbranch_execnz .LBB4_1516
.LBB4_1349:                             ;   in Loop: Header=BB4_1167 Depth=4
	s_or_b32 exec_lo, exec_lo, s35
	s_and_saveexec_b32 s29, s14
	s_cbranch_execz .LBB4_1351
.LBB4_1350:                             ;   in Loop: Header=BB4_1167 Depth=4
	v_bfe_u32 v160, v10, 24, 3
	s_delay_alu instid0(VALU_DEP_1) | instskip(NEXT) | instid1(VALU_DEP_1)
	v_clz_i32_u32_e32 v161, v160
	v_min_u32_e32 v161, 32, v161
	s_delay_alu instid0(VALU_DEP_1) | instskip(SKIP_1) | instid1(VALU_DEP_2)
	v_subrev_nc_u32_e32 v162, 28, v161
	v_sub_nc_u32_e32 v161, 29, v161
	v_lshlrev_b32_e32 v14, v162, v14
	v_bfe_u32 v162, v10, 27, 4
	v_and_b32_e32 v10, 0x80000000, v10
	s_delay_alu instid0(VALU_DEP_3) | instskip(NEXT) | instid1(VALU_DEP_3)
	v_and_b32_e32 v14, 7, v14
	v_cmp_eq_u32_e64 s13, 0, v162
	s_delay_alu instid0(VALU_DEP_1) | instskip(NEXT) | instid1(VALU_DEP_3)
	v_cndmask_b32_e64 v161, v162, v161, s13
	v_cndmask_b32_e64 v14, v160, v14, s13
	s_delay_alu instid0(VALU_DEP_2) | instskip(NEXT) | instid1(VALU_DEP_2)
	v_lshl_add_u32 v160, v161, 23, 0x3b800000
	v_lshlrev_b32_e32 v14, 20, v14
	s_delay_alu instid0(VALU_DEP_1)
	v_or3_b32 v160, v10, v160, v14
.LBB4_1351:                             ;   in Loop: Header=BB4_1167 Depth=4
	s_or_b32 exec_lo, exec_lo, s29
	s_delay_alu instid0(VALU_DEP_1) | instskip(NEXT) | instid1(VALU_DEP_1)
	v_add_f32_e32 v14, v151, v160
	v_and_b32_e32 v10, 0x7f800000, v14
	s_delay_alu instid0(VALU_DEP_1) | instskip(SKIP_1) | instid1(VALU_DEP_2)
	v_cmp_ne_u32_e64 s13, 0x7f800000, v10
	v_mov_b32_e32 v10, 0x80
	s_and_saveexec_b32 s29, s13
	s_cbranch_execz .LBB4_1359
; %bb.1352:                             ;   in Loop: Header=BB4_1167 Depth=4
	v_mov_b32_e32 v10, 0
	s_mov_b32 s35, exec_lo
	v_cmpx_ne_u32_e32 0, v14
	s_cbranch_execz .LBB4_1358
; %bb.1353:                             ;   in Loop: Header=BB4_1167 Depth=4
	v_bfe_u32 v10, v14, 23, 8
	v_and_b32_e32 v151, 0x7fffff, v14
	s_delay_alu instid0(VALU_DEP_2) | instskip(SKIP_1) | instid1(VALU_DEP_3)
	v_sub_nc_u32_e32 v160, 0x78, v10
	v_cmp_gt_u32_e64 s13, 0x79, v10
	v_or_b32_e32 v161, 0x800000, v151
	s_delay_alu instid0(VALU_DEP_2) | instskip(SKIP_2) | instid1(VALU_DEP_2)
	v_cndmask_b32_e64 v160, 0, v160, s13
	v_cmp_eq_u32_e64 s13, 0, v10
	v_add_nc_u32_e32 v10, 0xffffff89, v10
	v_cndmask_b32_e64 v160, v160, 0x77, s13
	v_cndmask_b32_e64 v151, v161, v151, s13
	s_delay_alu instid0(VALU_DEP_3) | instskip(NEXT) | instid1(VALU_DEP_3)
	v_cndmask_b32_e64 v10, v10, 0xffffff8a, s13
	v_lshl_add_u32 v161, 0x100000, v160, -1
	s_delay_alu instid0(VALU_DEP_3) | instskip(SKIP_1) | instid1(VALU_DEP_4)
	v_lshrrev_b32_e32 v162, v160, v151
	v_lshlrev_b32_e64 v164, v160, 0x80000
	v_add_nc_u32_e32 v160, v160, v10
	s_delay_alu instid0(VALU_DEP_4) | instskip(NEXT) | instid1(VALU_DEP_4)
	v_and_b32_e32 v151, v161, v151
	v_bfe_u32 v163, v162, 20, 1
	s_delay_alu instid0(VALU_DEP_2) | instskip(NEXT) | instid1(VALU_DEP_2)
	v_cmp_eq_u32_e64 s14, v151, v164
	v_add_nc_u32_e32 v161, -1, v163
	s_delay_alu instid0(VALU_DEP_1) | instskip(SKIP_2) | instid1(VALU_DEP_2)
	v_cndmask_b32_e64 v151, 0, v161, s14
	v_lshrrev_b32_e32 v161, 23, v162
	s_mov_b32 s14, exec_lo
	v_add_nc_u32_e32 v151, v151, v162
	s_delay_alu instid0(VALU_DEP_2) | instskip(NEXT) | instid1(VALU_DEP_2)
	v_xor_b32_e32 v161, 1, v161
	v_and_b32_e32 v10, 0xfffff, v151
	s_delay_alu instid0(VALU_DEP_1) | instskip(NEXT) | instid1(VALU_DEP_3)
	v_add_nc_u32_e32 v151, v10, v162
                                        ; implicit-def: $vgpr10
	v_cmpx_ne_u32_e64 v160, v161
	s_xor_b32 s14, exec_lo, s14
; %bb.1354:                             ;   in Loop: Header=BB4_1167 Depth=4
	s_delay_alu instid0(VALU_DEP_2) | instskip(SKIP_1) | instid1(VALU_DEP_2)
	v_cmp_lt_u32_e64 s13, 0xffffff, v151
	v_sub_nc_u32_e32 v10, v160, v161
	v_cndmask_b32_e64 v160, 0, 1, s13
	s_delay_alu instid0(VALU_DEP_2) | instskip(NEXT) | instid1(VALU_DEP_2)
	v_add_co_ci_u32_e64 v10, s13, 0, v10, s13
	v_lshrrev_b32_e32 v151, v160, v151
; %bb.1355:                             ;   in Loop: Header=BB4_1167 Depth=4
	s_and_not1_saveexec_b32 s13, s14
; %bb.1356:                             ;   in Loop: Header=BB4_1167 Depth=4
	s_delay_alu instid0(VALU_DEP_1)
	v_bfe_u32 v10, v151, 23, 1
; %bb.1357:                             ;   in Loop: Header=BB4_1167 Depth=4
	s_or_b32 exec_lo, exec_lo, s13
	v_lshrrev_b32_e32 v151, 20, v151
	s_delay_alu instid0(VALU_DEP_2) | instskip(SKIP_2) | instid1(VALU_DEP_3)
	v_cmp_gt_i32_e64 s13, 16, v10
	v_lshrrev_b32_e32 v14, 24, v14
	v_min_i32_e32 v160, 15, v10
	v_cndmask_b32_e64 v151, 7, v151, s13
	s_delay_alu instid0(VALU_DEP_3) | instskip(NEXT) | instid1(VALU_DEP_3)
	v_and_b32_e32 v14, 0x80, v14
	v_lshlrev_b32_e32 v160, 3, v160
	s_delay_alu instid0(VALU_DEP_3) | instskip(SKIP_1) | instid1(VALU_DEP_2)
	v_and_b32_e32 v161, 7, v151
	v_or_b32_e32 v10, v10, v151
	v_or3_b32 v14, v160, v14, v161
	s_delay_alu instid0(VALU_DEP_2) | instskip(NEXT) | instid1(VALU_DEP_1)
	v_cmp_ne_u32_e64 s13, 0, v10
	v_cndmask_b32_e64 v10, 0, v14, s13
.LBB4_1358:                             ;   in Loop: Header=BB4_1167 Depth=4
	s_or_b32 exec_lo, exec_lo, s35
.LBB4_1359:                             ;   in Loop: Header=BB4_1167 Depth=4
	s_delay_alu instid0(SALU_CYCLE_1) | instskip(SKIP_3) | instid1(VALU_DEP_1)
	s_or_b32 exec_lo, exec_lo, s29
	v_and_b32_e32 v151, 0xff, v15
	s_mov_b32 s14, 0
	s_mov_b32 s35, exec_lo
                                        ; implicit-def: $sgpr29
	v_cmpx_lt_i16_e64 0x7f, v151
	s_xor_b32 s35, exec_lo, s35
	s_cbranch_execnz .LBB4_1517
; %bb.1360:                             ;   in Loop: Header=BB4_1167 Depth=4
	s_or_saveexec_b32 s35, s35
	v_mov_b32_e32 v14, s29
	s_xor_b32 exec_lo, exec_lo, s35
	s_cbranch_execnz .LBB4_1520
.LBB4_1361:                             ;   in Loop: Header=BB4_1167 Depth=4
	s_or_b32 exec_lo, exec_lo, s35
	s_and_saveexec_b32 s29, s14
	s_cbranch_execz .LBB4_1363
.LBB4_1362:                             ;   in Loop: Header=BB4_1167 Depth=4
	v_and_b32_e32 v14, 7, v15
	v_bfe_u32 v161, v15, 3, 4
	v_lshlrev_b32_e32 v162, 24, v15
	s_delay_alu instid0(VALU_DEP_3) | instskip(NEXT) | instid1(VALU_DEP_3)
	v_clz_i32_u32_e32 v151, v14
	v_cmp_eq_u32_e64 s13, 0, v161
	s_delay_alu instid0(VALU_DEP_2) | instskip(NEXT) | instid1(VALU_DEP_1)
	v_min_u32_e32 v151, 32, v151
	v_subrev_nc_u32_e32 v160, 28, v151
	v_sub_nc_u32_e32 v151, 29, v151
	s_delay_alu instid0(VALU_DEP_2) | instskip(NEXT) | instid1(VALU_DEP_2)
	v_lshlrev_b32_e32 v160, v160, v15
	v_cndmask_b32_e64 v151, v161, v151, s13
	s_delay_alu instid0(VALU_DEP_2) | instskip(NEXT) | instid1(VALU_DEP_2)
	v_and_b32_e32 v160, 7, v160
	v_lshl_add_u32 v151, v151, 23, 0x3b800000
	s_delay_alu instid0(VALU_DEP_2) | instskip(SKIP_1) | instid1(VALU_DEP_2)
	v_cndmask_b32_e64 v14, v14, v160, s13
	v_and_b32_e32 v160, 0x80000000, v162
	v_lshlrev_b32_e32 v14, 20, v14
	s_delay_alu instid0(VALU_DEP_1)
	v_or3_b32 v14, v160, v151, v14
.LBB4_1363:                             ;   in Loop: Header=BB4_1167 Depth=4
	s_or_b32 exec_lo, exec_lo, s29
	v_and_b32_e32 v160, 0xff, v11
	s_mov_b32 s14, 0
	s_mov_b32 s35, exec_lo
                                        ; implicit-def: $sgpr29
	s_delay_alu instid0(VALU_DEP_1)
	v_cmpx_lt_i16_e64 0x7f, v160
	s_xor_b32 s35, exec_lo, s35
	s_cbranch_execnz .LBB4_1521
; %bb.1364:                             ;   in Loop: Header=BB4_1167 Depth=4
	s_or_saveexec_b32 s35, s35
	v_mov_b32_e32 v151, s29
	s_xor_b32 exec_lo, exec_lo, s35
	s_cbranch_execnz .LBB4_1524
.LBB4_1365:                             ;   in Loop: Header=BB4_1167 Depth=4
	s_or_b32 exec_lo, exec_lo, s35
	s_and_saveexec_b32 s29, s14
	s_cbranch_execz .LBB4_1367
.LBB4_1366:                             ;   in Loop: Header=BB4_1167 Depth=4
	v_and_b32_e32 v151, 7, v11
	v_bfe_u32 v162, v11, 3, 4
	v_lshlrev_b32_e32 v163, 24, v11
	s_delay_alu instid0(VALU_DEP_3) | instskip(NEXT) | instid1(VALU_DEP_3)
	v_clz_i32_u32_e32 v160, v151
	v_cmp_eq_u32_e64 s13, 0, v162
	s_delay_alu instid0(VALU_DEP_2) | instskip(NEXT) | instid1(VALU_DEP_1)
	v_min_u32_e32 v160, 32, v160
	v_subrev_nc_u32_e32 v161, 28, v160
	v_sub_nc_u32_e32 v160, 29, v160
	s_delay_alu instid0(VALU_DEP_2) | instskip(NEXT) | instid1(VALU_DEP_2)
	v_lshlrev_b32_e32 v161, v161, v11
	v_cndmask_b32_e64 v160, v162, v160, s13
	s_delay_alu instid0(VALU_DEP_2) | instskip(NEXT) | instid1(VALU_DEP_2)
	v_and_b32_e32 v161, 7, v161
	v_lshl_add_u32 v160, v160, 23, 0x3b800000
	s_delay_alu instid0(VALU_DEP_2) | instskip(SKIP_1) | instid1(VALU_DEP_2)
	v_cndmask_b32_e64 v151, v151, v161, s13
	v_and_b32_e32 v161, 0x80000000, v163
	v_lshlrev_b32_e32 v151, 20, v151
	s_delay_alu instid0(VALU_DEP_1)
	v_or3_b32 v151, v161, v160, v151
.LBB4_1367:                             ;   in Loop: Header=BB4_1167 Depth=4
	s_or_b32 exec_lo, exec_lo, s29
	s_delay_alu instid0(VALU_DEP_1) | instskip(NEXT) | instid1(VALU_DEP_1)
	v_add_f32_e32 v151, v14, v151
	v_and_b32_e32 v14, 0x7f800000, v151
	s_delay_alu instid0(VALU_DEP_1) | instskip(SKIP_1) | instid1(VALU_DEP_2)
	v_cmp_ne_u32_e64 s13, 0x7f800000, v14
	v_mov_b32_e32 v14, 0x80
	s_and_saveexec_b32 s29, s13
	s_cbranch_execz .LBB4_1375
; %bb.1368:                             ;   in Loop: Header=BB4_1167 Depth=4
	v_mov_b32_e32 v14, 0
	s_mov_b32 s35, exec_lo
	v_cmpx_ne_u32_e32 0, v151
	s_cbranch_execz .LBB4_1374
; %bb.1369:                             ;   in Loop: Header=BB4_1167 Depth=4
	v_bfe_u32 v14, v151, 23, 8
	v_and_b32_e32 v160, 0x7fffff, v151
	s_delay_alu instid0(VALU_DEP_2) | instskip(SKIP_1) | instid1(VALU_DEP_3)
	v_sub_nc_u32_e32 v161, 0x78, v14
	v_cmp_gt_u32_e64 s13, 0x79, v14
	v_or_b32_e32 v162, 0x800000, v160
	s_delay_alu instid0(VALU_DEP_2) | instskip(SKIP_2) | instid1(VALU_DEP_2)
	v_cndmask_b32_e64 v161, 0, v161, s13
	v_cmp_eq_u32_e64 s13, 0, v14
	v_add_nc_u32_e32 v14, 0xffffff89, v14
	v_cndmask_b32_e64 v161, v161, 0x77, s13
	v_cndmask_b32_e64 v160, v162, v160, s13
	s_delay_alu instid0(VALU_DEP_3) | instskip(NEXT) | instid1(VALU_DEP_3)
	v_cndmask_b32_e64 v14, v14, 0xffffff8a, s13
	v_lshl_add_u32 v162, 0x100000, v161, -1
	s_delay_alu instid0(VALU_DEP_3) | instskip(SKIP_1) | instid1(VALU_DEP_4)
	v_lshrrev_b32_e32 v163, v161, v160
	v_lshlrev_b32_e64 v165, v161, 0x80000
	v_add_nc_u32_e32 v161, v161, v14
	s_delay_alu instid0(VALU_DEP_4) | instskip(NEXT) | instid1(VALU_DEP_4)
	v_and_b32_e32 v160, v162, v160
	v_bfe_u32 v164, v163, 20, 1
	s_delay_alu instid0(VALU_DEP_2) | instskip(NEXT) | instid1(VALU_DEP_2)
	v_cmp_eq_u32_e64 s14, v160, v165
	v_add_nc_u32_e32 v162, -1, v164
	s_delay_alu instid0(VALU_DEP_1) | instskip(SKIP_2) | instid1(VALU_DEP_2)
	v_cndmask_b32_e64 v160, 0, v162, s14
	v_lshrrev_b32_e32 v162, 23, v163
	s_mov_b32 s14, exec_lo
	v_add_nc_u32_e32 v160, v160, v163
	s_delay_alu instid0(VALU_DEP_2) | instskip(NEXT) | instid1(VALU_DEP_2)
	v_xor_b32_e32 v162, 1, v162
	v_and_b32_e32 v14, 0xfffff, v160
	s_delay_alu instid0(VALU_DEP_1) | instskip(NEXT) | instid1(VALU_DEP_3)
	v_add_nc_u32_e32 v160, v14, v163
                                        ; implicit-def: $vgpr14
	v_cmpx_ne_u32_e64 v161, v162
	s_xor_b32 s14, exec_lo, s14
; %bb.1370:                             ;   in Loop: Header=BB4_1167 Depth=4
	s_delay_alu instid0(VALU_DEP_2) | instskip(SKIP_1) | instid1(VALU_DEP_2)
	v_cmp_lt_u32_e64 s13, 0xffffff, v160
	v_sub_nc_u32_e32 v14, v161, v162
	v_cndmask_b32_e64 v161, 0, 1, s13
	s_delay_alu instid0(VALU_DEP_2) | instskip(NEXT) | instid1(VALU_DEP_2)
	v_add_co_ci_u32_e64 v14, s13, 0, v14, s13
	v_lshrrev_b32_e32 v160, v161, v160
; %bb.1371:                             ;   in Loop: Header=BB4_1167 Depth=4
	s_and_not1_saveexec_b32 s13, s14
; %bb.1372:                             ;   in Loop: Header=BB4_1167 Depth=4
	s_delay_alu instid0(VALU_DEP_1)
	v_bfe_u32 v14, v160, 23, 1
; %bb.1373:                             ;   in Loop: Header=BB4_1167 Depth=4
	s_or_b32 exec_lo, exec_lo, s13
	v_lshrrev_b32_e32 v160, 20, v160
	s_delay_alu instid0(VALU_DEP_2) | instskip(SKIP_2) | instid1(VALU_DEP_3)
	v_cmp_gt_i32_e64 s13, 16, v14
	v_lshrrev_b32_e32 v151, 24, v151
	v_min_i32_e32 v161, 15, v14
	v_cndmask_b32_e64 v160, 7, v160, s13
	s_delay_alu instid0(VALU_DEP_3) | instskip(NEXT) | instid1(VALU_DEP_3)
	v_and_b32_e32 v151, 0x80, v151
	v_lshlrev_b32_e32 v161, 3, v161
	s_delay_alu instid0(VALU_DEP_3) | instskip(SKIP_1) | instid1(VALU_DEP_2)
	v_and_b32_e32 v162, 7, v160
	v_or_b32_e32 v14, v14, v160
	v_or3_b32 v151, v161, v151, v162
	s_delay_alu instid0(VALU_DEP_2) | instskip(NEXT) | instid1(VALU_DEP_1)
	v_cmp_ne_u32_e64 s13, 0, v14
	v_cndmask_b32_e64 v14, 0, v151, s13
.LBB4_1374:                             ;   in Loop: Header=BB4_1167 Depth=4
	s_or_b32 exec_lo, exec_lo, s35
.LBB4_1375:                             ;   in Loop: Header=BB4_1167 Depth=4
	s_delay_alu instid0(SALU_CYCLE_1) | instskip(SKIP_3) | instid1(VALU_DEP_1)
	s_or_b32 exec_lo, exec_lo, s29
	v_lshrrev_b16 v160, 8, v15
	s_mov_b32 s14, 0
	s_mov_b32 s35, exec_lo
                                        ; implicit-def: $sgpr29
	v_cmpx_lt_i16_e64 0x7f, v160
	s_xor_b32 s35, exec_lo, s35
	s_cbranch_execnz .LBB4_1525
; %bb.1376:                             ;   in Loop: Header=BB4_1167 Depth=4
	s_or_saveexec_b32 s35, s35
	v_mov_b32_e32 v151, s29
	s_xor_b32 exec_lo, exec_lo, s35
	s_cbranch_execnz .LBB4_1528
.LBB4_1377:                             ;   in Loop: Header=BB4_1167 Depth=4
	s_or_b32 exec_lo, exec_lo, s35
	s_and_saveexec_b32 s29, s14
	s_cbranch_execz .LBB4_1379
.LBB4_1378:                             ;   in Loop: Header=BB4_1167 Depth=4
	v_and_b32_e32 v151, 0xffff, v160
	v_lshlrev_b32_e32 v160, 24, v160
	s_delay_alu instid0(VALU_DEP_2) | instskip(NEXT) | instid1(VALU_DEP_2)
	v_and_b32_e32 v161, 7, v151
	v_and_b32_e32 v160, 0x80000000, v160
	s_delay_alu instid0(VALU_DEP_2) | instskip(NEXT) | instid1(VALU_DEP_1)
	v_clz_i32_u32_e32 v162, v161
	v_min_u32_e32 v162, 32, v162
	s_delay_alu instid0(VALU_DEP_1) | instskip(SKIP_1) | instid1(VALU_DEP_2)
	v_subrev_nc_u32_e32 v163, 28, v162
	v_sub_nc_u32_e32 v162, 29, v162
	v_lshlrev_b32_e32 v163, v163, v151
	v_bfe_u32 v151, v151, 3, 4
	s_delay_alu instid0(VALU_DEP_2) | instskip(NEXT) | instid1(VALU_DEP_2)
	v_and_b32_e32 v163, 7, v163
	v_cmp_eq_u32_e64 s13, 0, v151
	s_delay_alu instid0(VALU_DEP_1) | instskip(NEXT) | instid1(VALU_DEP_3)
	v_cndmask_b32_e64 v151, v151, v162, s13
	v_cndmask_b32_e64 v161, v161, v163, s13
	s_delay_alu instid0(VALU_DEP_2) | instskip(NEXT) | instid1(VALU_DEP_2)
	v_lshl_add_u32 v151, v151, 23, 0x3b800000
	v_lshlrev_b32_e32 v161, 20, v161
	s_delay_alu instid0(VALU_DEP_1)
	v_or3_b32 v151, v160, v151, v161
.LBB4_1379:                             ;   in Loop: Header=BB4_1167 Depth=4
	s_or_b32 exec_lo, exec_lo, s29
	v_lshrrev_b16 v160, 8, v11
	s_mov_b32 s14, 0
	s_mov_b32 s35, exec_lo
                                        ; implicit-def: $sgpr29
	s_delay_alu instid0(VALU_DEP_1)
	v_cmpx_lt_i16_e64 0x7f, v160
	s_xor_b32 s35, exec_lo, s35
	s_cbranch_execnz .LBB4_1529
; %bb.1380:                             ;   in Loop: Header=BB4_1167 Depth=4
	s_or_saveexec_b32 s35, s35
	v_mov_b32_e32 v161, s29
	s_xor_b32 exec_lo, exec_lo, s35
	s_cbranch_execnz .LBB4_1532
.LBB4_1381:                             ;   in Loop: Header=BB4_1167 Depth=4
	s_or_b32 exec_lo, exec_lo, s35
	s_and_saveexec_b32 s29, s14
	s_cbranch_execz .LBB4_1383
.LBB4_1382:                             ;   in Loop: Header=BB4_1167 Depth=4
	v_and_b32_e32 v161, 0xffff, v160
	v_lshlrev_b32_e32 v160, 24, v160
	s_delay_alu instid0(VALU_DEP_2) | instskip(NEXT) | instid1(VALU_DEP_2)
	v_and_b32_e32 v162, 7, v161
	v_and_b32_e32 v160, 0x80000000, v160
	s_delay_alu instid0(VALU_DEP_2) | instskip(NEXT) | instid1(VALU_DEP_1)
	v_clz_i32_u32_e32 v163, v162
	v_min_u32_e32 v163, 32, v163
	s_delay_alu instid0(VALU_DEP_1) | instskip(SKIP_1) | instid1(VALU_DEP_2)
	v_subrev_nc_u32_e32 v164, 28, v163
	v_sub_nc_u32_e32 v163, 29, v163
	v_lshlrev_b32_e32 v164, v164, v161
	v_bfe_u32 v161, v161, 3, 4
	s_delay_alu instid0(VALU_DEP_2) | instskip(NEXT) | instid1(VALU_DEP_2)
	v_and_b32_e32 v164, 7, v164
	v_cmp_eq_u32_e64 s13, 0, v161
	s_delay_alu instid0(VALU_DEP_1) | instskip(NEXT) | instid1(VALU_DEP_3)
	v_cndmask_b32_e64 v161, v161, v163, s13
	v_cndmask_b32_e64 v162, v162, v164, s13
	s_delay_alu instid0(VALU_DEP_2) | instskip(NEXT) | instid1(VALU_DEP_2)
	v_lshl_add_u32 v161, v161, 23, 0x3b800000
	v_lshlrev_b32_e32 v162, 20, v162
	s_delay_alu instid0(VALU_DEP_1)
	v_or3_b32 v161, v160, v161, v162
.LBB4_1383:                             ;   in Loop: Header=BB4_1167 Depth=4
	s_or_b32 exec_lo, exec_lo, s29
	s_delay_alu instid0(VALU_DEP_1) | instskip(NEXT) | instid1(VALU_DEP_1)
	v_add_f32_e32 v160, v151, v161
	v_and_b32_e32 v151, 0x7f800000, v160
	s_delay_alu instid0(VALU_DEP_1) | instskip(SKIP_1) | instid1(VALU_DEP_2)
	v_cmp_ne_u32_e64 s13, 0x7f800000, v151
	v_mov_b32_e32 v151, 0x8000
	s_and_saveexec_b32 s29, s13
	s_cbranch_execz .LBB4_1391
; %bb.1384:                             ;   in Loop: Header=BB4_1167 Depth=4
	v_mov_b32_e32 v151, 0
	s_mov_b32 s35, exec_lo
	v_cmpx_ne_u32_e32 0, v160
	s_cbranch_execz .LBB4_1390
; %bb.1385:                             ;   in Loop: Header=BB4_1167 Depth=4
	v_bfe_u32 v151, v160, 23, 8
	v_and_b32_e32 v161, 0x7fffff, v160
	s_delay_alu instid0(VALU_DEP_2) | instskip(SKIP_1) | instid1(VALU_DEP_3)
	v_sub_nc_u32_e32 v162, 0x78, v151
	v_cmp_gt_u32_e64 s13, 0x79, v151
	v_or_b32_e32 v163, 0x800000, v161
	s_delay_alu instid0(VALU_DEP_2) | instskip(SKIP_2) | instid1(VALU_DEP_2)
	v_cndmask_b32_e64 v162, 0, v162, s13
	v_cmp_eq_u32_e64 s13, 0, v151
	v_add_nc_u32_e32 v151, 0xffffff89, v151
	v_cndmask_b32_e64 v162, v162, 0x77, s13
	v_cndmask_b32_e64 v161, v163, v161, s13
	s_delay_alu instid0(VALU_DEP_3) | instskip(NEXT) | instid1(VALU_DEP_3)
	v_cndmask_b32_e64 v151, v151, 0xffffff8a, s13
	v_lshl_add_u32 v163, 0x100000, v162, -1
	s_delay_alu instid0(VALU_DEP_3) | instskip(SKIP_1) | instid1(VALU_DEP_4)
	v_lshrrev_b32_e32 v164, v162, v161
	v_lshlrev_b32_e64 v166, v162, 0x80000
	v_add_nc_u32_e32 v162, v162, v151
	s_delay_alu instid0(VALU_DEP_4) | instskip(NEXT) | instid1(VALU_DEP_4)
	v_and_b32_e32 v161, v163, v161
	v_bfe_u32 v165, v164, 20, 1
	s_delay_alu instid0(VALU_DEP_2) | instskip(NEXT) | instid1(VALU_DEP_2)
	v_cmp_eq_u32_e64 s14, v161, v166
	v_add_nc_u32_e32 v163, -1, v165
	s_delay_alu instid0(VALU_DEP_1) | instskip(SKIP_2) | instid1(VALU_DEP_2)
	v_cndmask_b32_e64 v161, 0, v163, s14
	v_lshrrev_b32_e32 v163, 23, v164
	s_mov_b32 s14, exec_lo
	v_add_nc_u32_e32 v161, v161, v164
	s_delay_alu instid0(VALU_DEP_2) | instskip(NEXT) | instid1(VALU_DEP_2)
	v_xor_b32_e32 v163, 1, v163
	v_and_b32_e32 v151, 0xfffff, v161
	s_delay_alu instid0(VALU_DEP_1) | instskip(NEXT) | instid1(VALU_DEP_3)
	v_add_nc_u32_e32 v161, v151, v164
                                        ; implicit-def: $vgpr151
	v_cmpx_ne_u32_e64 v162, v163
	s_xor_b32 s14, exec_lo, s14
; %bb.1386:                             ;   in Loop: Header=BB4_1167 Depth=4
	s_delay_alu instid0(VALU_DEP_2) | instskip(SKIP_1) | instid1(VALU_DEP_2)
	v_cmp_lt_u32_e64 s13, 0xffffff, v161
	v_sub_nc_u32_e32 v151, v162, v163
	v_cndmask_b32_e64 v162, 0, 1, s13
	s_delay_alu instid0(VALU_DEP_2) | instskip(NEXT) | instid1(VALU_DEP_2)
	v_add_co_ci_u32_e64 v151, s13, 0, v151, s13
	v_lshrrev_b32_e32 v161, v162, v161
; %bb.1387:                             ;   in Loop: Header=BB4_1167 Depth=4
	s_and_not1_saveexec_b32 s13, s14
; %bb.1388:                             ;   in Loop: Header=BB4_1167 Depth=4
	s_delay_alu instid0(VALU_DEP_1)
	v_bfe_u32 v151, v161, 23, 1
; %bb.1389:                             ;   in Loop: Header=BB4_1167 Depth=4
	s_or_b32 exec_lo, exec_lo, s13
	v_lshrrev_b32_e32 v161, 20, v161
	s_delay_alu instid0(VALU_DEP_2) | instskip(SKIP_2) | instid1(VALU_DEP_3)
	v_min_i32_e32 v162, 15, v151
	v_cmp_gt_i32_e64 s13, 16, v151
	v_lshrrev_b32_e32 v160, 24, v160
	v_lshlrev_b32_e32 v162, 3, v162
	s_delay_alu instid0(VALU_DEP_3) | instskip(NEXT) | instid1(VALU_DEP_3)
	v_cndmask_b32_e64 v161, 7, v161, s13
	v_and_b32_e32 v160, 0x80, v160
	s_delay_alu instid0(VALU_DEP_3) | instskip(NEXT) | instid1(VALU_DEP_3)
	v_and_b32_e32 v162, 0xf8, v162
	v_and_b32_e32 v163, 7, v161
	v_or_b32_e32 v151, v151, v161
	s_delay_alu instid0(VALU_DEP_2) | instskip(NEXT) | instid1(VALU_DEP_2)
	v_or3_b32 v160, v160, v162, v163
	v_cmp_ne_u32_e64 s13, 0, v151
	s_delay_alu instid0(VALU_DEP_2) | instskip(NEXT) | instid1(VALU_DEP_1)
	v_lshlrev_b32_e32 v160, 8, v160
	v_cndmask_b32_e64 v151, 0, v160, s13
.LBB4_1390:                             ;   in Loop: Header=BB4_1167 Depth=4
	s_or_b32 exec_lo, exec_lo, s35
.LBB4_1391:                             ;   in Loop: Header=BB4_1167 Depth=4
	s_delay_alu instid0(SALU_CYCLE_1) | instskip(SKIP_3) | instid1(VALU_DEP_1)
	s_or_b32 exec_lo, exec_lo, s29
	v_lshrrev_b32_e32 v161, 16, v15
	s_mov_b32 s14, 0
	s_mov_b32 s35, exec_lo
                                        ; implicit-def: $sgpr29
	v_and_b32_e32 v162, 0xff, v161
	s_delay_alu instid0(VALU_DEP_1)
	v_cmpx_lt_i16_e64 0x7f, v162
	s_xor_b32 s35, exec_lo, s35
	s_cbranch_execnz .LBB4_1533
; %bb.1392:                             ;   in Loop: Header=BB4_1167 Depth=4
	s_or_saveexec_b32 s35, s35
	v_mov_b32_e32 v160, s29
	s_xor_b32 exec_lo, exec_lo, s35
	s_cbranch_execnz .LBB4_1536
.LBB4_1393:                             ;   in Loop: Header=BB4_1167 Depth=4
	s_or_b32 exec_lo, exec_lo, s35
	s_and_saveexec_b32 s29, s14
	s_cbranch_execz .LBB4_1395
.LBB4_1394:                             ;   in Loop: Header=BB4_1167 Depth=4
	v_bfe_u32 v160, v15, 16, 3
	v_lshlrev_b32_e32 v164, 8, v15
	s_delay_alu instid0(VALU_DEP_2) | instskip(NEXT) | instid1(VALU_DEP_1)
	v_clz_i32_u32_e32 v162, v160
	v_min_u32_e32 v162, 32, v162
	s_delay_alu instid0(VALU_DEP_1) | instskip(SKIP_1) | instid1(VALU_DEP_2)
	v_subrev_nc_u32_e32 v163, 28, v162
	v_sub_nc_u32_e32 v162, 29, v162
	v_lshlrev_b32_e32 v161, v163, v161
	v_bfe_u32 v163, v15, 19, 4
	s_delay_alu instid0(VALU_DEP_2) | instskip(NEXT) | instid1(VALU_DEP_2)
	v_and_b32_e32 v161, 7, v161
	v_cmp_eq_u32_e64 s13, 0, v163
	s_delay_alu instid0(VALU_DEP_1) | instskip(NEXT) | instid1(VALU_DEP_3)
	v_cndmask_b32_e64 v162, v163, v162, s13
	v_cndmask_b32_e64 v160, v160, v161, s13
	v_and_b32_e32 v161, 0x80000000, v164
	s_delay_alu instid0(VALU_DEP_3) | instskip(NEXT) | instid1(VALU_DEP_3)
	v_lshl_add_u32 v162, v162, 23, 0x3b800000
	v_lshlrev_b32_e32 v160, 20, v160
	s_delay_alu instid0(VALU_DEP_1)
	v_or3_b32 v160, v161, v162, v160
.LBB4_1395:                             ;   in Loop: Header=BB4_1167 Depth=4
	s_or_b32 exec_lo, exec_lo, s29
	v_lshrrev_b32_e32 v161, 16, v11
	s_mov_b32 s14, 0
	s_mov_b32 s35, exec_lo
                                        ; implicit-def: $sgpr29
	s_delay_alu instid0(VALU_DEP_1) | instskip(NEXT) | instid1(VALU_DEP_1)
	v_and_b32_e32 v163, 0xff, v161
	v_cmpx_lt_i16_e64 0x7f, v163
	s_xor_b32 s35, exec_lo, s35
	s_cbranch_execnz .LBB4_1537
; %bb.1396:                             ;   in Loop: Header=BB4_1167 Depth=4
	s_or_saveexec_b32 s35, s35
	v_mov_b32_e32 v162, s29
	s_xor_b32 exec_lo, exec_lo, s35
	s_cbranch_execnz .LBB4_1540
.LBB4_1397:                             ;   in Loop: Header=BB4_1167 Depth=4
	s_or_b32 exec_lo, exec_lo, s35
	s_and_saveexec_b32 s29, s14
	s_cbranch_execz .LBB4_1399
.LBB4_1398:                             ;   in Loop: Header=BB4_1167 Depth=4
	v_bfe_u32 v162, v11, 16, 3
	v_lshlrev_b32_e32 v165, 8, v11
	s_delay_alu instid0(VALU_DEP_2) | instskip(NEXT) | instid1(VALU_DEP_1)
	v_clz_i32_u32_e32 v163, v162
	v_min_u32_e32 v163, 32, v163
	s_delay_alu instid0(VALU_DEP_1) | instskip(SKIP_1) | instid1(VALU_DEP_2)
	v_subrev_nc_u32_e32 v164, 28, v163
	v_sub_nc_u32_e32 v163, 29, v163
	v_lshlrev_b32_e32 v161, v164, v161
	v_bfe_u32 v164, v11, 19, 4
	s_delay_alu instid0(VALU_DEP_2) | instskip(NEXT) | instid1(VALU_DEP_2)
	v_and_b32_e32 v161, 7, v161
	v_cmp_eq_u32_e64 s13, 0, v164
	s_delay_alu instid0(VALU_DEP_1) | instskip(NEXT) | instid1(VALU_DEP_3)
	v_cndmask_b32_e64 v163, v164, v163, s13
	v_cndmask_b32_e64 v161, v162, v161, s13
	v_and_b32_e32 v162, 0x80000000, v165
	s_delay_alu instid0(VALU_DEP_3) | instskip(NEXT) | instid1(VALU_DEP_3)
	v_lshl_add_u32 v163, v163, 23, 0x3b800000
	v_lshlrev_b32_e32 v161, 20, v161
	s_delay_alu instid0(VALU_DEP_1)
	v_or3_b32 v162, v162, v163, v161
.LBB4_1399:                             ;   in Loop: Header=BB4_1167 Depth=4
	s_or_b32 exec_lo, exec_lo, s29
	s_delay_alu instid0(VALU_DEP_1) | instskip(NEXT) | instid1(VALU_DEP_1)
	v_add_f32_e32 v161, v160, v162
	v_and_b32_e32 v160, 0x7f800000, v161
	s_delay_alu instid0(VALU_DEP_1) | instskip(SKIP_1) | instid1(VALU_DEP_2)
	v_cmp_ne_u32_e64 s13, 0x7f800000, v160
	v_mov_b32_e32 v160, 0x80
	s_and_saveexec_b32 s29, s13
	s_cbranch_execz .LBB4_1407
; %bb.1400:                             ;   in Loop: Header=BB4_1167 Depth=4
	v_mov_b32_e32 v160, 0
	s_mov_b32 s35, exec_lo
	v_cmpx_ne_u32_e32 0, v161
	s_cbranch_execz .LBB4_1406
; %bb.1401:                             ;   in Loop: Header=BB4_1167 Depth=4
	v_bfe_u32 v160, v161, 23, 8
	v_and_b32_e32 v162, 0x7fffff, v161
	s_delay_alu instid0(VALU_DEP_2) | instskip(SKIP_1) | instid1(VALU_DEP_3)
	v_sub_nc_u32_e32 v163, 0x78, v160
	v_cmp_gt_u32_e64 s13, 0x79, v160
	v_or_b32_e32 v164, 0x800000, v162
	s_delay_alu instid0(VALU_DEP_2) | instskip(SKIP_2) | instid1(VALU_DEP_2)
	v_cndmask_b32_e64 v163, 0, v163, s13
	v_cmp_eq_u32_e64 s13, 0, v160
	v_add_nc_u32_e32 v160, 0xffffff89, v160
	v_cndmask_b32_e64 v163, v163, 0x77, s13
	v_cndmask_b32_e64 v162, v164, v162, s13
	s_delay_alu instid0(VALU_DEP_3) | instskip(NEXT) | instid1(VALU_DEP_3)
	v_cndmask_b32_e64 v160, v160, 0xffffff8a, s13
	v_lshl_add_u32 v164, 0x100000, v163, -1
	s_delay_alu instid0(VALU_DEP_3) | instskip(SKIP_1) | instid1(VALU_DEP_4)
	v_lshrrev_b32_e32 v165, v163, v162
	v_lshlrev_b32_e64 v167, v163, 0x80000
	v_add_nc_u32_e32 v163, v163, v160
	s_delay_alu instid0(VALU_DEP_4) | instskip(NEXT) | instid1(VALU_DEP_4)
	v_and_b32_e32 v162, v164, v162
	v_bfe_u32 v166, v165, 20, 1
	s_delay_alu instid0(VALU_DEP_2) | instskip(NEXT) | instid1(VALU_DEP_2)
	v_cmp_eq_u32_e64 s14, v162, v167
	v_add_nc_u32_e32 v164, -1, v166
	s_delay_alu instid0(VALU_DEP_1) | instskip(SKIP_2) | instid1(VALU_DEP_2)
	v_cndmask_b32_e64 v162, 0, v164, s14
	v_lshrrev_b32_e32 v164, 23, v165
	s_mov_b32 s14, exec_lo
	v_add_nc_u32_e32 v162, v162, v165
	s_delay_alu instid0(VALU_DEP_2) | instskip(NEXT) | instid1(VALU_DEP_2)
	v_xor_b32_e32 v164, 1, v164
	v_and_b32_e32 v160, 0xfffff, v162
	s_delay_alu instid0(VALU_DEP_1) | instskip(NEXT) | instid1(VALU_DEP_3)
	v_add_nc_u32_e32 v162, v160, v165
                                        ; implicit-def: $vgpr160
	v_cmpx_ne_u32_e64 v163, v164
	s_xor_b32 s14, exec_lo, s14
; %bb.1402:                             ;   in Loop: Header=BB4_1167 Depth=4
	s_delay_alu instid0(VALU_DEP_2) | instskip(SKIP_1) | instid1(VALU_DEP_2)
	v_cmp_lt_u32_e64 s13, 0xffffff, v162
	v_sub_nc_u32_e32 v160, v163, v164
	v_cndmask_b32_e64 v163, 0, 1, s13
	s_delay_alu instid0(VALU_DEP_2) | instskip(NEXT) | instid1(VALU_DEP_2)
	v_add_co_ci_u32_e64 v160, s13, 0, v160, s13
	v_lshrrev_b32_e32 v162, v163, v162
; %bb.1403:                             ;   in Loop: Header=BB4_1167 Depth=4
	s_and_not1_saveexec_b32 s13, s14
; %bb.1404:                             ;   in Loop: Header=BB4_1167 Depth=4
	s_delay_alu instid0(VALU_DEP_1)
	v_bfe_u32 v160, v162, 23, 1
; %bb.1405:                             ;   in Loop: Header=BB4_1167 Depth=4
	s_or_b32 exec_lo, exec_lo, s13
	v_lshrrev_b32_e32 v162, 20, v162
	s_delay_alu instid0(VALU_DEP_2) | instskip(SKIP_2) | instid1(VALU_DEP_3)
	v_min_i32_e32 v163, 15, v160
	v_cmp_gt_i32_e64 s13, 16, v160
	v_lshrrev_b32_e32 v161, 24, v161
	v_lshlrev_b32_e32 v163, 3, v163
	s_delay_alu instid0(VALU_DEP_3) | instskip(NEXT) | instid1(VALU_DEP_3)
	v_cndmask_b32_e64 v162, 7, v162, s13
	v_and_b32_e32 v161, 0x80, v161
	s_delay_alu instid0(VALU_DEP_3) | instskip(NEXT) | instid1(VALU_DEP_3)
	v_and_b32_e32 v163, 0xf8, v163
	v_and_b32_e32 v164, 7, v162
	v_or_b32_e32 v160, v160, v162
	s_delay_alu instid0(VALU_DEP_2) | instskip(NEXT) | instid1(VALU_DEP_2)
	v_or3_b32 v161, v163, v161, v164
	v_cmp_ne_u32_e64 s13, 0, v160
	s_delay_alu instid0(VALU_DEP_1)
	v_cndmask_b32_e64 v160, 0, v161, s13
.LBB4_1406:                             ;   in Loop: Header=BB4_1167 Depth=4
	s_or_b32 exec_lo, exec_lo, s35
.LBB4_1407:                             ;   in Loop: Header=BB4_1167 Depth=4
	s_delay_alu instid0(SALU_CYCLE_1) | instskip(SKIP_3) | instid1(VALU_DEP_1)
	s_or_b32 exec_lo, exec_lo, s29
	v_lshrrev_b32_e32 v162, 24, v15
	s_mov_b32 s14, 0
	s_mov_b32 s35, exec_lo
                                        ; implicit-def: $sgpr29
	v_cmpx_lt_i16_e64 0x7f, v162
	s_xor_b32 s35, exec_lo, s35
	s_cbranch_execnz .LBB4_1541
; %bb.1408:                             ;   in Loop: Header=BB4_1167 Depth=4
	s_or_saveexec_b32 s35, s35
	v_mov_b32_e32 v161, s29
	s_xor_b32 exec_lo, exec_lo, s35
	s_cbranch_execnz .LBB4_1544
.LBB4_1409:                             ;   in Loop: Header=BB4_1167 Depth=4
	s_or_b32 exec_lo, exec_lo, s35
	s_and_saveexec_b32 s29, s14
	s_cbranch_execz .LBB4_1411
.LBB4_1410:                             ;   in Loop: Header=BB4_1167 Depth=4
	v_bfe_u32 v161, v15, 24, 3
	s_delay_alu instid0(VALU_DEP_1) | instskip(NEXT) | instid1(VALU_DEP_1)
	v_clz_i32_u32_e32 v163, v161
	v_min_u32_e32 v163, 32, v163
	s_delay_alu instid0(VALU_DEP_1) | instskip(SKIP_1) | instid1(VALU_DEP_2)
	v_subrev_nc_u32_e32 v164, 28, v163
	v_sub_nc_u32_e32 v163, 29, v163
	v_lshlrev_b32_e32 v162, v164, v162
	v_bfe_u32 v164, v15, 27, 4
	v_and_b32_e32 v15, 0x80000000, v15
	s_delay_alu instid0(VALU_DEP_3) | instskip(NEXT) | instid1(VALU_DEP_3)
	v_and_b32_e32 v162, 7, v162
	v_cmp_eq_u32_e64 s13, 0, v164
	s_delay_alu instid0(VALU_DEP_1) | instskip(NEXT) | instid1(VALU_DEP_3)
	v_cndmask_b32_e64 v163, v164, v163, s13
	v_cndmask_b32_e64 v161, v161, v162, s13
	s_delay_alu instid0(VALU_DEP_2) | instskip(NEXT) | instid1(VALU_DEP_2)
	v_lshl_add_u32 v162, v163, 23, 0x3b800000
	v_lshlrev_b32_e32 v161, 20, v161
	s_delay_alu instid0(VALU_DEP_1)
	v_or3_b32 v161, v15, v162, v161
.LBB4_1411:                             ;   in Loop: Header=BB4_1167 Depth=4
	s_or_b32 exec_lo, exec_lo, s29
	v_lshrrev_b32_e32 v15, 24, v11
	s_mov_b32 s14, 0
	s_mov_b32 s35, exec_lo
                                        ; implicit-def: $sgpr29
	s_delay_alu instid0(VALU_DEP_1)
	v_cmpx_lt_i16_e32 0x7f, v15
	s_xor_b32 s35, exec_lo, s35
	s_cbranch_execnz .LBB4_1545
; %bb.1412:                             ;   in Loop: Header=BB4_1167 Depth=4
	s_or_saveexec_b32 s35, s35
	v_mov_b32_e32 v162, s29
	s_xor_b32 exec_lo, exec_lo, s35
	s_cbranch_execnz .LBB4_1548
.LBB4_1413:                             ;   in Loop: Header=BB4_1167 Depth=4
	s_or_b32 exec_lo, exec_lo, s35
	s_and_saveexec_b32 s29, s14
	s_cbranch_execz .LBB4_1415
.LBB4_1414:                             ;   in Loop: Header=BB4_1167 Depth=4
	v_bfe_u32 v162, v11, 24, 3
	s_delay_alu instid0(VALU_DEP_1) | instskip(NEXT) | instid1(VALU_DEP_1)
	v_clz_i32_u32_e32 v163, v162
	v_min_u32_e32 v163, 32, v163
	s_delay_alu instid0(VALU_DEP_1) | instskip(SKIP_1) | instid1(VALU_DEP_2)
	v_subrev_nc_u32_e32 v164, 28, v163
	v_sub_nc_u32_e32 v163, 29, v163
	v_lshlrev_b32_e32 v15, v164, v15
	v_bfe_u32 v164, v11, 27, 4
	v_and_b32_e32 v11, 0x80000000, v11
	s_delay_alu instid0(VALU_DEP_3) | instskip(NEXT) | instid1(VALU_DEP_3)
	v_and_b32_e32 v15, 7, v15
	v_cmp_eq_u32_e64 s13, 0, v164
	s_delay_alu instid0(VALU_DEP_1) | instskip(NEXT) | instid1(VALU_DEP_3)
	v_cndmask_b32_e64 v163, v164, v163, s13
	v_cndmask_b32_e64 v15, v162, v15, s13
	s_delay_alu instid0(VALU_DEP_2) | instskip(NEXT) | instid1(VALU_DEP_2)
	v_lshl_add_u32 v162, v163, 23, 0x3b800000
	v_lshlrev_b32_e32 v15, 20, v15
	s_delay_alu instid0(VALU_DEP_1)
	v_or3_b32 v162, v11, v162, v15
.LBB4_1415:                             ;   in Loop: Header=BB4_1167 Depth=4
	s_or_b32 exec_lo, exec_lo, s29
	s_delay_alu instid0(VALU_DEP_1) | instskip(NEXT) | instid1(VALU_DEP_1)
	v_add_f32_e32 v11, v161, v162
	v_and_b32_e32 v15, 0x7f800000, v11
	s_delay_alu instid0(VALU_DEP_1) | instskip(SKIP_1) | instid1(VALU_DEP_2)
	v_cmp_ne_u32_e64 s13, 0x7f800000, v15
	v_mov_b32_e32 v15, 0x8000
	s_and_saveexec_b32 s29, s13
	s_cbranch_execz .LBB4_1166
; %bb.1416:                             ;   in Loop: Header=BB4_1167 Depth=4
	v_mov_b32_e32 v15, 0
	s_mov_b32 s35, exec_lo
	v_cmpx_ne_u32_e32 0, v11
	s_cbranch_execz .LBB4_1165
; %bb.1417:                             ;   in Loop: Header=BB4_1167 Depth=4
	v_bfe_u32 v15, v11, 23, 8
	v_and_b32_e32 v161, 0x7fffff, v11
	s_delay_alu instid0(VALU_DEP_2) | instskip(SKIP_1) | instid1(VALU_DEP_3)
	v_sub_nc_u32_e32 v162, 0x78, v15
	v_cmp_gt_u32_e64 s13, 0x79, v15
	v_or_b32_e32 v163, 0x800000, v161
	s_delay_alu instid0(VALU_DEP_2) | instskip(SKIP_2) | instid1(VALU_DEP_2)
	v_cndmask_b32_e64 v162, 0, v162, s13
	v_cmp_eq_u32_e64 s13, 0, v15
	v_add_nc_u32_e32 v15, 0xffffff89, v15
	v_cndmask_b32_e64 v162, v162, 0x77, s13
	v_cndmask_b32_e64 v161, v163, v161, s13
	s_delay_alu instid0(VALU_DEP_3) | instskip(NEXT) | instid1(VALU_DEP_3)
	v_cndmask_b32_e64 v15, v15, 0xffffff8a, s13
	v_lshl_add_u32 v163, 0x100000, v162, -1
	s_delay_alu instid0(VALU_DEP_3) | instskip(SKIP_1) | instid1(VALU_DEP_4)
	v_lshrrev_b32_e32 v164, v162, v161
	v_lshlrev_b32_e64 v166, v162, 0x80000
	v_add_nc_u32_e32 v162, v162, v15
	s_delay_alu instid0(VALU_DEP_4) | instskip(NEXT) | instid1(VALU_DEP_4)
	v_and_b32_e32 v161, v163, v161
	v_bfe_u32 v165, v164, 20, 1
	s_delay_alu instid0(VALU_DEP_2) | instskip(NEXT) | instid1(VALU_DEP_2)
	v_cmp_eq_u32_e64 s14, v161, v166
	v_add_nc_u32_e32 v163, -1, v165
	s_delay_alu instid0(VALU_DEP_1) | instskip(SKIP_2) | instid1(VALU_DEP_2)
	v_cndmask_b32_e64 v161, 0, v163, s14
	v_lshrrev_b32_e32 v163, 23, v164
	s_mov_b32 s14, exec_lo
	v_add_nc_u32_e32 v161, v161, v164
	s_delay_alu instid0(VALU_DEP_2) | instskip(NEXT) | instid1(VALU_DEP_2)
	v_xor_b32_e32 v163, 1, v163
	v_and_b32_e32 v15, 0xfffff, v161
	s_delay_alu instid0(VALU_DEP_1) | instskip(NEXT) | instid1(VALU_DEP_3)
	v_add_nc_u32_e32 v161, v15, v164
                                        ; implicit-def: $vgpr15
	v_cmpx_ne_u32_e64 v162, v163
	s_xor_b32 s14, exec_lo, s14
; %bb.1418:                             ;   in Loop: Header=BB4_1167 Depth=4
	s_delay_alu instid0(VALU_DEP_2) | instskip(SKIP_1) | instid1(VALU_DEP_2)
	v_cmp_lt_u32_e64 s13, 0xffffff, v161
	v_sub_nc_u32_e32 v15, v162, v163
	v_cndmask_b32_e64 v162, 0, 1, s13
	s_delay_alu instid0(VALU_DEP_2) | instskip(NEXT) | instid1(VALU_DEP_2)
	v_add_co_ci_u32_e64 v15, s13, 0, v15, s13
	v_lshrrev_b32_e32 v161, v162, v161
; %bb.1419:                             ;   in Loop: Header=BB4_1167 Depth=4
	s_and_not1_saveexec_b32 s13, s14
	s_cbranch_execz .LBB4_1164
; %bb.1420:                             ;   in Loop: Header=BB4_1167 Depth=4
	s_delay_alu instid0(VALU_DEP_1)
	v_bfe_u32 v15, v161, 23, 1
	s_branch .LBB4_1164
.LBB4_1421:                             ;   in Loop: Header=BB4_1167 Depth=4
	s_mov_b32 s14, -1
	s_mov_b32 s36, exec_lo
                                        ; implicit-def: $sgpr29
	v_cmpx_eq_u16_e32 0x80, v84
; %bb.1422:                             ;   in Loop: Header=BB4_1167 Depth=4
	s_mov_b32 s29, 0x7f800001
	s_xor_b32 s14, exec_lo, -1
; %bb.1423:                             ;   in Loop: Header=BB4_1167 Depth=4
	s_or_b32 exec_lo, exec_lo, s36
	s_delay_alu instid0(SALU_CYCLE_1)
	s_and_b32 s14, s14, exec_lo
                                        ; implicit-def: $vgpr84
	s_or_saveexec_b32 s35, s35
	v_mov_b32_e32 v83, s29
	s_xor_b32 exec_lo, exec_lo, s35
	s_cbranch_execz .LBB4_1169
.LBB4_1424:                             ;   in Loop: Header=BB4_1167 Depth=4
	v_cmp_ne_u16_e64 s13, 0, v84
	v_mov_b32_e32 v83, 0
	s_and_not1_b32 s14, s14, exec_lo
	s_delay_alu instid0(VALU_DEP_2) | instskip(NEXT) | instid1(SALU_CYCLE_1)
	s_and_b32 s13, s13, exec_lo
	s_or_b32 s14, s14, s13
	s_or_b32 exec_lo, exec_lo, s35
	s_and_saveexec_b32 s29, s14
	s_cbranch_execnz .LBB4_1170
	s_branch .LBB4_1171
.LBB4_1425:                             ;   in Loop: Header=BB4_1167 Depth=4
	s_mov_b32 s14, -1
	s_mov_b32 s36, exec_lo
                                        ; implicit-def: $sgpr29
	v_cmpx_eq_u16_e32 0x80, v85
; %bb.1426:                             ;   in Loop: Header=BB4_1167 Depth=4
	s_mov_b32 s29, 0x7f800001
	s_xor_b32 s14, exec_lo, -1
; %bb.1427:                             ;   in Loop: Header=BB4_1167 Depth=4
	s_or_b32 exec_lo, exec_lo, s36
	s_delay_alu instid0(SALU_CYCLE_1)
	s_and_b32 s14, s14, exec_lo
                                        ; implicit-def: $vgpr85
	s_or_saveexec_b32 s35, s35
	v_mov_b32_e32 v84, s29
	s_xor_b32 exec_lo, exec_lo, s35
	s_cbranch_execz .LBB4_1173
.LBB4_1428:                             ;   in Loop: Header=BB4_1167 Depth=4
	v_cmp_ne_u16_e64 s13, 0, v85
	v_mov_b32_e32 v84, 0
	s_and_not1_b32 s14, s14, exec_lo
	s_delay_alu instid0(VALU_DEP_2) | instskip(NEXT) | instid1(SALU_CYCLE_1)
	s_and_b32 s13, s13, exec_lo
	s_or_b32 s14, s14, s13
	s_or_b32 exec_lo, exec_lo, s35
	s_and_saveexec_b32 s29, s14
	s_cbranch_execnz .LBB4_1174
	s_branch .LBB4_1175
.LBB4_1429:                             ;   in Loop: Header=BB4_1167 Depth=4
	s_mov_b32 s14, -1
	s_mov_b32 s36, exec_lo
                                        ; implicit-def: $sgpr29
	v_cmpx_eq_u16_e32 0x80, v85
; %bb.1430:                             ;   in Loop: Header=BB4_1167 Depth=4
	s_mov_b32 s29, 0x7f800001
	s_xor_b32 s14, exec_lo, -1
; %bb.1431:                             ;   in Loop: Header=BB4_1167 Depth=4
	s_or_b32 exec_lo, exec_lo, s36
	s_delay_alu instid0(SALU_CYCLE_1)
	s_and_b32 s14, s14, exec_lo
	s_or_saveexec_b32 s35, s35
	v_mov_b32_e32 v84, s29
	s_xor_b32 exec_lo, exec_lo, s35
	s_cbranch_execz .LBB4_1185
.LBB4_1432:                             ;   in Loop: Header=BB4_1167 Depth=4
	v_cmp_ne_u16_e64 s13, 0, v85
	v_mov_b32_e32 v84, 0
	s_and_not1_b32 s14, s14, exec_lo
	s_delay_alu instid0(VALU_DEP_2) | instskip(NEXT) | instid1(SALU_CYCLE_1)
	s_and_b32 s13, s13, exec_lo
	s_or_b32 s14, s14, s13
	s_or_b32 exec_lo, exec_lo, s35
	s_and_saveexec_b32 s29, s14
	s_cbranch_execnz .LBB4_1186
	s_branch .LBB4_1187
.LBB4_1433:                             ;   in Loop: Header=BB4_1167 Depth=4
	s_mov_b32 s14, -1
	s_mov_b32 s36, exec_lo
                                        ; implicit-def: $sgpr29
	v_cmpx_eq_u16_e32 0x80, v85
; %bb.1434:                             ;   in Loop: Header=BB4_1167 Depth=4
	s_mov_b32 s29, 0x7f800001
	s_xor_b32 s14, exec_lo, -1
; %bb.1435:                             ;   in Loop: Header=BB4_1167 Depth=4
	s_or_b32 exec_lo, exec_lo, s36
	s_delay_alu instid0(SALU_CYCLE_1)
	s_and_b32 s14, s14, exec_lo
	s_or_saveexec_b32 s35, s35
	v_mov_b32_e32 v147, s29
	s_xor_b32 exec_lo, exec_lo, s35
	s_cbranch_execz .LBB4_1189
.LBB4_1436:                             ;   in Loop: Header=BB4_1167 Depth=4
	v_cmp_ne_u16_e64 s13, 0, v85
	v_mov_b32_e32 v147, 0
	s_and_not1_b32 s14, s14, exec_lo
	s_delay_alu instid0(VALU_DEP_2) | instskip(NEXT) | instid1(SALU_CYCLE_1)
	s_and_b32 s13, s13, exec_lo
	s_or_b32 s14, s14, s13
	s_or_b32 exec_lo, exec_lo, s35
	s_and_saveexec_b32 s29, s14
	s_cbranch_execnz .LBB4_1190
	s_branch .LBB4_1191
.LBB4_1437:                             ;   in Loop: Header=BB4_1167 Depth=4
	s_mov_b32 s14, -1
	s_mov_b32 s36, exec_lo
                                        ; implicit-def: $sgpr29
	v_cmpx_eq_u16_e64 0x80, v148
; %bb.1438:                             ;   in Loop: Header=BB4_1167 Depth=4
	s_mov_b32 s29, 0x7f800001
	s_xor_b32 s14, exec_lo, -1
; %bb.1439:                             ;   in Loop: Header=BB4_1167 Depth=4
	s_or_b32 exec_lo, exec_lo, s36
	s_delay_alu instid0(SALU_CYCLE_1)
	s_and_b32 s14, s14, exec_lo
                                        ; implicit-def: $vgpr148
	s_or_saveexec_b32 s35, s35
	v_mov_b32_e32 v85, s29
	s_xor_b32 exec_lo, exec_lo, s35
	s_cbranch_execz .LBB4_1201
.LBB4_1440:                             ;   in Loop: Header=BB4_1167 Depth=4
	v_cmp_ne_u16_e64 s13, 0, v148
	v_mov_b32_e32 v85, 0
	s_and_not1_b32 s14, s14, exec_lo
	s_delay_alu instid0(VALU_DEP_2) | instskip(NEXT) | instid1(SALU_CYCLE_1)
	s_and_b32 s13, s13, exec_lo
	s_or_b32 s14, s14, s13
	s_or_b32 exec_lo, exec_lo, s35
	s_and_saveexec_b32 s29, s14
	s_cbranch_execnz .LBB4_1202
	s_branch .LBB4_1203
.LBB4_1441:                             ;   in Loop: Header=BB4_1167 Depth=4
	s_mov_b32 s14, -1
	s_mov_b32 s36, exec_lo
                                        ; implicit-def: $sgpr29
	v_cmpx_eq_u16_e64 0x80, v149
; %bb.1442:                             ;   in Loop: Header=BB4_1167 Depth=4
	s_mov_b32 s29, 0x7f800001
	s_xor_b32 s14, exec_lo, -1
; %bb.1443:                             ;   in Loop: Header=BB4_1167 Depth=4
	s_or_b32 exec_lo, exec_lo, s36
	s_delay_alu instid0(SALU_CYCLE_1)
	s_and_b32 s14, s14, exec_lo
                                        ; implicit-def: $vgpr149
	s_or_saveexec_b32 s35, s35
	v_mov_b32_e32 v148, s29
	s_xor_b32 exec_lo, exec_lo, s35
	s_cbranch_execz .LBB4_1205
.LBB4_1444:                             ;   in Loop: Header=BB4_1167 Depth=4
	v_cmp_ne_u16_e64 s13, 0, v149
	v_mov_b32_e32 v148, 0
	s_and_not1_b32 s14, s14, exec_lo
	s_delay_alu instid0(VALU_DEP_2) | instskip(NEXT) | instid1(SALU_CYCLE_1)
	s_and_b32 s13, s13, exec_lo
	s_or_b32 s14, s14, s13
	s_or_b32 exec_lo, exec_lo, s35
	s_and_saveexec_b32 s29, s14
	s_cbranch_execnz .LBB4_1206
	s_branch .LBB4_1207
.LBB4_1445:                             ;   in Loop: Header=BB4_1167 Depth=4
	s_mov_b32 s14, -1
	s_mov_b32 s36, exec_lo
                                        ; implicit-def: $sgpr29
	v_cmpx_eq_u16_e64 0x80, v148
; %bb.1446:                             ;   in Loop: Header=BB4_1167 Depth=4
	s_mov_b32 s29, 0x7f800001
	s_xor_b32 s14, exec_lo, -1
; %bb.1447:                             ;   in Loop: Header=BB4_1167 Depth=4
	s_or_b32 exec_lo, exec_lo, s36
	s_delay_alu instid0(SALU_CYCLE_1)
	s_and_b32 s14, s14, exec_lo
	s_or_saveexec_b32 s35, s35
	v_mov_b32_e32 v147, s29
	s_xor_b32 exec_lo, exec_lo, s35
	s_cbranch_execz .LBB4_1217
.LBB4_1448:                             ;   in Loop: Header=BB4_1167 Depth=4
	v_cmp_ne_u16_e64 s13, 0, v148
	v_mov_b32_e32 v147, 0
	s_and_not1_b32 s14, s14, exec_lo
	s_delay_alu instid0(VALU_DEP_2) | instskip(NEXT) | instid1(SALU_CYCLE_1)
	s_and_b32 s13, s13, exec_lo
	s_or_b32 s14, s14, s13
	s_or_b32 exec_lo, exec_lo, s35
	s_and_saveexec_b32 s29, s14
	s_cbranch_execnz .LBB4_1218
	s_branch .LBB4_1219
.LBB4_1449:                             ;   in Loop: Header=BB4_1167 Depth=4
	s_mov_b32 s14, -1
	s_mov_b32 s36, exec_lo
                                        ; implicit-def: $sgpr29
	v_cmpx_eq_u16_e32 0x80, v12
; %bb.1450:                             ;   in Loop: Header=BB4_1167 Depth=4
	s_mov_b32 s29, 0x7f800001
	s_xor_b32 s14, exec_lo, -1
; %bb.1451:                             ;   in Loop: Header=BB4_1167 Depth=4
	s_or_b32 exec_lo, exec_lo, s36
	s_delay_alu instid0(SALU_CYCLE_1)
	s_and_b32 s14, s14, exec_lo
	s_or_saveexec_b32 s35, s35
	v_mov_b32_e32 v148, s29
	s_xor_b32 exec_lo, exec_lo, s35
	s_cbranch_execz .LBB4_1221
.LBB4_1452:                             ;   in Loop: Header=BB4_1167 Depth=4
	v_cmp_ne_u16_e64 s13, 0, v12
	v_mov_b32_e32 v148, 0
	s_and_not1_b32 s14, s14, exec_lo
	s_delay_alu instid0(VALU_DEP_2) | instskip(NEXT) | instid1(SALU_CYCLE_1)
	s_and_b32 s13, s13, exec_lo
	s_or_b32 s14, s14, s13
	s_or_b32 exec_lo, exec_lo, s35
	s_and_saveexec_b32 s29, s14
	s_cbranch_execnz .LBB4_1222
	s_branch .LBB4_1223
.LBB4_1453:                             ;   in Loop: Header=BB4_1167 Depth=4
	s_mov_b32 s14, -1
	s_mov_b32 s36, exec_lo
                                        ; implicit-def: $sgpr29
	v_cmpx_eq_u16_e64 0x80, v147
; %bb.1454:                             ;   in Loop: Header=BB4_1167 Depth=4
	s_mov_b32 s29, 0x7f800001
	s_xor_b32 s14, exec_lo, -1
; %bb.1455:                             ;   in Loop: Header=BB4_1167 Depth=4
	s_or_b32 exec_lo, exec_lo, s36
	s_delay_alu instid0(SALU_CYCLE_1)
	s_and_b32 s14, s14, exec_lo
                                        ; implicit-def: $vgpr147
	s_or_saveexec_b32 s35, s35
	v_mov_b32_e32 v12, s29
	s_xor_b32 exec_lo, exec_lo, s35
	s_cbranch_execz .LBB4_1233
.LBB4_1456:                             ;   in Loop: Header=BB4_1167 Depth=4
	v_cmp_ne_u16_e64 s13, 0, v147
	v_mov_b32_e32 v12, 0
	s_and_not1_b32 s14, s14, exec_lo
	s_delay_alu instid0(VALU_DEP_2) | instskip(NEXT) | instid1(SALU_CYCLE_1)
	s_and_b32 s13, s13, exec_lo
	s_or_b32 s14, s14, s13
	s_or_b32 exec_lo, exec_lo, s35
	s_and_saveexec_b32 s29, s14
	s_cbranch_execnz .LBB4_1234
	s_branch .LBB4_1235
.LBB4_1457:                             ;   in Loop: Header=BB4_1167 Depth=4
	s_mov_b32 s14, -1
	s_mov_b32 s36, exec_lo
                                        ; implicit-def: $sgpr29
	v_cmpx_eq_u16_e64 0x80, v148
; %bb.1458:                             ;   in Loop: Header=BB4_1167 Depth=4
	s_mov_b32 s29, 0x7f800001
	s_xor_b32 s14, exec_lo, -1
; %bb.1459:                             ;   in Loop: Header=BB4_1167 Depth=4
	s_or_b32 exec_lo, exec_lo, s36
	s_delay_alu instid0(SALU_CYCLE_1)
	s_and_b32 s14, s14, exec_lo
                                        ; implicit-def: $vgpr148
	s_or_saveexec_b32 s35, s35
	v_mov_b32_e32 v147, s29
	s_xor_b32 exec_lo, exec_lo, s35
	s_cbranch_execz .LBB4_1237
.LBB4_1460:                             ;   in Loop: Header=BB4_1167 Depth=4
	v_cmp_ne_u16_e64 s13, 0, v148
	v_mov_b32_e32 v147, 0
	s_and_not1_b32 s14, s14, exec_lo
	s_delay_alu instid0(VALU_DEP_2) | instskip(NEXT) | instid1(SALU_CYCLE_1)
	s_and_b32 s13, s13, exec_lo
	s_or_b32 s14, s14, s13
	s_or_b32 exec_lo, exec_lo, s35
	s_and_saveexec_b32 s29, s14
	s_cbranch_execnz .LBB4_1238
	s_branch .LBB4_1239
.LBB4_1461:                             ;   in Loop: Header=BB4_1167 Depth=4
	s_mov_b32 s14, -1
	s_mov_b32 s36, exec_lo
                                        ; implicit-def: $sgpr29
	v_cmpx_eq_u16_e64 0x80, v148
; %bb.1462:                             ;   in Loop: Header=BB4_1167 Depth=4
	s_mov_b32 s29, 0x7f800001
	s_xor_b32 s14, exec_lo, -1
; %bb.1463:                             ;   in Loop: Header=BB4_1167 Depth=4
	s_or_b32 exec_lo, exec_lo, s36
	s_delay_alu instid0(SALU_CYCLE_1)
	s_and_b32 s14, s14, exec_lo
	s_or_saveexec_b32 s35, s35
	v_mov_b32_e32 v147, s29
	s_xor_b32 exec_lo, exec_lo, s35
	s_cbranch_execz .LBB4_1249
.LBB4_1464:                             ;   in Loop: Header=BB4_1167 Depth=4
	v_cmp_ne_u16_e64 s13, 0, v148
	v_mov_b32_e32 v147, 0
	s_and_not1_b32 s14, s14, exec_lo
	s_delay_alu instid0(VALU_DEP_2) | instskip(NEXT) | instid1(SALU_CYCLE_1)
	s_and_b32 s13, s13, exec_lo
	s_or_b32 s14, s14, s13
	s_or_b32 exec_lo, exec_lo, s35
	s_and_saveexec_b32 s29, s14
	s_cbranch_execnz .LBB4_1250
	s_branch .LBB4_1251
.LBB4_1465:                             ;   in Loop: Header=BB4_1167 Depth=4
	s_mov_b32 s14, -1
	s_mov_b32 s36, exec_lo
                                        ; implicit-def: $sgpr29
	v_cmpx_eq_u16_e64 0x80, v148
; %bb.1466:                             ;   in Loop: Header=BB4_1167 Depth=4
	s_mov_b32 s29, 0x7f800001
	s_xor_b32 s14, exec_lo, -1
; %bb.1467:                             ;   in Loop: Header=BB4_1167 Depth=4
	s_or_b32 exec_lo, exec_lo, s36
	s_delay_alu instid0(SALU_CYCLE_1)
	s_and_b32 s14, s14, exec_lo
	s_or_saveexec_b32 s35, s35
	v_mov_b32_e32 v149, s29
	s_xor_b32 exec_lo, exec_lo, s35
	s_cbranch_execz .LBB4_1253
.LBB4_1468:                             ;   in Loop: Header=BB4_1167 Depth=4
	v_cmp_ne_u16_e64 s13, 0, v148
	v_mov_b32_e32 v149, 0
	s_and_not1_b32 s14, s14, exec_lo
	s_delay_alu instid0(VALU_DEP_2) | instskip(NEXT) | instid1(SALU_CYCLE_1)
	s_and_b32 s13, s13, exec_lo
	s_or_b32 s14, s14, s13
	s_or_b32 exec_lo, exec_lo, s35
	s_and_saveexec_b32 s29, s14
	s_cbranch_execnz .LBB4_1254
	s_branch .LBB4_1255
.LBB4_1469:                             ;   in Loop: Header=BB4_1167 Depth=4
	s_mov_b32 s14, -1
	s_mov_b32 s36, exec_lo
                                        ; implicit-def: $sgpr29
	v_cmpx_eq_u16_e64 0x80, v150
; %bb.1470:                             ;   in Loop: Header=BB4_1167 Depth=4
	s_mov_b32 s29, 0x7f800001
	s_xor_b32 s14, exec_lo, -1
; %bb.1471:                             ;   in Loop: Header=BB4_1167 Depth=4
	s_or_b32 exec_lo, exec_lo, s36
	s_delay_alu instid0(SALU_CYCLE_1)
	s_and_b32 s14, s14, exec_lo
                                        ; implicit-def: $vgpr150
	s_or_saveexec_b32 s35, s35
	v_mov_b32_e32 v148, s29
	s_xor_b32 exec_lo, exec_lo, s35
	s_cbranch_execz .LBB4_1265
.LBB4_1472:                             ;   in Loop: Header=BB4_1167 Depth=4
	v_cmp_ne_u16_e64 s13, 0, v150
	v_mov_b32_e32 v148, 0
	s_and_not1_b32 s14, s14, exec_lo
	s_delay_alu instid0(VALU_DEP_2) | instskip(NEXT) | instid1(SALU_CYCLE_1)
	s_and_b32 s13, s13, exec_lo
	s_or_b32 s14, s14, s13
	s_or_b32 exec_lo, exec_lo, s35
	s_and_saveexec_b32 s29, s14
	s_cbranch_execnz .LBB4_1266
	s_branch .LBB4_1267
.LBB4_1473:                             ;   in Loop: Header=BB4_1167 Depth=4
	s_mov_b32 s14, -1
	s_mov_b32 s36, exec_lo
                                        ; implicit-def: $sgpr29
	v_cmpx_eq_u16_e64 0x80, v151
; %bb.1474:                             ;   in Loop: Header=BB4_1167 Depth=4
	s_mov_b32 s29, 0x7f800001
	s_xor_b32 s14, exec_lo, -1
; %bb.1475:                             ;   in Loop: Header=BB4_1167 Depth=4
	s_or_b32 exec_lo, exec_lo, s36
	s_delay_alu instid0(SALU_CYCLE_1)
	s_and_b32 s14, s14, exec_lo
                                        ; implicit-def: $vgpr151
	s_or_saveexec_b32 s35, s35
	v_mov_b32_e32 v150, s29
	s_xor_b32 exec_lo, exec_lo, s35
	s_cbranch_execz .LBB4_1269
.LBB4_1476:                             ;   in Loop: Header=BB4_1167 Depth=4
	v_cmp_ne_u16_e64 s13, 0, v151
	v_mov_b32_e32 v150, 0
	s_and_not1_b32 s14, s14, exec_lo
	s_delay_alu instid0(VALU_DEP_2) | instskip(NEXT) | instid1(SALU_CYCLE_1)
	s_and_b32 s13, s13, exec_lo
	s_or_b32 s14, s14, s13
	s_or_b32 exec_lo, exec_lo, s35
	s_and_saveexec_b32 s29, s14
	s_cbranch_execnz .LBB4_1270
	s_branch .LBB4_1271
.LBB4_1477:                             ;   in Loop: Header=BB4_1167 Depth=4
	s_mov_b32 s14, -1
	s_mov_b32 s36, exec_lo
                                        ; implicit-def: $sgpr29
	v_cmpx_eq_u16_e64 0x80, v150
; %bb.1478:                             ;   in Loop: Header=BB4_1167 Depth=4
	s_mov_b32 s29, 0x7f800001
	s_xor_b32 s14, exec_lo, -1
; %bb.1479:                             ;   in Loop: Header=BB4_1167 Depth=4
	s_or_b32 exec_lo, exec_lo, s36
	s_delay_alu instid0(SALU_CYCLE_1)
	s_and_b32 s14, s14, exec_lo
	s_or_saveexec_b32 s35, s35
	v_mov_b32_e32 v149, s29
	s_xor_b32 exec_lo, exec_lo, s35
	s_cbranch_execz .LBB4_1281
.LBB4_1480:                             ;   in Loop: Header=BB4_1167 Depth=4
	v_cmp_ne_u16_e64 s13, 0, v150
	v_mov_b32_e32 v149, 0
	s_and_not1_b32 s14, s14, exec_lo
	s_delay_alu instid0(VALU_DEP_2) | instskip(NEXT) | instid1(SALU_CYCLE_1)
	s_and_b32 s13, s13, exec_lo
	s_or_b32 s14, s14, s13
	s_or_b32 exec_lo, exec_lo, s35
	s_and_saveexec_b32 s29, s14
	s_cbranch_execnz .LBB4_1282
	s_branch .LBB4_1283
.LBB4_1481:                             ;   in Loop: Header=BB4_1167 Depth=4
	s_mov_b32 s14, -1
	s_mov_b32 s36, exec_lo
                                        ; implicit-def: $sgpr29
	v_cmpx_eq_u16_e32 0x80, v13
; %bb.1482:                             ;   in Loop: Header=BB4_1167 Depth=4
	s_mov_b32 s29, 0x7f800001
	s_xor_b32 s14, exec_lo, -1
; %bb.1483:                             ;   in Loop: Header=BB4_1167 Depth=4
	s_or_b32 exec_lo, exec_lo, s36
	s_delay_alu instid0(SALU_CYCLE_1)
	s_and_b32 s14, s14, exec_lo
	s_or_saveexec_b32 s35, s35
	v_mov_b32_e32 v150, s29
	s_xor_b32 exec_lo, exec_lo, s35
	s_cbranch_execz .LBB4_1285
.LBB4_1484:                             ;   in Loop: Header=BB4_1167 Depth=4
	v_cmp_ne_u16_e64 s13, 0, v13
	v_mov_b32_e32 v150, 0
	s_and_not1_b32 s14, s14, exec_lo
	s_delay_alu instid0(VALU_DEP_2) | instskip(NEXT) | instid1(SALU_CYCLE_1)
	s_and_b32 s13, s13, exec_lo
	s_or_b32 s14, s14, s13
	s_or_b32 exec_lo, exec_lo, s35
	s_and_saveexec_b32 s29, s14
	s_cbranch_execnz .LBB4_1286
	s_branch .LBB4_1287
.LBB4_1485:                             ;   in Loop: Header=BB4_1167 Depth=4
	s_mov_b32 s14, -1
	s_mov_b32 s36, exec_lo
                                        ; implicit-def: $sgpr29
	v_cmpx_eq_u16_e64 0x80, v149
; %bb.1486:                             ;   in Loop: Header=BB4_1167 Depth=4
	s_mov_b32 s29, 0x7f800001
	s_xor_b32 s14, exec_lo, -1
; %bb.1487:                             ;   in Loop: Header=BB4_1167 Depth=4
	s_or_b32 exec_lo, exec_lo, s36
	s_delay_alu instid0(SALU_CYCLE_1)
	s_and_b32 s14, s14, exec_lo
                                        ; implicit-def: $vgpr149
	s_or_saveexec_b32 s35, s35
	v_mov_b32_e32 v13, s29
	s_xor_b32 exec_lo, exec_lo, s35
	s_cbranch_execz .LBB4_1297
.LBB4_1488:                             ;   in Loop: Header=BB4_1167 Depth=4
	v_cmp_ne_u16_e64 s13, 0, v149
	v_mov_b32_e32 v13, 0
	s_and_not1_b32 s14, s14, exec_lo
	s_delay_alu instid0(VALU_DEP_2) | instskip(NEXT) | instid1(SALU_CYCLE_1)
	s_and_b32 s13, s13, exec_lo
	s_or_b32 s14, s14, s13
	s_or_b32 exec_lo, exec_lo, s35
	s_and_saveexec_b32 s29, s14
	s_cbranch_execnz .LBB4_1298
	s_branch .LBB4_1299
.LBB4_1489:                             ;   in Loop: Header=BB4_1167 Depth=4
	s_mov_b32 s14, -1
	s_mov_b32 s36, exec_lo
                                        ; implicit-def: $sgpr29
	v_cmpx_eq_u16_e64 0x80, v150
; %bb.1490:                             ;   in Loop: Header=BB4_1167 Depth=4
	s_mov_b32 s29, 0x7f800001
	s_xor_b32 s14, exec_lo, -1
; %bb.1491:                             ;   in Loop: Header=BB4_1167 Depth=4
	s_or_b32 exec_lo, exec_lo, s36
	s_delay_alu instid0(SALU_CYCLE_1)
	s_and_b32 s14, s14, exec_lo
                                        ; implicit-def: $vgpr150
	s_or_saveexec_b32 s35, s35
	v_mov_b32_e32 v149, s29
	s_xor_b32 exec_lo, exec_lo, s35
	s_cbranch_execz .LBB4_1301
.LBB4_1492:                             ;   in Loop: Header=BB4_1167 Depth=4
	v_cmp_ne_u16_e64 s13, 0, v150
	v_mov_b32_e32 v149, 0
	s_and_not1_b32 s14, s14, exec_lo
	s_delay_alu instid0(VALU_DEP_2) | instskip(NEXT) | instid1(SALU_CYCLE_1)
	s_and_b32 s13, s13, exec_lo
	s_or_b32 s14, s14, s13
	s_or_b32 exec_lo, exec_lo, s35
	s_and_saveexec_b32 s29, s14
	s_cbranch_execnz .LBB4_1302
	s_branch .LBB4_1303
.LBB4_1493:                             ;   in Loop: Header=BB4_1167 Depth=4
	s_mov_b32 s14, -1
	s_mov_b32 s36, exec_lo
                                        ; implicit-def: $sgpr29
	v_cmpx_eq_u16_e64 0x80, v150
; %bb.1494:                             ;   in Loop: Header=BB4_1167 Depth=4
	s_mov_b32 s29, 0x7f800001
	s_xor_b32 s14, exec_lo, -1
; %bb.1495:                             ;   in Loop: Header=BB4_1167 Depth=4
	s_or_b32 exec_lo, exec_lo, s36
	s_delay_alu instid0(SALU_CYCLE_1)
	s_and_b32 s14, s14, exec_lo
	s_or_saveexec_b32 s35, s35
	v_mov_b32_e32 v149, s29
	s_xor_b32 exec_lo, exec_lo, s35
	s_cbranch_execz .LBB4_1313
.LBB4_1496:                             ;   in Loop: Header=BB4_1167 Depth=4
	v_cmp_ne_u16_e64 s13, 0, v150
	v_mov_b32_e32 v149, 0
	s_and_not1_b32 s14, s14, exec_lo
	s_delay_alu instid0(VALU_DEP_2) | instskip(NEXT) | instid1(SALU_CYCLE_1)
	s_and_b32 s13, s13, exec_lo
	s_or_b32 s14, s14, s13
	s_or_b32 exec_lo, exec_lo, s35
	s_and_saveexec_b32 s29, s14
	s_cbranch_execnz .LBB4_1314
	s_branch .LBB4_1315
.LBB4_1497:                             ;   in Loop: Header=BB4_1167 Depth=4
	s_mov_b32 s14, -1
	s_mov_b32 s36, exec_lo
                                        ; implicit-def: $sgpr29
	v_cmpx_eq_u16_e64 0x80, v150
; %bb.1498:                             ;   in Loop: Header=BB4_1167 Depth=4
	s_mov_b32 s29, 0x7f800001
	s_xor_b32 s14, exec_lo, -1
; %bb.1499:                             ;   in Loop: Header=BB4_1167 Depth=4
	s_or_b32 exec_lo, exec_lo, s36
	s_delay_alu instid0(SALU_CYCLE_1)
	s_and_b32 s14, s14, exec_lo
	s_or_saveexec_b32 s35, s35
	v_mov_b32_e32 v151, s29
	s_xor_b32 exec_lo, exec_lo, s35
	s_cbranch_execz .LBB4_1317
.LBB4_1500:                             ;   in Loop: Header=BB4_1167 Depth=4
	v_cmp_ne_u16_e64 s13, 0, v150
	v_mov_b32_e32 v151, 0
	s_and_not1_b32 s14, s14, exec_lo
	s_delay_alu instid0(VALU_DEP_2) | instskip(NEXT) | instid1(SALU_CYCLE_1)
	s_and_b32 s13, s13, exec_lo
	s_or_b32 s14, s14, s13
	s_or_b32 exec_lo, exec_lo, s35
	s_and_saveexec_b32 s29, s14
	s_cbranch_execnz .LBB4_1318
	s_branch .LBB4_1319
.LBB4_1501:                             ;   in Loop: Header=BB4_1167 Depth=4
	s_mov_b32 s14, -1
	s_mov_b32 s36, exec_lo
                                        ; implicit-def: $sgpr29
	v_cmpx_eq_u16_e64 0x80, v160
; %bb.1502:                             ;   in Loop: Header=BB4_1167 Depth=4
	s_mov_b32 s29, 0x7f800001
	s_xor_b32 s14, exec_lo, -1
; %bb.1503:                             ;   in Loop: Header=BB4_1167 Depth=4
	s_or_b32 exec_lo, exec_lo, s36
	s_delay_alu instid0(SALU_CYCLE_1)
	s_and_b32 s14, s14, exec_lo
                                        ; implicit-def: $vgpr160
	s_or_saveexec_b32 s35, s35
	v_mov_b32_e32 v150, s29
	s_xor_b32 exec_lo, exec_lo, s35
	s_cbranch_execz .LBB4_1329
.LBB4_1504:                             ;   in Loop: Header=BB4_1167 Depth=4
	v_cmp_ne_u16_e64 s13, 0, v160
	v_mov_b32_e32 v150, 0
	s_and_not1_b32 s14, s14, exec_lo
	s_delay_alu instid0(VALU_DEP_2) | instskip(NEXT) | instid1(SALU_CYCLE_1)
	s_and_b32 s13, s13, exec_lo
	s_or_b32 s14, s14, s13
	s_or_b32 exec_lo, exec_lo, s35
	s_and_saveexec_b32 s29, s14
	s_cbranch_execnz .LBB4_1330
	s_branch .LBB4_1331
.LBB4_1505:                             ;   in Loop: Header=BB4_1167 Depth=4
	s_mov_b32 s14, -1
	s_mov_b32 s36, exec_lo
                                        ; implicit-def: $sgpr29
	v_cmpx_eq_u16_e64 0x80, v161
; %bb.1506:                             ;   in Loop: Header=BB4_1167 Depth=4
	s_mov_b32 s29, 0x7f800001
	s_xor_b32 s14, exec_lo, -1
; %bb.1507:                             ;   in Loop: Header=BB4_1167 Depth=4
	s_or_b32 exec_lo, exec_lo, s36
	s_delay_alu instid0(SALU_CYCLE_1)
	s_and_b32 s14, s14, exec_lo
                                        ; implicit-def: $vgpr161
	s_or_saveexec_b32 s35, s35
	v_mov_b32_e32 v160, s29
	s_xor_b32 exec_lo, exec_lo, s35
	s_cbranch_execz .LBB4_1333
.LBB4_1508:                             ;   in Loop: Header=BB4_1167 Depth=4
	v_cmp_ne_u16_e64 s13, 0, v161
	v_mov_b32_e32 v160, 0
	s_and_not1_b32 s14, s14, exec_lo
	s_delay_alu instid0(VALU_DEP_2) | instskip(NEXT) | instid1(SALU_CYCLE_1)
	s_and_b32 s13, s13, exec_lo
	s_or_b32 s14, s14, s13
	s_or_b32 exec_lo, exec_lo, s35
	s_and_saveexec_b32 s29, s14
	s_cbranch_execnz .LBB4_1334
	s_branch .LBB4_1335
.LBB4_1509:                             ;   in Loop: Header=BB4_1167 Depth=4
	s_mov_b32 s14, -1
	s_mov_b32 s36, exec_lo
                                        ; implicit-def: $sgpr29
	v_cmpx_eq_u16_e64 0x80, v160
; %bb.1510:                             ;   in Loop: Header=BB4_1167 Depth=4
	s_mov_b32 s29, 0x7f800001
	s_xor_b32 s14, exec_lo, -1
; %bb.1511:                             ;   in Loop: Header=BB4_1167 Depth=4
	s_or_b32 exec_lo, exec_lo, s36
	s_delay_alu instid0(SALU_CYCLE_1)
	s_and_b32 s14, s14, exec_lo
	s_or_saveexec_b32 s35, s35
	v_mov_b32_e32 v151, s29
	s_xor_b32 exec_lo, exec_lo, s35
	s_cbranch_execz .LBB4_1345
.LBB4_1512:                             ;   in Loop: Header=BB4_1167 Depth=4
	v_cmp_ne_u16_e64 s13, 0, v160
	v_mov_b32_e32 v151, 0
	s_and_not1_b32 s14, s14, exec_lo
	s_delay_alu instid0(VALU_DEP_2) | instskip(NEXT) | instid1(SALU_CYCLE_1)
	s_and_b32 s13, s13, exec_lo
	s_or_b32 s14, s14, s13
	s_or_b32 exec_lo, exec_lo, s35
	s_and_saveexec_b32 s29, s14
	s_cbranch_execnz .LBB4_1346
	s_branch .LBB4_1347
.LBB4_1513:                             ;   in Loop: Header=BB4_1167 Depth=4
	s_mov_b32 s14, -1
	s_mov_b32 s36, exec_lo
                                        ; implicit-def: $sgpr29
	v_cmpx_eq_u16_e32 0x80, v14
; %bb.1514:                             ;   in Loop: Header=BB4_1167 Depth=4
	s_mov_b32 s29, 0x7f800001
	s_xor_b32 s14, exec_lo, -1
; %bb.1515:                             ;   in Loop: Header=BB4_1167 Depth=4
	s_or_b32 exec_lo, exec_lo, s36
	s_delay_alu instid0(SALU_CYCLE_1)
	s_and_b32 s14, s14, exec_lo
	s_or_saveexec_b32 s35, s35
	v_mov_b32_e32 v160, s29
	s_xor_b32 exec_lo, exec_lo, s35
	s_cbranch_execz .LBB4_1349
.LBB4_1516:                             ;   in Loop: Header=BB4_1167 Depth=4
	v_cmp_ne_u16_e64 s13, 0, v14
	v_mov_b32_e32 v160, 0
	s_and_not1_b32 s14, s14, exec_lo
	s_delay_alu instid0(VALU_DEP_2) | instskip(NEXT) | instid1(SALU_CYCLE_1)
	s_and_b32 s13, s13, exec_lo
	s_or_b32 s14, s14, s13
	s_or_b32 exec_lo, exec_lo, s35
	s_and_saveexec_b32 s29, s14
	s_cbranch_execnz .LBB4_1350
	s_branch .LBB4_1351
.LBB4_1517:                             ;   in Loop: Header=BB4_1167 Depth=4
	s_mov_b32 s14, -1
	s_mov_b32 s36, exec_lo
                                        ; implicit-def: $sgpr29
	v_cmpx_eq_u16_e64 0x80, v151
; %bb.1518:                             ;   in Loop: Header=BB4_1167 Depth=4
	s_mov_b32 s29, 0x7f800001
	s_xor_b32 s14, exec_lo, -1
; %bb.1519:                             ;   in Loop: Header=BB4_1167 Depth=4
	s_or_b32 exec_lo, exec_lo, s36
	s_delay_alu instid0(SALU_CYCLE_1)
	s_and_b32 s14, s14, exec_lo
                                        ; implicit-def: $vgpr151
	s_or_saveexec_b32 s35, s35
	v_mov_b32_e32 v14, s29
	s_xor_b32 exec_lo, exec_lo, s35
	s_cbranch_execz .LBB4_1361
.LBB4_1520:                             ;   in Loop: Header=BB4_1167 Depth=4
	v_cmp_ne_u16_e64 s13, 0, v151
	v_mov_b32_e32 v14, 0
	s_and_not1_b32 s14, s14, exec_lo
	s_delay_alu instid0(VALU_DEP_2) | instskip(NEXT) | instid1(SALU_CYCLE_1)
	s_and_b32 s13, s13, exec_lo
	s_or_b32 s14, s14, s13
	s_or_b32 exec_lo, exec_lo, s35
	s_and_saveexec_b32 s29, s14
	s_cbranch_execnz .LBB4_1362
	s_branch .LBB4_1363
.LBB4_1521:                             ;   in Loop: Header=BB4_1167 Depth=4
	s_mov_b32 s14, -1
	s_mov_b32 s36, exec_lo
                                        ; implicit-def: $sgpr29
	v_cmpx_eq_u16_e64 0x80, v160
; %bb.1522:                             ;   in Loop: Header=BB4_1167 Depth=4
	s_mov_b32 s29, 0x7f800001
	s_xor_b32 s14, exec_lo, -1
; %bb.1523:                             ;   in Loop: Header=BB4_1167 Depth=4
	s_or_b32 exec_lo, exec_lo, s36
	s_delay_alu instid0(SALU_CYCLE_1)
	s_and_b32 s14, s14, exec_lo
                                        ; implicit-def: $vgpr160
	s_or_saveexec_b32 s35, s35
	v_mov_b32_e32 v151, s29
	s_xor_b32 exec_lo, exec_lo, s35
	s_cbranch_execz .LBB4_1365
.LBB4_1524:                             ;   in Loop: Header=BB4_1167 Depth=4
	v_cmp_ne_u16_e64 s13, 0, v160
	v_mov_b32_e32 v151, 0
	s_and_not1_b32 s14, s14, exec_lo
	s_delay_alu instid0(VALU_DEP_2) | instskip(NEXT) | instid1(SALU_CYCLE_1)
	s_and_b32 s13, s13, exec_lo
	s_or_b32 s14, s14, s13
	s_or_b32 exec_lo, exec_lo, s35
	s_and_saveexec_b32 s29, s14
	s_cbranch_execnz .LBB4_1366
	s_branch .LBB4_1367
.LBB4_1525:                             ;   in Loop: Header=BB4_1167 Depth=4
	s_mov_b32 s14, -1
	s_mov_b32 s36, exec_lo
                                        ; implicit-def: $sgpr29
	v_cmpx_eq_u16_e64 0x80, v160
; %bb.1526:                             ;   in Loop: Header=BB4_1167 Depth=4
	s_mov_b32 s29, 0x7f800001
	s_xor_b32 s14, exec_lo, -1
; %bb.1527:                             ;   in Loop: Header=BB4_1167 Depth=4
	s_or_b32 exec_lo, exec_lo, s36
	s_delay_alu instid0(SALU_CYCLE_1)
	s_and_b32 s14, s14, exec_lo
	s_or_saveexec_b32 s35, s35
	v_mov_b32_e32 v151, s29
	s_xor_b32 exec_lo, exec_lo, s35
	s_cbranch_execz .LBB4_1377
.LBB4_1528:                             ;   in Loop: Header=BB4_1167 Depth=4
	v_cmp_ne_u16_e64 s13, 0, v160
	v_mov_b32_e32 v151, 0
	s_and_not1_b32 s14, s14, exec_lo
	s_delay_alu instid0(VALU_DEP_2) | instskip(NEXT) | instid1(SALU_CYCLE_1)
	s_and_b32 s13, s13, exec_lo
	s_or_b32 s14, s14, s13
	s_or_b32 exec_lo, exec_lo, s35
	s_and_saveexec_b32 s29, s14
	s_cbranch_execnz .LBB4_1378
	s_branch .LBB4_1379
.LBB4_1529:                             ;   in Loop: Header=BB4_1167 Depth=4
	s_mov_b32 s14, -1
	s_mov_b32 s36, exec_lo
                                        ; implicit-def: $sgpr29
	v_cmpx_eq_u16_e64 0x80, v160
; %bb.1530:                             ;   in Loop: Header=BB4_1167 Depth=4
	s_mov_b32 s29, 0x7f800001
	s_xor_b32 s14, exec_lo, -1
; %bb.1531:                             ;   in Loop: Header=BB4_1167 Depth=4
	s_or_b32 exec_lo, exec_lo, s36
	s_delay_alu instid0(SALU_CYCLE_1)
	s_and_b32 s14, s14, exec_lo
	s_or_saveexec_b32 s35, s35
	v_mov_b32_e32 v161, s29
	s_xor_b32 exec_lo, exec_lo, s35
	s_cbranch_execz .LBB4_1381
.LBB4_1532:                             ;   in Loop: Header=BB4_1167 Depth=4
	v_cmp_ne_u16_e64 s13, 0, v160
	v_mov_b32_e32 v161, 0
	s_and_not1_b32 s14, s14, exec_lo
	s_delay_alu instid0(VALU_DEP_2) | instskip(NEXT) | instid1(SALU_CYCLE_1)
	s_and_b32 s13, s13, exec_lo
	s_or_b32 s14, s14, s13
	s_or_b32 exec_lo, exec_lo, s35
	s_and_saveexec_b32 s29, s14
	s_cbranch_execnz .LBB4_1382
	s_branch .LBB4_1383
.LBB4_1533:                             ;   in Loop: Header=BB4_1167 Depth=4
	s_mov_b32 s14, -1
	s_mov_b32 s36, exec_lo
                                        ; implicit-def: $sgpr29
	v_cmpx_eq_u16_e64 0x80, v162
; %bb.1534:                             ;   in Loop: Header=BB4_1167 Depth=4
	s_mov_b32 s29, 0x7f800001
	s_xor_b32 s14, exec_lo, -1
; %bb.1535:                             ;   in Loop: Header=BB4_1167 Depth=4
	s_or_b32 exec_lo, exec_lo, s36
	s_delay_alu instid0(SALU_CYCLE_1)
	s_and_b32 s14, s14, exec_lo
                                        ; implicit-def: $vgpr162
	s_or_saveexec_b32 s35, s35
	v_mov_b32_e32 v160, s29
	s_xor_b32 exec_lo, exec_lo, s35
	s_cbranch_execz .LBB4_1393
.LBB4_1536:                             ;   in Loop: Header=BB4_1167 Depth=4
	v_cmp_ne_u16_e64 s13, 0, v162
	v_mov_b32_e32 v160, 0
	s_and_not1_b32 s14, s14, exec_lo
	s_delay_alu instid0(VALU_DEP_2) | instskip(NEXT) | instid1(SALU_CYCLE_1)
	s_and_b32 s13, s13, exec_lo
	s_or_b32 s14, s14, s13
	s_or_b32 exec_lo, exec_lo, s35
	s_and_saveexec_b32 s29, s14
	s_cbranch_execnz .LBB4_1394
	s_branch .LBB4_1395
.LBB4_1537:                             ;   in Loop: Header=BB4_1167 Depth=4
	s_mov_b32 s14, -1
	s_mov_b32 s36, exec_lo
                                        ; implicit-def: $sgpr29
	v_cmpx_eq_u16_e64 0x80, v163
; %bb.1538:                             ;   in Loop: Header=BB4_1167 Depth=4
	s_mov_b32 s29, 0x7f800001
	s_xor_b32 s14, exec_lo, -1
; %bb.1539:                             ;   in Loop: Header=BB4_1167 Depth=4
	s_or_b32 exec_lo, exec_lo, s36
	s_delay_alu instid0(SALU_CYCLE_1)
	s_and_b32 s14, s14, exec_lo
                                        ; implicit-def: $vgpr163
	s_or_saveexec_b32 s35, s35
	v_mov_b32_e32 v162, s29
	s_xor_b32 exec_lo, exec_lo, s35
	s_cbranch_execz .LBB4_1397
.LBB4_1540:                             ;   in Loop: Header=BB4_1167 Depth=4
	v_cmp_ne_u16_e64 s13, 0, v163
	v_mov_b32_e32 v162, 0
	s_and_not1_b32 s14, s14, exec_lo
	s_delay_alu instid0(VALU_DEP_2) | instskip(NEXT) | instid1(SALU_CYCLE_1)
	s_and_b32 s13, s13, exec_lo
	s_or_b32 s14, s14, s13
	s_or_b32 exec_lo, exec_lo, s35
	s_and_saveexec_b32 s29, s14
	s_cbranch_execnz .LBB4_1398
	s_branch .LBB4_1399
.LBB4_1541:                             ;   in Loop: Header=BB4_1167 Depth=4
	s_mov_b32 s14, -1
	s_mov_b32 s36, exec_lo
                                        ; implicit-def: $sgpr29
	v_cmpx_eq_u16_e64 0x80, v162
; %bb.1542:                             ;   in Loop: Header=BB4_1167 Depth=4
	s_mov_b32 s29, 0x7f800001
	s_xor_b32 s14, exec_lo, -1
; %bb.1543:                             ;   in Loop: Header=BB4_1167 Depth=4
	s_or_b32 exec_lo, exec_lo, s36
	s_delay_alu instid0(SALU_CYCLE_1)
	s_and_b32 s14, s14, exec_lo
	s_or_saveexec_b32 s35, s35
	v_mov_b32_e32 v161, s29
	s_xor_b32 exec_lo, exec_lo, s35
	s_cbranch_execz .LBB4_1409
.LBB4_1544:                             ;   in Loop: Header=BB4_1167 Depth=4
	v_cmp_ne_u16_e64 s13, 0, v162
	v_mov_b32_e32 v161, 0
	s_and_not1_b32 s14, s14, exec_lo
	s_delay_alu instid0(VALU_DEP_2) | instskip(NEXT) | instid1(SALU_CYCLE_1)
	s_and_b32 s13, s13, exec_lo
	s_or_b32 s14, s14, s13
	s_or_b32 exec_lo, exec_lo, s35
	s_and_saveexec_b32 s29, s14
	s_cbranch_execnz .LBB4_1410
	s_branch .LBB4_1411
.LBB4_1545:                             ;   in Loop: Header=BB4_1167 Depth=4
	s_mov_b32 s14, -1
	s_mov_b32 s36, exec_lo
                                        ; implicit-def: $sgpr29
	v_cmpx_eq_u16_e32 0x80, v15
; %bb.1546:                             ;   in Loop: Header=BB4_1167 Depth=4
	s_mov_b32 s29, 0x7f800001
	s_xor_b32 s14, exec_lo, -1
; %bb.1547:                             ;   in Loop: Header=BB4_1167 Depth=4
	s_or_b32 exec_lo, exec_lo, s36
	s_delay_alu instid0(SALU_CYCLE_1)
	s_and_b32 s14, s14, exec_lo
	s_or_saveexec_b32 s35, s35
	v_mov_b32_e32 v162, s29
	s_xor_b32 exec_lo, exec_lo, s35
	s_cbranch_execz .LBB4_1413
.LBB4_1548:                             ;   in Loop: Header=BB4_1167 Depth=4
	v_cmp_ne_u16_e64 s13, 0, v15
	v_mov_b32_e32 v162, 0
	s_and_not1_b32 s14, s14, exec_lo
	s_delay_alu instid0(VALU_DEP_2) | instskip(NEXT) | instid1(SALU_CYCLE_1)
	s_and_b32 s13, s13, exec_lo
	s_or_b32 s14, s14, s13
	s_or_b32 exec_lo, exec_lo, s35
	s_and_saveexec_b32 s29, s14
	s_cbranch_execnz .LBB4_1414
	s_branch .LBB4_1415
.LBB4_1549:                             ;   in Loop: Header=BB4_305 Depth=3
	s_or_b32 exec_lo, exec_lo, s34
.LBB4_1550:                             ;   in Loop: Header=BB4_305 Depth=3
	s_delay_alu instid0(SALU_CYCLE_1) | instskip(SKIP_3) | instid1(VALU_DEP_1)
	s_or_b32 exec_lo, exec_lo, s31
	v_dual_mov_b32 v14, 0 :: v_dual_and_b32 v9, 15, v69
	s_mov_b32 s14, 0
	s_mov_b32 s29, exec_lo
                                        ; implicit-def: $vgpr16
                                        ; implicit-def: $vgpr8
	v_cndmask_b32_e32 v15, v80, v9, vcc_lo
	s_delay_alu instid0(VALU_DEP_1)
	v_cmpx_ne_u32_e32 0, v15
; %bb.1551:                             ;   in Loop: Header=BB4_305 Depth=3
	v_cmp_lt_i32_e64 s13, 0, v81
	v_sub_nc_u32_e32 v9, v80, v9
	s_mov_b32 s14, exec_lo
	s_delay_alu instid0(VALU_DEP_2) | instskip(NEXT) | instid1(VALU_DEP_1)
	v_cndmask_b32_e64 v8, 0, v97, s13
	v_sub_nc_u32_e32 v8, v8, v81
	s_delay_alu instid0(VALU_DEP_1) | instskip(NEXT) | instid1(VALU_DEP_1)
	v_lshl_add_u32 v16, v8, 5, v23
	v_ashrrev_i32_e32 v8, 31, v16
	s_delay_alu instid0(VALU_DEP_1) | instskip(NEXT) | instid1(VALU_DEP_1)
	v_lshrrev_b32_e32 v8, 27, v8
	v_dual_cndmask_b32 v9, 0, v9 :: v_dual_add_nc_u32 v8, v16, v8
	s_delay_alu instid0(VALU_DEP_1) | instskip(NEXT) | instid1(VALU_DEP_2)
	v_add3_u32 v14, v2, v22, v9
	v_ashrrev_i32_e32 v8, 5, v8
; %bb.1552:                             ;   in Loop: Header=BB4_305 Depth=3
	s_or_b32 exec_lo, exec_lo, s29
	s_delay_alu instid0(SALU_CYCLE_1)
	s_and_b32 s13, s14, exec_lo
.LBB4_1553:                             ;   in Loop: Header=BB4_305 Depth=3
	s_or_b32 exec_lo, exec_lo, s30
.LBB4_1554:                             ;   in Loop: Header=BB4_305 Depth=3
	s_and_saveexec_b32 s14, s13
	s_cbranch_execz .LBB4_1974
; %bb.1555:                             ;   in Loop: Header=BB4_305 Depth=3
	s_delay_alu instid0(VALU_DEP_1) | instskip(SKIP_1) | instid1(VALU_DEP_1)
	v_ashrrev_i32_e32 v2, 31, v15
	s_mov_b32 s30, exec_lo
	v_lshrrev_b32_e32 v2, 23, v2
	s_delay_alu instid0(VALU_DEP_1) | instskip(NEXT) | instid1(VALU_DEP_1)
	v_add_nc_u32_e32 v2, v15, v2
	v_ashrrev_i32_e32 v17, 9, v2
	s_delay_alu instid0(VALU_DEP_1) | instskip(NEXT) | instid1(VALU_DEP_1)
	v_sub_nc_u32_e32 v2, v17, v8
	v_cmpx_lt_i32_e32 0, v2
	s_cbranch_execz .LBB4_1944
; %bb.1556:                             ;   in Loop: Header=BB4_305 Depth=3
	s_cbranch_execz .LBB4_1557
; %bb.6767:
	s_getpc_b64 s[46:47]
.Lpost_getpc157:
	s_add_u32 s46, s46, (.LBB4_6335-.Lpost_getpc157)&4294967295
	s_addc_u32 s47, s47, (.LBB4_6335-.Lpost_getpc157)>>32
	s_setpc_b64 s[46:47]
.LBB4_1557:                             ;   in Loop: Header=BB4_305 Depth=3
	v_ashrrev_i32_e32 v9, 31, v16
	ds_load_b64 v[18:19], v0
	v_lshlrev_b32_e32 v8, 9, v8
	s_mov_b32 s31, 0
	v_lshrrev_b32_e32 v9, 27, v9
	s_delay_alu instid0(VALU_DEP_1) | instskip(NEXT) | instid1(VALU_DEP_1)
	v_add_nc_u32_e32 v9, v16, v9
	v_and_b32_e32 v13, 0xffffffe0, v9
	ds_load_b128 v[9:12], v0
	v_sub_nc_u32_e32 v13, v16, v13
	s_waitcnt lgkmcnt(1)
	v_add_co_u32 v18, vcc_lo, 0x1e0, v18
	v_add_co_ci_u32_e32 v19, vcc_lo, 0, v19, vcc_lo
	s_delay_alu instid0(VALU_DEP_3) | instskip(NEXT) | instid1(VALU_DEP_1)
	v_add3_u32 v13, v14, v13, v8
	v_ashrrev_i32_e32 v20, 31, v13
	s_waitcnt lgkmcnt(0)
	v_add_co_u32 v8, vcc_lo, v9, v13
	s_delay_alu instid0(VALU_DEP_2)
	v_add_co_ci_u32_e32 v9, vcc_lo, v10, v20, vcc_lo
	v_add_co_u32 v10, vcc_lo, v11, v13
	v_add_co_ci_u32_e32 v11, vcc_lo, v12, v20, vcc_lo
	v_add_co_u32 v12, vcc_lo, v18, v13
	v_add_co_ci_u32_e32 v13, vcc_lo, v19, v20, vcc_lo
	s_branch .LBB4_1561
.LBB4_1558:                             ;   in Loop: Header=BB4_1561 Depth=4
	s_or_b32 exec_lo, exec_lo, s13
	s_delay_alu instid0(VALU_DEP_1) | instskip(NEXT) | instid1(VALU_DEP_2)
	v_lshrrev_b32_e32 v22, 20, v22
	v_cmp_gt_i32_e32 vcc_lo, 16, v18
	v_lshrrev_b32_e32 v19, 24, v19
	v_min_i32_e32 v81, 15, v18
	s_delay_alu instid0(VALU_DEP_2) | instskip(NEXT) | instid1(VALU_DEP_1)
	v_dual_cndmask_b32 v22, 7, v22 :: v_dual_and_b32 v19, 0x80, v19
	v_or_b32_e32 v18, v18, v22
	v_and_b32_e32 v84, 7, v22
	s_delay_alu instid0(VALU_DEP_2) | instskip(SKIP_1) | instid1(VALU_DEP_1)
	v_cmp_ne_u32_e32 vcc_lo, 0, v18
	v_lshlrev_b32_e32 v81, 3, v81
	v_or3_b32 v19, v81, v19, v84
	s_delay_alu instid0(VALU_DEP_1)
	v_cndmask_b32_e32 v18, 0, v19, vcc_lo
.LBB4_1559:                             ;   in Loop: Header=BB4_1561 Depth=4
	s_or_b32 exec_lo, exec_lo, s34
.LBB4_1560:                             ;   in Loop: Header=BB4_1561 Depth=4
	s_delay_alu instid0(SALU_CYCLE_1)
	s_or_b32 exec_lo, exec_lo, s29
	v_add_co_u32 v176, vcc_lo, 0xfffffe20, v12
	v_add_co_ci_u32_e32 v177, vcc_lo, -1, v13, vcc_lo
	v_add_co_u32 v178, vcc_lo, 0xfffffe40, v12
	v_add_co_ci_u32_e32 v179, vcc_lo, -1, v13, vcc_lo
	;; [unrolled: 2-line block ×5, first 2 shown]
	v_add_co_u32 v19, vcc_lo, 0xfffffec0, v12
	flat_store_b8 v[176:177], v20 glc slc dlc
	flat_store_b8 v[178:179], v23 glc slc dlc
	;; [unrolled: 1-line block ×5, first 2 shown]
	v_add_co_ci_u32_e32 v20, vcc_lo, -1, v13, vcc_lo
	v_add_co_u32 v22, vcc_lo, 0xfffffee0, v12
	v_add_co_ci_u32_e32 v23, vcc_lo, -1, v13, vcc_lo
	v_add_co_u32 v81, vcc_lo, 0xffffff00, v12
	;; [unrolled: 2-line block ×4, first 2 shown]
	v_add_co_ci_u32_e32 v149, vcc_lo, -1, v13, vcc_lo
	flat_store_b8 v[19:20], v160 glc slc dlc
	flat_store_b8 v[22:23], v163 glc slc dlc
	;; [unrolled: 1-line block ×5, first 2 shown]
	v_add_co_u32 v19, vcc_lo, 0xffffff60, v12
	v_add_co_ci_u32_e32 v20, vcc_lo, -1, v13, vcc_lo
	v_add_co_u32 v22, vcc_lo, 0xffffff80, v12
	v_add_co_ci_u32_e32 v23, vcc_lo, -1, v13, vcc_lo
	;; [unrolled: 2-line block ×5, first 2 shown]
	v_add_co_u32 v8, vcc_lo, v8, v117
	v_sub_nc_u32_e32 v2, v2, v97
	v_add_co_ci_u32_e32 v9, vcc_lo, v9, v118, vcc_lo
	v_add_co_u32 v10, vcc_lo, v10, v117
	v_add_co_ci_u32_e32 v11, vcc_lo, v11, v118, vcc_lo
	flat_store_b8 v[19:20], v150 glc slc dlc
	flat_store_b8 v[22:23], v147 glc slc dlc
	;; [unrolled: 1-line block ×6, first 2 shown]
	v_cmp_gt_i32_e32 vcc_lo, 1, v2
	v_add_co_u32 v12, s13, v12, v117
	s_delay_alu instid0(VALU_DEP_1) | instskip(SKIP_1) | instid1(SALU_CYCLE_1)
	v_add_co_ci_u32_e64 v13, s13, v13, v118, s13
	s_or_b32 s31, vcc_lo, s31
	s_and_not1_b32 exec_lo, exec_lo, s31
	s_cbranch_execz .LBB4_1943
.LBB4_1561:                             ;   Parent Loop BB4_51 Depth=1
                                        ;     Parent Loop BB4_303 Depth=2
                                        ;       Parent Loop BB4_305 Depth=3
                                        ; =>      This Inner Loop Header: Depth=4
	s_clause 0xf
	flat_load_u8 v183, v[8:9] slc dlc
	flat_load_u8 v181, v[8:9] offset:32 slc dlc
	flat_load_u8 v180, v[8:9] offset:64 slc dlc
	;; [unrolled: 1-line block ×15, first 2 shown]
	s_clause 0xf
	flat_load_u8 v20, v[10:11] slc dlc
	flat_load_u8 v23, v[10:11] offset:32 slc dlc
	flat_load_u8 v82, v[10:11] offset:64 slc dlc
	flat_load_u8 v85, v[10:11] offset:96 slc dlc
	flat_load_u8 v149, v[10:11] offset:128 slc dlc
	flat_load_u8 v160, v[10:11] offset:160 slc dlc
	flat_load_u8 v163, v[10:11] offset:192 slc dlc
	flat_load_u8 v166, v[10:11] offset:224 slc dlc
	flat_load_u8 v164, v[10:11] offset:256 slc dlc
	flat_load_u8 v161, v[10:11] offset:288 slc dlc
	flat_load_u8 v150, v[10:11] offset:320 slc dlc
	flat_load_u8 v147, v[10:11] offset:352 slc dlc
	flat_load_u8 v83, v[10:11] offset:384 slc dlc
	flat_load_u8 v80, v[10:11] offset:416 slc dlc
	flat_load_u8 v21, v[10:11] offset:448 slc dlc
	flat_load_u8 v18, v[10:11] offset:480 slc dlc
	s_mov_b32 s13, 0
	s_mov_b32 s34, exec_lo
                                        ; implicit-def: $sgpr29
	s_waitcnt vmcnt(31) lgkmcnt(31)
	v_cmpx_lt_i16_e64 0x7f, v183
	s_xor_b32 s34, exec_lo, s34
	s_cbranch_execnz .LBB4_1815
; %bb.1562:                             ;   in Loop: Header=BB4_1561 Depth=4
	s_or_saveexec_b32 s34, s34
	v_mov_b32_e32 v182, s29
	s_xor_b32 exec_lo, exec_lo, s34
	s_cbranch_execnz .LBB4_1818
.LBB4_1563:                             ;   in Loop: Header=BB4_1561 Depth=4
	s_or_b32 exec_lo, exec_lo, s34
	s_and_saveexec_b32 s29, s13
	s_cbranch_execz .LBB4_1565
.LBB4_1564:                             ;   in Loop: Header=BB4_1561 Depth=4
	v_and_b32_e32 v182, 0xffff, v183
	s_delay_alu instid0(VALU_DEP_1) | instskip(NEXT) | instid1(VALU_DEP_1)
	v_and_b32_e32 v40, 7, v182
	v_clz_i32_u32_e32 v41, v40
	s_delay_alu instid0(VALU_DEP_1) | instskip(NEXT) | instid1(VALU_DEP_1)
	v_min_u32_e32 v41, 32, v41
	v_subrev_nc_u32_e32 v42, 28, v41
	v_sub_nc_u32_e32 v41, 29, v41
	s_delay_alu instid0(VALU_DEP_2) | instskip(SKIP_1) | instid1(VALU_DEP_2)
	v_lshlrev_b32_e32 v42, v42, v182
	v_bfe_u32 v182, v182, 3, 4
	v_and_b32_e32 v42, 7, v42
	s_delay_alu instid0(VALU_DEP_2) | instskip(SKIP_1) | instid1(VALU_DEP_1)
	v_cmp_eq_u32_e32 vcc_lo, 0, v182
	v_dual_cndmask_b32 v182, v182, v41 :: v_dual_lshlrev_b32 v183, 24, v183
	v_dual_cndmask_b32 v40, v40, v42 :: v_dual_and_b32 v183, 0x80000000, v183
	s_delay_alu instid0(VALU_DEP_2) | instskip(NEXT) | instid1(VALU_DEP_2)
	v_lshl_add_u32 v182, v182, 23, 0x3b800000
	v_lshlrev_b32_e32 v40, 20, v40
	s_delay_alu instid0(VALU_DEP_1)
	v_or3_b32 v182, v183, v182, v40
.LBB4_1565:                             ;   in Loop: Header=BB4_1561 Depth=4
	s_or_b32 exec_lo, exec_lo, s29
	s_waitcnt vmcnt(15) lgkmcnt(15)
	v_and_b32_e32 v40, 0xff, v20
	s_mov_b32 s13, 0
	s_mov_b32 s34, exec_lo
                                        ; implicit-def: $sgpr29
	s_delay_alu instid0(VALU_DEP_1)
	v_cmpx_lt_i16_e32 0x7f, v40
	s_xor_b32 s34, exec_lo, s34
	s_cbranch_execnz .LBB4_1819
; %bb.1566:                             ;   in Loop: Header=BB4_1561 Depth=4
	s_or_saveexec_b32 s34, s34
	v_mov_b32_e32 v183, s29
	s_xor_b32 exec_lo, exec_lo, s34
	s_cbranch_execnz .LBB4_1822
.LBB4_1567:                             ;   in Loop: Header=BB4_1561 Depth=4
	s_or_b32 exec_lo, exec_lo, s34
	s_and_saveexec_b32 s29, s13
	s_cbranch_execz .LBB4_1569
.LBB4_1568:                             ;   in Loop: Header=BB4_1561 Depth=4
	v_and_b32_e32 v183, 7, v20
	v_lshrrev_b16 v42, 3, v20
	s_delay_alu instid0(VALU_DEP_2) | instskip(NEXT) | instid1(VALU_DEP_1)
	v_clz_i32_u32_e32 v40, v183
	v_min_u32_e32 v40, 32, v40
	s_delay_alu instid0(VALU_DEP_1) | instskip(SKIP_1) | instid1(VALU_DEP_2)
	v_subrev_nc_u32_e32 v41, 28, v40
	v_sub_nc_u32_e32 v40, 29, v40
	v_lshlrev_b32_e32 v41, v41, v20
	v_lshlrev_b32_e32 v20, 24, v20
	s_delay_alu instid0(VALU_DEP_2) | instskip(SKIP_1) | instid1(VALU_DEP_3)
	v_and_b32_e32 v41, 7, v41
	v_and_b32_e32 v42, 15, v42
	;; [unrolled: 1-line block ×3, first 2 shown]
	s_delay_alu instid0(VALU_DEP_2) | instskip(NEXT) | instid1(VALU_DEP_4)
	v_cmp_eq_u32_e32 vcc_lo, 0, v42
	v_dual_cndmask_b32 v183, v183, v41 :: v_dual_cndmask_b32 v40, v42, v40
	s_delay_alu instid0(VALU_DEP_1) | instskip(NEXT) | instid1(VALU_DEP_2)
	v_lshlrev_b32_e32 v183, 20, v183
	v_lshl_add_u32 v40, v40, 23, 0x3b800000
	s_delay_alu instid0(VALU_DEP_1)
	v_or3_b32 v183, v20, v40, v183
.LBB4_1569:                             ;   in Loop: Header=BB4_1561 Depth=4
	s_or_b32 exec_lo, exec_lo, s29
	s_delay_alu instid0(VALU_DEP_1) | instskip(NEXT) | instid1(VALU_DEP_1)
	v_add_f32_e32 v182, v182, v183
	v_and_b32_e32 v20, 0x7f800000, v182
	s_delay_alu instid0(VALU_DEP_1)
	v_cmp_ne_u32_e32 vcc_lo, 0x7f800000, v20
	v_mov_b32_e32 v20, 0x80
	s_and_saveexec_b32 s29, vcc_lo
	s_cbranch_execz .LBB4_1577
; %bb.1570:                             ;   in Loop: Header=BB4_1561 Depth=4
	v_mov_b32_e32 v20, 0
	s_mov_b32 s34, exec_lo
	v_cmpx_ne_u32_e32 0, v182
	s_cbranch_execz .LBB4_1576
; %bb.1571:                             ;   in Loop: Header=BB4_1561 Depth=4
	v_bfe_u32 v20, v182, 23, 8
	s_delay_alu instid0(VALU_DEP_1) | instskip(SKIP_1) | instid1(VALU_DEP_2)
	v_sub_nc_u32_e32 v40, 0x78, v20
	v_cmp_gt_u32_e32 vcc_lo, 0x79, v20
	v_dual_cndmask_b32 v40, 0, v40 :: v_dual_and_b32 v183, 0x7fffff, v182
	s_delay_alu instid0(VALU_DEP_1) | instskip(SKIP_2) | instid1(VALU_DEP_4)
	v_or_b32_e32 v41, 0x800000, v183
	v_cmp_eq_u32_e32 vcc_lo, 0, v20
	v_add_nc_u32_e32 v20, 0xffffff89, v20
	v_cndmask_b32_e64 v40, v40, 0x77, vcc_lo
	s_delay_alu instid0(VALU_DEP_4) | instskip(NEXT) | instid1(VALU_DEP_3)
	v_cndmask_b32_e32 v183, v41, v183, vcc_lo
	v_cndmask_b32_e64 v20, v20, 0xffffff8a, vcc_lo
	s_delay_alu instid0(VALU_DEP_3) | instskip(NEXT) | instid1(VALU_DEP_3)
	v_lshl_add_u32 v41, 0x100000, v40, -1
	v_lshrrev_b32_e32 v42, v40, v183
	v_lshlrev_b32_e64 v44, v40, 0x80000
	s_delay_alu instid0(VALU_DEP_4) | instskip(NEXT) | instid1(VALU_DEP_4)
	v_add_nc_u32_e32 v40, v40, v20
	v_and_b32_e32 v183, v41, v183
	s_delay_alu instid0(VALU_DEP_4) | instskip(NEXT) | instid1(VALU_DEP_2)
	v_bfe_u32 v43, v42, 20, 1
	v_cmp_eq_u32_e64 s13, v183, v44
	s_delay_alu instid0(VALU_DEP_2) | instskip(NEXT) | instid1(VALU_DEP_1)
	v_add_nc_u32_e32 v41, -1, v43
	v_cndmask_b32_e64 v183, 0, v41, s13
	v_lshrrev_b32_e32 v41, 23, v42
	s_mov_b32 s13, exec_lo
	s_delay_alu instid0(VALU_DEP_2) | instskip(NEXT) | instid1(VALU_DEP_2)
	v_add_nc_u32_e32 v183, v183, v42
	v_xor_b32_e32 v41, 1, v41
	s_delay_alu instid0(VALU_DEP_2) | instskip(NEXT) | instid1(VALU_DEP_1)
	v_and_b32_e32 v20, 0xfffff, v183
	v_add_nc_u32_e32 v183, v20, v42
                                        ; implicit-def: $vgpr20
	s_delay_alu instid0(VALU_DEP_3)
	v_cmpx_ne_u32_e64 v40, v41
	s_xor_b32 s13, exec_lo, s13
; %bb.1572:                             ;   in Loop: Header=BB4_1561 Depth=4
	s_delay_alu instid0(VALU_DEP_2) | instskip(SKIP_2) | instid1(VALU_DEP_2)
	v_cmp_lt_u32_e32 vcc_lo, 0xffffff, v183
	v_sub_nc_u32_e32 v20, v40, v41
	v_cndmask_b32_e64 v40, 0, 1, vcc_lo
	v_add_co_ci_u32_e32 v20, vcc_lo, 0, v20, vcc_lo
	s_delay_alu instid0(VALU_DEP_2)
	v_lshrrev_b32_e32 v183, v40, v183
; %bb.1573:                             ;   in Loop: Header=BB4_1561 Depth=4
	s_and_not1_saveexec_b32 s13, s13
; %bb.1574:                             ;   in Loop: Header=BB4_1561 Depth=4
	s_delay_alu instid0(VALU_DEP_1)
	v_bfe_u32 v20, v183, 23, 1
; %bb.1575:                             ;   in Loop: Header=BB4_1561 Depth=4
	s_or_b32 exec_lo, exec_lo, s13
	v_lshrrev_b32_e32 v183, 20, v183
	s_delay_alu instid0(VALU_DEP_2) | instskip(SKIP_2) | instid1(VALU_DEP_2)
	v_cmp_gt_i32_e32 vcc_lo, 16, v20
	v_lshrrev_b32_e32 v182, 24, v182
	v_min_i32_e32 v40, 15, v20
	v_dual_cndmask_b32 v183, 7, v183 :: v_dual_and_b32 v182, 0x80, v182
	s_delay_alu instid0(VALU_DEP_2) | instskip(NEXT) | instid1(VALU_DEP_2)
	v_lshlrev_b32_e32 v40, 3, v40
	v_or_b32_e32 v20, v20, v183
	s_delay_alu instid0(VALU_DEP_1) | instskip(SKIP_1) | instid1(VALU_DEP_1)
	v_cmp_ne_u32_e32 vcc_lo, 0, v20
	v_and_b32_e32 v41, 7, v183
	v_or3_b32 v182, v40, v182, v41
	s_delay_alu instid0(VALU_DEP_1)
	v_cndmask_b32_e32 v20, 0, v182, vcc_lo
.LBB4_1576:                             ;   in Loop: Header=BB4_1561 Depth=4
	s_or_b32 exec_lo, exec_lo, s34
.LBB4_1577:                             ;   in Loop: Header=BB4_1561 Depth=4
	s_delay_alu instid0(SALU_CYCLE_1) | instskip(SKIP_3) | instid1(VALU_DEP_1)
	s_or_b32 exec_lo, exec_lo, s29
	v_and_b32_e32 v183, 0xff, v181
	s_mov_b32 s13, 0
	s_mov_b32 s34, exec_lo
                                        ; implicit-def: $sgpr29
	v_cmpx_lt_i16_e64 0x7f, v183
	s_xor_b32 s34, exec_lo, s34
	s_cbranch_execnz .LBB4_1823
; %bb.1578:                             ;   in Loop: Header=BB4_1561 Depth=4
	s_or_saveexec_b32 s34, s34
	v_mov_b32_e32 v182, s29
	s_xor_b32 exec_lo, exec_lo, s34
	s_cbranch_execnz .LBB4_1826
.LBB4_1579:                             ;   in Loop: Header=BB4_1561 Depth=4
	s_or_b32 exec_lo, exec_lo, s34
	s_and_saveexec_b32 s29, s13
	s_cbranch_execz .LBB4_1581
.LBB4_1580:                             ;   in Loop: Header=BB4_1561 Depth=4
	v_lshrrev_b16 v41, 3, v181
	s_delay_alu instid0(VALU_DEP_1) | instskip(NEXT) | instid1(VALU_DEP_1)
	v_and_b32_e32 v41, 15, v41
	v_cmp_eq_u32_e32 vcc_lo, 0, v41
	v_and_b32_e32 v182, 7, v181
	s_delay_alu instid0(VALU_DEP_1) | instskip(NEXT) | instid1(VALU_DEP_1)
	v_clz_i32_u32_e32 v183, v182
	v_min_u32_e32 v183, 32, v183
	s_delay_alu instid0(VALU_DEP_1) | instskip(SKIP_1) | instid1(VALU_DEP_1)
	v_subrev_nc_u32_e32 v40, 28, v183
	v_sub_nc_u32_e32 v183, 29, v183
	v_dual_cndmask_b32 v183, v41, v183 :: v_dual_lshlrev_b32 v40, v40, v181
	v_lshlrev_b32_e32 v181, 24, v181
	s_delay_alu instid0(VALU_DEP_2) | instskip(NEXT) | instid1(VALU_DEP_3)
	v_and_b32_e32 v40, 7, v40
	v_lshl_add_u32 v183, v183, 23, 0x3b800000
	s_delay_alu instid0(VALU_DEP_2) | instskip(NEXT) | instid1(VALU_DEP_1)
	v_dual_cndmask_b32 v182, v182, v40 :: v_dual_and_b32 v181, 0x80000000, v181
	v_lshlrev_b32_e32 v182, 20, v182
	s_delay_alu instid0(VALU_DEP_1)
	v_or3_b32 v182, v181, v183, v182
.LBB4_1581:                             ;   in Loop: Header=BB4_1561 Depth=4
	s_or_b32 exec_lo, exec_lo, s29
	s_waitcnt vmcnt(14) lgkmcnt(14)
	v_and_b32_e32 v183, 0xff, v23
	s_mov_b32 s13, 0
	s_mov_b32 s34, exec_lo
                                        ; implicit-def: $sgpr29
	s_delay_alu instid0(VALU_DEP_1)
	v_cmpx_lt_i16_e64 0x7f, v183
	s_xor_b32 s34, exec_lo, s34
	s_cbranch_execnz .LBB4_1827
; %bb.1582:                             ;   in Loop: Header=BB4_1561 Depth=4
	s_or_saveexec_b32 s34, s34
	v_mov_b32_e32 v181, s29
	s_xor_b32 exec_lo, exec_lo, s34
	s_cbranch_execnz .LBB4_1830
.LBB4_1583:                             ;   in Loop: Header=BB4_1561 Depth=4
	s_or_b32 exec_lo, exec_lo, s34
	s_and_saveexec_b32 s29, s13
	s_cbranch_execz .LBB4_1585
.LBB4_1584:                             ;   in Loop: Header=BB4_1561 Depth=4
	v_and_b32_e32 v181, 7, v23
	v_lshrrev_b16 v41, 3, v23
	s_delay_alu instid0(VALU_DEP_2) | instskip(NEXT) | instid1(VALU_DEP_2)
	v_clz_i32_u32_e32 v183, v181
	v_and_b32_e32 v41, 15, v41
	s_delay_alu instid0(VALU_DEP_2) | instskip(NEXT) | instid1(VALU_DEP_2)
	v_min_u32_e32 v183, 32, v183
	v_cmp_eq_u32_e32 vcc_lo, 0, v41
	s_delay_alu instid0(VALU_DEP_2) | instskip(SKIP_1) | instid1(VALU_DEP_2)
	v_subrev_nc_u32_e32 v40, 28, v183
	v_sub_nc_u32_e32 v183, 29, v183
	v_lshlrev_b32_e32 v40, v40, v23
	v_lshlrev_b32_e32 v23, 24, v23
	s_delay_alu instid0(VALU_DEP_2) | instskip(NEXT) | instid1(VALU_DEP_2)
	v_dual_cndmask_b32 v183, v41, v183 :: v_dual_and_b32 v40, 7, v40
	v_and_b32_e32 v23, 0x80000000, v23
	s_delay_alu instid0(VALU_DEP_2) | instskip(NEXT) | instid1(VALU_DEP_3)
	v_lshl_add_u32 v183, v183, 23, 0x3b800000
	v_cndmask_b32_e32 v181, v181, v40, vcc_lo
	s_delay_alu instid0(VALU_DEP_1) | instskip(NEXT) | instid1(VALU_DEP_1)
	v_lshlrev_b32_e32 v181, 20, v181
	v_or3_b32 v181, v23, v183, v181
.LBB4_1585:                             ;   in Loop: Header=BB4_1561 Depth=4
	s_or_b32 exec_lo, exec_lo, s29
	s_delay_alu instid0(VALU_DEP_1) | instskip(NEXT) | instid1(VALU_DEP_1)
	v_add_f32_e32 v181, v182, v181
	v_and_b32_e32 v23, 0x7f800000, v181
	s_delay_alu instid0(VALU_DEP_1)
	v_cmp_ne_u32_e32 vcc_lo, 0x7f800000, v23
	v_mov_b32_e32 v23, 0x80
	s_and_saveexec_b32 s29, vcc_lo
	s_cbranch_execz .LBB4_1593
; %bb.1586:                             ;   in Loop: Header=BB4_1561 Depth=4
	v_mov_b32_e32 v23, 0
	s_mov_b32 s34, exec_lo
	v_cmpx_ne_u32_e32 0, v181
	s_cbranch_execz .LBB4_1592
; %bb.1587:                             ;   in Loop: Header=BB4_1561 Depth=4
	v_bfe_u32 v23, v181, 23, 8
	s_delay_alu instid0(VALU_DEP_1) | instskip(SKIP_1) | instid1(VALU_DEP_2)
	v_sub_nc_u32_e32 v183, 0x78, v23
	v_cmp_gt_u32_e32 vcc_lo, 0x79, v23
	v_dual_cndmask_b32 v183, 0, v183 :: v_dual_and_b32 v182, 0x7fffff, v181
	s_delay_alu instid0(VALU_DEP_1) | instskip(SKIP_2) | instid1(VALU_DEP_4)
	v_or_b32_e32 v40, 0x800000, v182
	v_cmp_eq_u32_e32 vcc_lo, 0, v23
	v_add_nc_u32_e32 v23, 0xffffff89, v23
	v_cndmask_b32_e64 v183, v183, 0x77, vcc_lo
	s_delay_alu instid0(VALU_DEP_4) | instskip(NEXT) | instid1(VALU_DEP_3)
	v_cndmask_b32_e32 v182, v40, v182, vcc_lo
	v_cndmask_b32_e64 v23, v23, 0xffffff8a, vcc_lo
	s_delay_alu instid0(VALU_DEP_3) | instskip(NEXT) | instid1(VALU_DEP_3)
	v_lshl_add_u32 v40, 0x100000, v183, -1
	v_lshrrev_b32_e32 v41, v183, v182
	v_lshlrev_b32_e64 v43, v183, 0x80000
	s_delay_alu instid0(VALU_DEP_4) | instskip(NEXT) | instid1(VALU_DEP_4)
	v_add_nc_u32_e32 v183, v183, v23
	v_and_b32_e32 v182, v40, v182
	s_delay_alu instid0(VALU_DEP_4) | instskip(NEXT) | instid1(VALU_DEP_2)
	v_bfe_u32 v42, v41, 20, 1
	v_cmp_eq_u32_e64 s13, v182, v43
	s_delay_alu instid0(VALU_DEP_2) | instskip(NEXT) | instid1(VALU_DEP_1)
	v_add_nc_u32_e32 v40, -1, v42
	v_cndmask_b32_e64 v182, 0, v40, s13
	v_lshrrev_b32_e32 v40, 23, v41
	s_mov_b32 s13, exec_lo
	s_delay_alu instid0(VALU_DEP_2) | instskip(NEXT) | instid1(VALU_DEP_2)
	v_add_nc_u32_e32 v182, v182, v41
	v_xor_b32_e32 v40, 1, v40
	s_delay_alu instid0(VALU_DEP_2) | instskip(NEXT) | instid1(VALU_DEP_1)
	v_and_b32_e32 v23, 0xfffff, v182
	v_add_nc_u32_e32 v182, v23, v41
                                        ; implicit-def: $vgpr23
	s_delay_alu instid0(VALU_DEP_3)
	v_cmpx_ne_u32_e64 v183, v40
	s_xor_b32 s13, exec_lo, s13
; %bb.1588:                             ;   in Loop: Header=BB4_1561 Depth=4
	s_delay_alu instid0(VALU_DEP_2) | instskip(SKIP_2) | instid1(VALU_DEP_2)
	v_cmp_lt_u32_e32 vcc_lo, 0xffffff, v182
	v_sub_nc_u32_e32 v23, v183, v40
	v_cndmask_b32_e64 v183, 0, 1, vcc_lo
	v_add_co_ci_u32_e32 v23, vcc_lo, 0, v23, vcc_lo
	s_delay_alu instid0(VALU_DEP_2)
	v_lshrrev_b32_e32 v182, v183, v182
; %bb.1589:                             ;   in Loop: Header=BB4_1561 Depth=4
	s_and_not1_saveexec_b32 s13, s13
; %bb.1590:                             ;   in Loop: Header=BB4_1561 Depth=4
	s_delay_alu instid0(VALU_DEP_1)
	v_bfe_u32 v23, v182, 23, 1
; %bb.1591:                             ;   in Loop: Header=BB4_1561 Depth=4
	s_or_b32 exec_lo, exec_lo, s13
	v_lshrrev_b32_e32 v182, 20, v182
	s_delay_alu instid0(VALU_DEP_2) | instskip(SKIP_2) | instid1(VALU_DEP_2)
	v_cmp_gt_i32_e32 vcc_lo, 16, v23
	v_lshrrev_b32_e32 v181, 24, v181
	v_min_i32_e32 v183, 15, v23
	v_dual_cndmask_b32 v182, 7, v182 :: v_dual_and_b32 v181, 0x80, v181
	s_delay_alu instid0(VALU_DEP_2) | instskip(NEXT) | instid1(VALU_DEP_2)
	v_lshlrev_b32_e32 v183, 3, v183
	v_or_b32_e32 v23, v23, v182
	s_delay_alu instid0(VALU_DEP_1) | instskip(SKIP_1) | instid1(VALU_DEP_1)
	v_cmp_ne_u32_e32 vcc_lo, 0, v23
	v_and_b32_e32 v40, 7, v182
	v_or3_b32 v181, v183, v181, v40
	s_delay_alu instid0(VALU_DEP_1)
	v_cndmask_b32_e32 v23, 0, v181, vcc_lo
.LBB4_1592:                             ;   in Loop: Header=BB4_1561 Depth=4
	s_or_b32 exec_lo, exec_lo, s34
.LBB4_1593:                             ;   in Loop: Header=BB4_1561 Depth=4
	s_delay_alu instid0(SALU_CYCLE_1) | instskip(SKIP_3) | instid1(VALU_DEP_1)
	s_or_b32 exec_lo, exec_lo, s29
	v_and_b32_e32 v182, 0xff, v180
	s_mov_b32 s13, 0
	s_mov_b32 s34, exec_lo
                                        ; implicit-def: $sgpr29
	v_cmpx_lt_i16_e64 0x7f, v182
	s_xor_b32 s34, exec_lo, s34
	s_cbranch_execnz .LBB4_1831
; %bb.1594:                             ;   in Loop: Header=BB4_1561 Depth=4
	s_or_saveexec_b32 s34, s34
	v_mov_b32_e32 v181, s29
	s_xor_b32 exec_lo, exec_lo, s34
	s_cbranch_execnz .LBB4_1834
.LBB4_1595:                             ;   in Loop: Header=BB4_1561 Depth=4
	s_or_b32 exec_lo, exec_lo, s34
	s_and_saveexec_b32 s29, s13
	s_cbranch_execz .LBB4_1597
.LBB4_1596:                             ;   in Loop: Header=BB4_1561 Depth=4
	v_lshrrev_b16 v40, 3, v180
	s_delay_alu instid0(VALU_DEP_1) | instskip(NEXT) | instid1(VALU_DEP_1)
	v_and_b32_e32 v40, 15, v40
	v_cmp_eq_u32_e32 vcc_lo, 0, v40
	v_and_b32_e32 v181, 7, v180
	s_delay_alu instid0(VALU_DEP_1) | instskip(NEXT) | instid1(VALU_DEP_1)
	v_clz_i32_u32_e32 v182, v181
	v_min_u32_e32 v182, 32, v182
	s_delay_alu instid0(VALU_DEP_1) | instskip(SKIP_1) | instid1(VALU_DEP_1)
	v_subrev_nc_u32_e32 v183, 28, v182
	v_sub_nc_u32_e32 v182, 29, v182
	v_dual_cndmask_b32 v182, v40, v182 :: v_dual_lshlrev_b32 v183, v183, v180
	v_lshlrev_b32_e32 v180, 24, v180
	s_delay_alu instid0(VALU_DEP_2) | instskip(NEXT) | instid1(VALU_DEP_3)
	v_and_b32_e32 v183, 7, v183
	v_lshl_add_u32 v182, v182, 23, 0x3b800000
	s_delay_alu instid0(VALU_DEP_2) | instskip(NEXT) | instid1(VALU_DEP_1)
	v_dual_cndmask_b32 v181, v181, v183 :: v_dual_and_b32 v180, 0x80000000, v180
	v_lshlrev_b32_e32 v181, 20, v181
	s_delay_alu instid0(VALU_DEP_1)
	v_or3_b32 v181, v180, v182, v181
.LBB4_1597:                             ;   in Loop: Header=BB4_1561 Depth=4
	s_or_b32 exec_lo, exec_lo, s29
	s_waitcnt vmcnt(13) lgkmcnt(13)
	v_and_b32_e32 v182, 0xff, v82
	s_mov_b32 s13, 0
	s_mov_b32 s34, exec_lo
                                        ; implicit-def: $sgpr29
	s_delay_alu instid0(VALU_DEP_1)
	v_cmpx_lt_i16_e64 0x7f, v182
	s_xor_b32 s34, exec_lo, s34
	s_cbranch_execnz .LBB4_1835
; %bb.1598:                             ;   in Loop: Header=BB4_1561 Depth=4
	s_or_saveexec_b32 s34, s34
	v_mov_b32_e32 v180, s29
	s_xor_b32 exec_lo, exec_lo, s34
	s_cbranch_execnz .LBB4_1838
.LBB4_1599:                             ;   in Loop: Header=BB4_1561 Depth=4
	s_or_b32 exec_lo, exec_lo, s34
	s_and_saveexec_b32 s29, s13
	s_cbranch_execz .LBB4_1601
.LBB4_1600:                             ;   in Loop: Header=BB4_1561 Depth=4
	v_and_b32_e32 v180, 7, v82
	v_lshrrev_b16 v40, 3, v82
	s_delay_alu instid0(VALU_DEP_2) | instskip(NEXT) | instid1(VALU_DEP_2)
	v_clz_i32_u32_e32 v182, v180
	v_and_b32_e32 v40, 15, v40
	s_delay_alu instid0(VALU_DEP_2) | instskip(NEXT) | instid1(VALU_DEP_2)
	v_min_u32_e32 v182, 32, v182
	v_cmp_eq_u32_e32 vcc_lo, 0, v40
	s_delay_alu instid0(VALU_DEP_2) | instskip(SKIP_1) | instid1(VALU_DEP_2)
	v_subrev_nc_u32_e32 v183, 28, v182
	v_sub_nc_u32_e32 v182, 29, v182
	v_lshlrev_b32_e32 v183, v183, v82
	v_lshlrev_b32_e32 v82, 24, v82
	s_delay_alu instid0(VALU_DEP_2) | instskip(NEXT) | instid1(VALU_DEP_2)
	v_dual_cndmask_b32 v182, v40, v182 :: v_dual_and_b32 v183, 7, v183
	v_and_b32_e32 v82, 0x80000000, v82
	s_delay_alu instid0(VALU_DEP_2) | instskip(NEXT) | instid1(VALU_DEP_3)
	v_lshl_add_u32 v182, v182, 23, 0x3b800000
	v_cndmask_b32_e32 v180, v180, v183, vcc_lo
	s_delay_alu instid0(VALU_DEP_1) | instskip(NEXT) | instid1(VALU_DEP_1)
	v_lshlrev_b32_e32 v180, 20, v180
	v_or3_b32 v180, v82, v182, v180
.LBB4_1601:                             ;   in Loop: Header=BB4_1561 Depth=4
	s_or_b32 exec_lo, exec_lo, s29
	s_delay_alu instid0(VALU_DEP_1) | instskip(NEXT) | instid1(VALU_DEP_1)
	v_add_f32_e32 v180, v181, v180
	v_and_b32_e32 v82, 0x7f800000, v180
	s_delay_alu instid0(VALU_DEP_1)
	v_cmp_ne_u32_e32 vcc_lo, 0x7f800000, v82
	v_mov_b32_e32 v82, 0x80
	s_and_saveexec_b32 s29, vcc_lo
	s_cbranch_execz .LBB4_1609
; %bb.1602:                             ;   in Loop: Header=BB4_1561 Depth=4
	v_mov_b32_e32 v82, 0
	s_mov_b32 s34, exec_lo
	v_cmpx_ne_u32_e32 0, v180
	s_cbranch_execz .LBB4_1608
; %bb.1603:                             ;   in Loop: Header=BB4_1561 Depth=4
	v_bfe_u32 v82, v180, 23, 8
	s_delay_alu instid0(VALU_DEP_1) | instskip(SKIP_1) | instid1(VALU_DEP_2)
	v_sub_nc_u32_e32 v182, 0x78, v82
	v_cmp_gt_u32_e32 vcc_lo, 0x79, v82
	v_dual_cndmask_b32 v182, 0, v182 :: v_dual_and_b32 v181, 0x7fffff, v180
	s_delay_alu instid0(VALU_DEP_1) | instskip(SKIP_2) | instid1(VALU_DEP_4)
	v_or_b32_e32 v183, 0x800000, v181
	v_cmp_eq_u32_e32 vcc_lo, 0, v82
	v_add_nc_u32_e32 v82, 0xffffff89, v82
	v_cndmask_b32_e64 v182, v182, 0x77, vcc_lo
	s_delay_alu instid0(VALU_DEP_4) | instskip(NEXT) | instid1(VALU_DEP_3)
	v_cndmask_b32_e32 v181, v183, v181, vcc_lo
	v_cndmask_b32_e64 v82, v82, 0xffffff8a, vcc_lo
	s_delay_alu instid0(VALU_DEP_3) | instskip(NEXT) | instid1(VALU_DEP_3)
	v_lshl_add_u32 v183, 0x100000, v182, -1
	v_lshrrev_b32_e32 v40, v182, v181
	v_lshlrev_b32_e64 v42, v182, 0x80000
	s_delay_alu instid0(VALU_DEP_4) | instskip(NEXT) | instid1(VALU_DEP_4)
	v_add_nc_u32_e32 v182, v182, v82
	v_and_b32_e32 v181, v183, v181
	s_delay_alu instid0(VALU_DEP_4) | instskip(NEXT) | instid1(VALU_DEP_2)
	v_bfe_u32 v41, v40, 20, 1
	v_cmp_eq_u32_e64 s13, v181, v42
	s_delay_alu instid0(VALU_DEP_2) | instskip(NEXT) | instid1(VALU_DEP_1)
	v_add_nc_u32_e32 v183, -1, v41
	v_cndmask_b32_e64 v181, 0, v183, s13
	v_lshrrev_b32_e32 v183, 23, v40
	s_mov_b32 s13, exec_lo
	s_delay_alu instid0(VALU_DEP_2) | instskip(NEXT) | instid1(VALU_DEP_2)
	v_add_nc_u32_e32 v181, v181, v40
	v_xor_b32_e32 v183, 1, v183
	s_delay_alu instid0(VALU_DEP_2) | instskip(NEXT) | instid1(VALU_DEP_1)
	v_and_b32_e32 v82, 0xfffff, v181
	v_add_nc_u32_e32 v181, v82, v40
                                        ; implicit-def: $vgpr82
	s_delay_alu instid0(VALU_DEP_3)
	v_cmpx_ne_u32_e64 v182, v183
	s_xor_b32 s13, exec_lo, s13
; %bb.1604:                             ;   in Loop: Header=BB4_1561 Depth=4
	s_delay_alu instid0(VALU_DEP_2) | instskip(SKIP_2) | instid1(VALU_DEP_2)
	v_cmp_lt_u32_e32 vcc_lo, 0xffffff, v181
	v_sub_nc_u32_e32 v82, v182, v183
	v_cndmask_b32_e64 v182, 0, 1, vcc_lo
	v_add_co_ci_u32_e32 v82, vcc_lo, 0, v82, vcc_lo
	s_delay_alu instid0(VALU_DEP_2)
	v_lshrrev_b32_e32 v181, v182, v181
; %bb.1605:                             ;   in Loop: Header=BB4_1561 Depth=4
	s_and_not1_saveexec_b32 s13, s13
; %bb.1606:                             ;   in Loop: Header=BB4_1561 Depth=4
	s_delay_alu instid0(VALU_DEP_1)
	v_bfe_u32 v82, v181, 23, 1
; %bb.1607:                             ;   in Loop: Header=BB4_1561 Depth=4
	s_or_b32 exec_lo, exec_lo, s13
	v_lshrrev_b32_e32 v181, 20, v181
	s_delay_alu instid0(VALU_DEP_2) | instskip(SKIP_2) | instid1(VALU_DEP_2)
	v_cmp_gt_i32_e32 vcc_lo, 16, v82
	v_lshrrev_b32_e32 v180, 24, v180
	v_min_i32_e32 v182, 15, v82
	v_dual_cndmask_b32 v181, 7, v181 :: v_dual_and_b32 v180, 0x80, v180
	s_delay_alu instid0(VALU_DEP_2) | instskip(NEXT) | instid1(VALU_DEP_2)
	v_lshlrev_b32_e32 v182, 3, v182
	v_or_b32_e32 v82, v82, v181
	s_delay_alu instid0(VALU_DEP_1) | instskip(SKIP_1) | instid1(VALU_DEP_1)
	v_cmp_ne_u32_e32 vcc_lo, 0, v82
	v_and_b32_e32 v183, 7, v181
	v_or3_b32 v180, v182, v180, v183
	s_delay_alu instid0(VALU_DEP_1)
	v_cndmask_b32_e32 v82, 0, v180, vcc_lo
.LBB4_1608:                             ;   in Loop: Header=BB4_1561 Depth=4
	s_or_b32 exec_lo, exec_lo, s34
.LBB4_1609:                             ;   in Loop: Header=BB4_1561 Depth=4
	s_delay_alu instid0(SALU_CYCLE_1) | instskip(SKIP_3) | instid1(VALU_DEP_1)
	s_or_b32 exec_lo, exec_lo, s29
	v_and_b32_e32 v181, 0xff, v179
	s_mov_b32 s13, 0
	s_mov_b32 s34, exec_lo
                                        ; implicit-def: $sgpr29
	v_cmpx_lt_i16_e64 0x7f, v181
	s_xor_b32 s34, exec_lo, s34
	s_cbranch_execnz .LBB4_1839
; %bb.1610:                             ;   in Loop: Header=BB4_1561 Depth=4
	s_or_saveexec_b32 s34, s34
	v_mov_b32_e32 v180, s29
	s_xor_b32 exec_lo, exec_lo, s34
	s_cbranch_execnz .LBB4_1842
.LBB4_1611:                             ;   in Loop: Header=BB4_1561 Depth=4
	s_or_b32 exec_lo, exec_lo, s34
	s_and_saveexec_b32 s29, s13
	s_cbranch_execz .LBB4_1613
.LBB4_1612:                             ;   in Loop: Header=BB4_1561 Depth=4
	v_lshrrev_b16 v183, 3, v179
	s_delay_alu instid0(VALU_DEP_1) | instskip(NEXT) | instid1(VALU_DEP_1)
	v_and_b32_e32 v183, 15, v183
	v_cmp_eq_u32_e32 vcc_lo, 0, v183
	v_and_b32_e32 v180, 7, v179
	s_delay_alu instid0(VALU_DEP_1) | instskip(NEXT) | instid1(VALU_DEP_1)
	v_clz_i32_u32_e32 v181, v180
	v_min_u32_e32 v181, 32, v181
	s_delay_alu instid0(VALU_DEP_1) | instskip(SKIP_1) | instid1(VALU_DEP_1)
	v_subrev_nc_u32_e32 v182, 28, v181
	v_sub_nc_u32_e32 v181, 29, v181
	v_dual_cndmask_b32 v181, v183, v181 :: v_dual_lshlrev_b32 v182, v182, v179
	v_lshlrev_b32_e32 v179, 24, v179
	s_delay_alu instid0(VALU_DEP_2) | instskip(NEXT) | instid1(VALU_DEP_3)
	v_and_b32_e32 v182, 7, v182
	v_lshl_add_u32 v181, v181, 23, 0x3b800000
	s_delay_alu instid0(VALU_DEP_2) | instskip(NEXT) | instid1(VALU_DEP_1)
	v_dual_cndmask_b32 v180, v180, v182 :: v_dual_and_b32 v179, 0x80000000, v179
	v_lshlrev_b32_e32 v180, 20, v180
	s_delay_alu instid0(VALU_DEP_1)
	v_or3_b32 v180, v179, v181, v180
.LBB4_1613:                             ;   in Loop: Header=BB4_1561 Depth=4
	s_or_b32 exec_lo, exec_lo, s29
	s_waitcnt vmcnt(12) lgkmcnt(12)
	v_and_b32_e32 v181, 0xff, v85
	s_mov_b32 s13, 0
	s_mov_b32 s34, exec_lo
                                        ; implicit-def: $sgpr29
	s_delay_alu instid0(VALU_DEP_1)
	v_cmpx_lt_i16_e64 0x7f, v181
	s_xor_b32 s34, exec_lo, s34
	s_cbranch_execnz .LBB4_1843
; %bb.1614:                             ;   in Loop: Header=BB4_1561 Depth=4
	s_or_saveexec_b32 s34, s34
	v_mov_b32_e32 v179, s29
	s_xor_b32 exec_lo, exec_lo, s34
	s_cbranch_execnz .LBB4_1846
.LBB4_1615:                             ;   in Loop: Header=BB4_1561 Depth=4
	s_or_b32 exec_lo, exec_lo, s34
	s_and_saveexec_b32 s29, s13
	s_cbranch_execz .LBB4_1617
.LBB4_1616:                             ;   in Loop: Header=BB4_1561 Depth=4
	v_and_b32_e32 v179, 7, v85
	v_lshrrev_b16 v183, 3, v85
	s_delay_alu instid0(VALU_DEP_2) | instskip(NEXT) | instid1(VALU_DEP_2)
	v_clz_i32_u32_e32 v181, v179
	v_and_b32_e32 v183, 15, v183
	s_delay_alu instid0(VALU_DEP_2) | instskip(NEXT) | instid1(VALU_DEP_2)
	v_min_u32_e32 v181, 32, v181
	v_cmp_eq_u32_e32 vcc_lo, 0, v183
	s_delay_alu instid0(VALU_DEP_2) | instskip(SKIP_1) | instid1(VALU_DEP_2)
	v_subrev_nc_u32_e32 v182, 28, v181
	v_sub_nc_u32_e32 v181, 29, v181
	v_lshlrev_b32_e32 v182, v182, v85
	v_lshlrev_b32_e32 v85, 24, v85
	s_delay_alu instid0(VALU_DEP_2) | instskip(NEXT) | instid1(VALU_DEP_2)
	v_dual_cndmask_b32 v181, v183, v181 :: v_dual_and_b32 v182, 7, v182
	v_and_b32_e32 v85, 0x80000000, v85
	s_delay_alu instid0(VALU_DEP_2) | instskip(NEXT) | instid1(VALU_DEP_3)
	v_lshl_add_u32 v181, v181, 23, 0x3b800000
	v_cndmask_b32_e32 v179, v179, v182, vcc_lo
	s_delay_alu instid0(VALU_DEP_1) | instskip(NEXT) | instid1(VALU_DEP_1)
	v_lshlrev_b32_e32 v179, 20, v179
	v_or3_b32 v179, v85, v181, v179
.LBB4_1617:                             ;   in Loop: Header=BB4_1561 Depth=4
	s_or_b32 exec_lo, exec_lo, s29
	s_delay_alu instid0(VALU_DEP_1) | instskip(NEXT) | instid1(VALU_DEP_1)
	v_add_f32_e32 v179, v180, v179
	v_and_b32_e32 v85, 0x7f800000, v179
	s_delay_alu instid0(VALU_DEP_1)
	v_cmp_ne_u32_e32 vcc_lo, 0x7f800000, v85
	v_mov_b32_e32 v85, 0x80
	s_and_saveexec_b32 s29, vcc_lo
	s_cbranch_execz .LBB4_1625
; %bb.1618:                             ;   in Loop: Header=BB4_1561 Depth=4
	v_mov_b32_e32 v85, 0
	s_mov_b32 s34, exec_lo
	v_cmpx_ne_u32_e32 0, v179
	s_cbranch_execz .LBB4_1624
; %bb.1619:                             ;   in Loop: Header=BB4_1561 Depth=4
	v_bfe_u32 v85, v179, 23, 8
	s_delay_alu instid0(VALU_DEP_1) | instskip(SKIP_1) | instid1(VALU_DEP_2)
	v_sub_nc_u32_e32 v181, 0x78, v85
	v_cmp_gt_u32_e32 vcc_lo, 0x79, v85
	v_dual_cndmask_b32 v181, 0, v181 :: v_dual_and_b32 v180, 0x7fffff, v179
	s_delay_alu instid0(VALU_DEP_1) | instskip(SKIP_2) | instid1(VALU_DEP_4)
	v_or_b32_e32 v182, 0x800000, v180
	v_cmp_eq_u32_e32 vcc_lo, 0, v85
	v_add_nc_u32_e32 v85, 0xffffff89, v85
	v_cndmask_b32_e64 v181, v181, 0x77, vcc_lo
	s_delay_alu instid0(VALU_DEP_4) | instskip(NEXT) | instid1(VALU_DEP_3)
	v_cndmask_b32_e32 v180, v182, v180, vcc_lo
	v_cndmask_b32_e64 v85, v85, 0xffffff8a, vcc_lo
	s_delay_alu instid0(VALU_DEP_3) | instskip(NEXT) | instid1(VALU_DEP_3)
	v_lshl_add_u32 v182, 0x100000, v181, -1
	v_lshrrev_b32_e32 v183, v181, v180
	v_lshlrev_b32_e64 v41, v181, 0x80000
	s_delay_alu instid0(VALU_DEP_4) | instskip(NEXT) | instid1(VALU_DEP_4)
	v_add_nc_u32_e32 v181, v181, v85
	v_and_b32_e32 v180, v182, v180
	s_delay_alu instid0(VALU_DEP_4) | instskip(NEXT) | instid1(VALU_DEP_2)
	v_bfe_u32 v40, v183, 20, 1
	v_cmp_eq_u32_e64 s13, v180, v41
	s_delay_alu instid0(VALU_DEP_2) | instskip(NEXT) | instid1(VALU_DEP_1)
	v_add_nc_u32_e32 v182, -1, v40
	v_cndmask_b32_e64 v180, 0, v182, s13
	v_lshrrev_b32_e32 v182, 23, v183
	s_mov_b32 s13, exec_lo
	s_delay_alu instid0(VALU_DEP_2) | instskip(NEXT) | instid1(VALU_DEP_2)
	v_add_nc_u32_e32 v180, v180, v183
	v_xor_b32_e32 v182, 1, v182
	s_delay_alu instid0(VALU_DEP_2) | instskip(NEXT) | instid1(VALU_DEP_1)
	v_and_b32_e32 v85, 0xfffff, v180
	v_add_nc_u32_e32 v180, v85, v183
                                        ; implicit-def: $vgpr85
	s_delay_alu instid0(VALU_DEP_3)
	v_cmpx_ne_u32_e64 v181, v182
	s_xor_b32 s13, exec_lo, s13
; %bb.1620:                             ;   in Loop: Header=BB4_1561 Depth=4
	s_delay_alu instid0(VALU_DEP_2) | instskip(SKIP_2) | instid1(VALU_DEP_2)
	v_cmp_lt_u32_e32 vcc_lo, 0xffffff, v180
	v_sub_nc_u32_e32 v85, v181, v182
	v_cndmask_b32_e64 v181, 0, 1, vcc_lo
	v_add_co_ci_u32_e32 v85, vcc_lo, 0, v85, vcc_lo
	s_delay_alu instid0(VALU_DEP_2)
	v_lshrrev_b32_e32 v180, v181, v180
; %bb.1621:                             ;   in Loop: Header=BB4_1561 Depth=4
	s_and_not1_saveexec_b32 s13, s13
; %bb.1622:                             ;   in Loop: Header=BB4_1561 Depth=4
	s_delay_alu instid0(VALU_DEP_1)
	v_bfe_u32 v85, v180, 23, 1
; %bb.1623:                             ;   in Loop: Header=BB4_1561 Depth=4
	s_or_b32 exec_lo, exec_lo, s13
	v_lshrrev_b32_e32 v180, 20, v180
	s_delay_alu instid0(VALU_DEP_2) | instskip(SKIP_2) | instid1(VALU_DEP_2)
	v_cmp_gt_i32_e32 vcc_lo, 16, v85
	v_lshrrev_b32_e32 v179, 24, v179
	v_min_i32_e32 v181, 15, v85
	v_dual_cndmask_b32 v180, 7, v180 :: v_dual_and_b32 v179, 0x80, v179
	s_delay_alu instid0(VALU_DEP_2) | instskip(NEXT) | instid1(VALU_DEP_2)
	v_lshlrev_b32_e32 v181, 3, v181
	v_or_b32_e32 v85, v85, v180
	s_delay_alu instid0(VALU_DEP_1) | instskip(SKIP_1) | instid1(VALU_DEP_1)
	v_cmp_ne_u32_e32 vcc_lo, 0, v85
	v_and_b32_e32 v182, 7, v180
	v_or3_b32 v179, v181, v179, v182
	s_delay_alu instid0(VALU_DEP_1)
	v_cndmask_b32_e32 v85, 0, v179, vcc_lo
.LBB4_1624:                             ;   in Loop: Header=BB4_1561 Depth=4
	s_or_b32 exec_lo, exec_lo, s34
.LBB4_1625:                             ;   in Loop: Header=BB4_1561 Depth=4
	s_delay_alu instid0(SALU_CYCLE_1) | instskip(SKIP_3) | instid1(VALU_DEP_1)
	s_or_b32 exec_lo, exec_lo, s29
	v_and_b32_e32 v180, 0xff, v178
	s_mov_b32 s13, 0
	s_mov_b32 s34, exec_lo
                                        ; implicit-def: $sgpr29
	v_cmpx_lt_i16_e64 0x7f, v180
	s_xor_b32 s34, exec_lo, s34
	s_cbranch_execnz .LBB4_1847
; %bb.1626:                             ;   in Loop: Header=BB4_1561 Depth=4
	s_or_saveexec_b32 s34, s34
	v_mov_b32_e32 v179, s29
	s_xor_b32 exec_lo, exec_lo, s34
	s_cbranch_execnz .LBB4_1850
.LBB4_1627:                             ;   in Loop: Header=BB4_1561 Depth=4
	s_or_b32 exec_lo, exec_lo, s34
	s_and_saveexec_b32 s29, s13
	s_cbranch_execz .LBB4_1629
.LBB4_1628:                             ;   in Loop: Header=BB4_1561 Depth=4
	v_lshrrev_b16 v182, 3, v178
	s_delay_alu instid0(VALU_DEP_1) | instskip(NEXT) | instid1(VALU_DEP_1)
	v_and_b32_e32 v182, 15, v182
	v_cmp_eq_u32_e32 vcc_lo, 0, v182
	v_and_b32_e32 v179, 7, v178
	s_delay_alu instid0(VALU_DEP_1) | instskip(NEXT) | instid1(VALU_DEP_1)
	v_clz_i32_u32_e32 v180, v179
	v_min_u32_e32 v180, 32, v180
	s_delay_alu instid0(VALU_DEP_1) | instskip(SKIP_1) | instid1(VALU_DEP_1)
	v_subrev_nc_u32_e32 v181, 28, v180
	v_sub_nc_u32_e32 v180, 29, v180
	v_dual_cndmask_b32 v180, v182, v180 :: v_dual_lshlrev_b32 v181, v181, v178
	v_lshlrev_b32_e32 v178, 24, v178
	s_delay_alu instid0(VALU_DEP_2) | instskip(NEXT) | instid1(VALU_DEP_3)
	v_and_b32_e32 v181, 7, v181
	v_lshl_add_u32 v180, v180, 23, 0x3b800000
	s_delay_alu instid0(VALU_DEP_2) | instskip(NEXT) | instid1(VALU_DEP_1)
	v_dual_cndmask_b32 v179, v179, v181 :: v_dual_and_b32 v178, 0x80000000, v178
	v_lshlrev_b32_e32 v179, 20, v179
	s_delay_alu instid0(VALU_DEP_1)
	v_or3_b32 v179, v178, v180, v179
.LBB4_1629:                             ;   in Loop: Header=BB4_1561 Depth=4
	s_or_b32 exec_lo, exec_lo, s29
	s_waitcnt vmcnt(11) lgkmcnt(11)
	v_and_b32_e32 v180, 0xff, v149
	s_mov_b32 s13, 0
	s_mov_b32 s34, exec_lo
                                        ; implicit-def: $sgpr29
	s_delay_alu instid0(VALU_DEP_1)
	v_cmpx_lt_i16_e64 0x7f, v180
	s_xor_b32 s34, exec_lo, s34
	s_cbranch_execnz .LBB4_1851
; %bb.1630:                             ;   in Loop: Header=BB4_1561 Depth=4
	s_or_saveexec_b32 s34, s34
	v_mov_b32_e32 v178, s29
	s_xor_b32 exec_lo, exec_lo, s34
	s_cbranch_execnz .LBB4_1854
.LBB4_1631:                             ;   in Loop: Header=BB4_1561 Depth=4
	s_or_b32 exec_lo, exec_lo, s34
	s_and_saveexec_b32 s29, s13
	s_cbranch_execz .LBB4_1633
.LBB4_1632:                             ;   in Loop: Header=BB4_1561 Depth=4
	v_and_b32_e32 v178, 7, v149
	v_lshrrev_b16 v182, 3, v149
	s_delay_alu instid0(VALU_DEP_2) | instskip(NEXT) | instid1(VALU_DEP_2)
	v_clz_i32_u32_e32 v180, v178
	v_and_b32_e32 v182, 15, v182
	s_delay_alu instid0(VALU_DEP_2) | instskip(NEXT) | instid1(VALU_DEP_2)
	v_min_u32_e32 v180, 32, v180
	v_cmp_eq_u32_e32 vcc_lo, 0, v182
	s_delay_alu instid0(VALU_DEP_2) | instskip(SKIP_1) | instid1(VALU_DEP_1)
	v_subrev_nc_u32_e32 v181, 28, v180
	v_sub_nc_u32_e32 v180, 29, v180
	v_dual_cndmask_b32 v180, v182, v180 :: v_dual_lshlrev_b32 v181, v181, v149
	v_lshlrev_b32_e32 v149, 24, v149
	s_delay_alu instid0(VALU_DEP_2) | instskip(NEXT) | instid1(VALU_DEP_3)
	v_and_b32_e32 v181, 7, v181
	v_lshl_add_u32 v180, v180, 23, 0x3b800000
	s_delay_alu instid0(VALU_DEP_3) | instskip(NEXT) | instid1(VALU_DEP_3)
	v_and_b32_e32 v149, 0x80000000, v149
	v_cndmask_b32_e32 v178, v178, v181, vcc_lo
	s_delay_alu instid0(VALU_DEP_1) | instskip(NEXT) | instid1(VALU_DEP_1)
	v_lshlrev_b32_e32 v178, 20, v178
	v_or3_b32 v178, v149, v180, v178
.LBB4_1633:                             ;   in Loop: Header=BB4_1561 Depth=4
	s_or_b32 exec_lo, exec_lo, s29
	s_delay_alu instid0(VALU_DEP_1) | instskip(NEXT) | instid1(VALU_DEP_1)
	v_add_f32_e32 v178, v179, v178
	v_and_b32_e32 v149, 0x7f800000, v178
	s_delay_alu instid0(VALU_DEP_1)
	v_cmp_ne_u32_e32 vcc_lo, 0x7f800000, v149
	v_mov_b32_e32 v149, 0x80
	s_and_saveexec_b32 s29, vcc_lo
	s_cbranch_execz .LBB4_1641
; %bb.1634:                             ;   in Loop: Header=BB4_1561 Depth=4
	v_mov_b32_e32 v149, 0
	s_mov_b32 s34, exec_lo
	v_cmpx_ne_u32_e32 0, v178
	s_cbranch_execz .LBB4_1640
; %bb.1635:                             ;   in Loop: Header=BB4_1561 Depth=4
	v_bfe_u32 v149, v178, 23, 8
	s_delay_alu instid0(VALU_DEP_1) | instskip(SKIP_1) | instid1(VALU_DEP_2)
	v_sub_nc_u32_e32 v180, 0x78, v149
	v_cmp_gt_u32_e32 vcc_lo, 0x79, v149
	v_dual_cndmask_b32 v180, 0, v180 :: v_dual_and_b32 v179, 0x7fffff, v178
	s_delay_alu instid0(VALU_DEP_1) | instskip(SKIP_2) | instid1(VALU_DEP_4)
	v_or_b32_e32 v181, 0x800000, v179
	v_cmp_eq_u32_e32 vcc_lo, 0, v149
	v_add_nc_u32_e32 v149, 0xffffff89, v149
	v_cndmask_b32_e64 v180, v180, 0x77, vcc_lo
	s_delay_alu instid0(VALU_DEP_2) | instskip(SKIP_1) | instid1(VALU_DEP_3)
	v_cndmask_b32_e64 v149, v149, 0xffffff8a, vcc_lo
	v_cndmask_b32_e32 v179, v181, v179, vcc_lo
	v_lshl_add_u32 v181, 0x100000, v180, -1
	v_lshlrev_b32_e64 v40, v180, 0x80000
	s_delay_alu instid0(VALU_DEP_3) | instskip(SKIP_1) | instid1(VALU_DEP_4)
	v_lshrrev_b32_e32 v182, v180, v179
	v_add_nc_u32_e32 v180, v180, v149
	v_and_b32_e32 v179, v181, v179
	s_delay_alu instid0(VALU_DEP_3) | instskip(NEXT) | instid1(VALU_DEP_2)
	v_bfe_u32 v183, v182, 20, 1
	v_cmp_eq_u32_e64 s13, v179, v40
	s_delay_alu instid0(VALU_DEP_2) | instskip(NEXT) | instid1(VALU_DEP_1)
	v_add_nc_u32_e32 v181, -1, v183
	v_cndmask_b32_e64 v179, 0, v181, s13
	v_lshrrev_b32_e32 v181, 23, v182
	s_mov_b32 s13, exec_lo
	s_delay_alu instid0(VALU_DEP_2) | instskip(NEXT) | instid1(VALU_DEP_2)
	v_add_nc_u32_e32 v179, v179, v182
	v_xor_b32_e32 v181, 1, v181
	s_delay_alu instid0(VALU_DEP_2) | instskip(NEXT) | instid1(VALU_DEP_1)
	v_and_b32_e32 v149, 0xfffff, v179
	v_add_nc_u32_e32 v179, v149, v182
                                        ; implicit-def: $vgpr149
	s_delay_alu instid0(VALU_DEP_3)
	v_cmpx_ne_u32_e64 v180, v181
	s_xor_b32 s13, exec_lo, s13
; %bb.1636:                             ;   in Loop: Header=BB4_1561 Depth=4
	s_delay_alu instid0(VALU_DEP_2) | instskip(SKIP_2) | instid1(VALU_DEP_2)
	v_cmp_lt_u32_e32 vcc_lo, 0xffffff, v179
	v_sub_nc_u32_e32 v149, v180, v181
	v_cndmask_b32_e64 v180, 0, 1, vcc_lo
	v_add_co_ci_u32_e32 v149, vcc_lo, 0, v149, vcc_lo
	s_delay_alu instid0(VALU_DEP_2)
	v_lshrrev_b32_e32 v179, v180, v179
; %bb.1637:                             ;   in Loop: Header=BB4_1561 Depth=4
	s_and_not1_saveexec_b32 s13, s13
; %bb.1638:                             ;   in Loop: Header=BB4_1561 Depth=4
	s_delay_alu instid0(VALU_DEP_1)
	v_bfe_u32 v149, v179, 23, 1
; %bb.1639:                             ;   in Loop: Header=BB4_1561 Depth=4
	s_or_b32 exec_lo, exec_lo, s13
	v_lshrrev_b32_e32 v179, 20, v179
	s_delay_alu instid0(VALU_DEP_2) | instskip(SKIP_2) | instid1(VALU_DEP_2)
	v_cmp_gt_i32_e32 vcc_lo, 16, v149
	v_lshrrev_b32_e32 v178, 24, v178
	v_min_i32_e32 v180, 15, v149
	v_dual_cndmask_b32 v179, 7, v179 :: v_dual_and_b32 v178, 0x80, v178
	s_delay_alu instid0(VALU_DEP_1) | instskip(SKIP_1) | instid1(VALU_DEP_2)
	v_or_b32_e32 v149, v149, v179
	v_and_b32_e32 v181, 7, v179
	v_cmp_ne_u32_e32 vcc_lo, 0, v149
	v_lshlrev_b32_e32 v180, 3, v180
	s_delay_alu instid0(VALU_DEP_1) | instskip(NEXT) | instid1(VALU_DEP_1)
	v_or3_b32 v178, v180, v178, v181
	v_cndmask_b32_e32 v149, 0, v178, vcc_lo
.LBB4_1640:                             ;   in Loop: Header=BB4_1561 Depth=4
	s_or_b32 exec_lo, exec_lo, s34
.LBB4_1641:                             ;   in Loop: Header=BB4_1561 Depth=4
	s_delay_alu instid0(SALU_CYCLE_1) | instskip(SKIP_3) | instid1(VALU_DEP_1)
	s_or_b32 exec_lo, exec_lo, s29
	v_and_b32_e32 v179, 0xff, v177
	s_mov_b32 s13, 0
	s_mov_b32 s34, exec_lo
                                        ; implicit-def: $sgpr29
	v_cmpx_lt_i16_e64 0x7f, v179
	s_xor_b32 s34, exec_lo, s34
	s_cbranch_execnz .LBB4_1855
; %bb.1642:                             ;   in Loop: Header=BB4_1561 Depth=4
	s_or_saveexec_b32 s34, s34
	v_mov_b32_e32 v178, s29
	s_xor_b32 exec_lo, exec_lo, s34
	s_cbranch_execnz .LBB4_1858
.LBB4_1643:                             ;   in Loop: Header=BB4_1561 Depth=4
	s_or_b32 exec_lo, exec_lo, s34
	s_and_saveexec_b32 s29, s13
	s_cbranch_execz .LBB4_1645
.LBB4_1644:                             ;   in Loop: Header=BB4_1561 Depth=4
	v_lshrrev_b16 v181, 3, v177
	s_delay_alu instid0(VALU_DEP_1) | instskip(NEXT) | instid1(VALU_DEP_1)
	v_and_b32_e32 v181, 15, v181
	v_cmp_eq_u32_e32 vcc_lo, 0, v181
	v_and_b32_e32 v178, 7, v177
	s_delay_alu instid0(VALU_DEP_1) | instskip(NEXT) | instid1(VALU_DEP_1)
	v_clz_i32_u32_e32 v179, v178
	v_min_u32_e32 v179, 32, v179
	s_delay_alu instid0(VALU_DEP_1) | instskip(SKIP_1) | instid1(VALU_DEP_1)
	v_subrev_nc_u32_e32 v180, 28, v179
	v_sub_nc_u32_e32 v179, 29, v179
	v_dual_cndmask_b32 v179, v181, v179 :: v_dual_lshlrev_b32 v180, v180, v177
	v_lshlrev_b32_e32 v177, 24, v177
	s_delay_alu instid0(VALU_DEP_2) | instskip(NEXT) | instid1(VALU_DEP_3)
	v_and_b32_e32 v180, 7, v180
	v_lshl_add_u32 v179, v179, 23, 0x3b800000
	s_delay_alu instid0(VALU_DEP_2) | instskip(NEXT) | instid1(VALU_DEP_1)
	v_dual_cndmask_b32 v178, v178, v180 :: v_dual_and_b32 v177, 0x80000000, v177
	v_lshlrev_b32_e32 v178, 20, v178
	s_delay_alu instid0(VALU_DEP_1)
	v_or3_b32 v178, v177, v179, v178
.LBB4_1645:                             ;   in Loop: Header=BB4_1561 Depth=4
	s_or_b32 exec_lo, exec_lo, s29
	s_waitcnt vmcnt(10) lgkmcnt(10)
	v_and_b32_e32 v179, 0xff, v160
	s_mov_b32 s13, 0
	s_mov_b32 s34, exec_lo
                                        ; implicit-def: $sgpr29
	s_delay_alu instid0(VALU_DEP_1)
	v_cmpx_lt_i16_e64 0x7f, v179
	s_xor_b32 s34, exec_lo, s34
	s_cbranch_execnz .LBB4_1859
; %bb.1646:                             ;   in Loop: Header=BB4_1561 Depth=4
	s_or_saveexec_b32 s34, s34
	v_mov_b32_e32 v177, s29
	s_xor_b32 exec_lo, exec_lo, s34
	s_cbranch_execnz .LBB4_1862
.LBB4_1647:                             ;   in Loop: Header=BB4_1561 Depth=4
	s_or_b32 exec_lo, exec_lo, s34
	s_and_saveexec_b32 s29, s13
	s_cbranch_execz .LBB4_1649
.LBB4_1648:                             ;   in Loop: Header=BB4_1561 Depth=4
	v_and_b32_e32 v177, 7, v160
	v_lshrrev_b16 v181, 3, v160
	s_delay_alu instid0(VALU_DEP_2) | instskip(NEXT) | instid1(VALU_DEP_2)
	v_clz_i32_u32_e32 v179, v177
	v_and_b32_e32 v181, 15, v181
	s_delay_alu instid0(VALU_DEP_2) | instskip(NEXT) | instid1(VALU_DEP_2)
	v_min_u32_e32 v179, 32, v179
	v_cmp_eq_u32_e32 vcc_lo, 0, v181
	s_delay_alu instid0(VALU_DEP_2) | instskip(SKIP_1) | instid1(VALU_DEP_1)
	v_subrev_nc_u32_e32 v180, 28, v179
	v_sub_nc_u32_e32 v179, 29, v179
	v_dual_cndmask_b32 v179, v181, v179 :: v_dual_lshlrev_b32 v180, v180, v160
	v_lshlrev_b32_e32 v160, 24, v160
	s_delay_alu instid0(VALU_DEP_2) | instskip(NEXT) | instid1(VALU_DEP_3)
	v_and_b32_e32 v180, 7, v180
	v_lshl_add_u32 v179, v179, 23, 0x3b800000
	s_delay_alu instid0(VALU_DEP_3) | instskip(NEXT) | instid1(VALU_DEP_3)
	v_and_b32_e32 v160, 0x80000000, v160
	v_cndmask_b32_e32 v177, v177, v180, vcc_lo
	s_delay_alu instid0(VALU_DEP_1) | instskip(NEXT) | instid1(VALU_DEP_1)
	v_lshlrev_b32_e32 v177, 20, v177
	v_or3_b32 v177, v160, v179, v177
.LBB4_1649:                             ;   in Loop: Header=BB4_1561 Depth=4
	s_or_b32 exec_lo, exec_lo, s29
	s_delay_alu instid0(VALU_DEP_1) | instskip(NEXT) | instid1(VALU_DEP_1)
	v_add_f32_e32 v177, v178, v177
	v_and_b32_e32 v160, 0x7f800000, v177
	s_delay_alu instid0(VALU_DEP_1)
	v_cmp_ne_u32_e32 vcc_lo, 0x7f800000, v160
	v_mov_b32_e32 v160, 0x80
	s_and_saveexec_b32 s29, vcc_lo
	s_cbranch_execz .LBB4_1657
; %bb.1650:                             ;   in Loop: Header=BB4_1561 Depth=4
	v_mov_b32_e32 v160, 0
	s_mov_b32 s34, exec_lo
	v_cmpx_ne_u32_e32 0, v177
	s_cbranch_execz .LBB4_1656
; %bb.1651:                             ;   in Loop: Header=BB4_1561 Depth=4
	v_bfe_u32 v160, v177, 23, 8
	s_delay_alu instid0(VALU_DEP_1) | instskip(SKIP_1) | instid1(VALU_DEP_2)
	v_sub_nc_u32_e32 v179, 0x78, v160
	v_cmp_gt_u32_e32 vcc_lo, 0x79, v160
	v_dual_cndmask_b32 v179, 0, v179 :: v_dual_and_b32 v178, 0x7fffff, v177
	s_delay_alu instid0(VALU_DEP_1) | instskip(SKIP_2) | instid1(VALU_DEP_4)
	v_or_b32_e32 v180, 0x800000, v178
	v_cmp_eq_u32_e32 vcc_lo, 0, v160
	v_add_nc_u32_e32 v160, 0xffffff89, v160
	v_cndmask_b32_e64 v179, v179, 0x77, vcc_lo
	s_delay_alu instid0(VALU_DEP_2) | instskip(SKIP_1) | instid1(VALU_DEP_3)
	v_cndmask_b32_e64 v160, v160, 0xffffff8a, vcc_lo
	v_cndmask_b32_e32 v178, v180, v178, vcc_lo
	v_lshl_add_u32 v180, 0x100000, v179, -1
	v_lshlrev_b32_e64 v183, v179, 0x80000
	s_delay_alu instid0(VALU_DEP_3) | instskip(SKIP_1) | instid1(VALU_DEP_4)
	v_lshrrev_b32_e32 v181, v179, v178
	v_add_nc_u32_e32 v179, v179, v160
	v_and_b32_e32 v178, v180, v178
	s_delay_alu instid0(VALU_DEP_3) | instskip(NEXT) | instid1(VALU_DEP_2)
	v_bfe_u32 v182, v181, 20, 1
	v_cmp_eq_u32_e64 s13, v178, v183
	s_delay_alu instid0(VALU_DEP_2) | instskip(NEXT) | instid1(VALU_DEP_1)
	v_add_nc_u32_e32 v180, -1, v182
	v_cndmask_b32_e64 v178, 0, v180, s13
	v_lshrrev_b32_e32 v180, 23, v181
	s_mov_b32 s13, exec_lo
	s_delay_alu instid0(VALU_DEP_2) | instskip(NEXT) | instid1(VALU_DEP_2)
	v_add_nc_u32_e32 v178, v178, v181
	v_xor_b32_e32 v180, 1, v180
	s_delay_alu instid0(VALU_DEP_2) | instskip(NEXT) | instid1(VALU_DEP_1)
	v_and_b32_e32 v160, 0xfffff, v178
	v_add_nc_u32_e32 v178, v160, v181
                                        ; implicit-def: $vgpr160
	s_delay_alu instid0(VALU_DEP_3)
	v_cmpx_ne_u32_e64 v179, v180
	s_xor_b32 s13, exec_lo, s13
; %bb.1652:                             ;   in Loop: Header=BB4_1561 Depth=4
	s_delay_alu instid0(VALU_DEP_2) | instskip(SKIP_2) | instid1(VALU_DEP_2)
	v_cmp_lt_u32_e32 vcc_lo, 0xffffff, v178
	v_sub_nc_u32_e32 v160, v179, v180
	v_cndmask_b32_e64 v179, 0, 1, vcc_lo
	v_add_co_ci_u32_e32 v160, vcc_lo, 0, v160, vcc_lo
	s_delay_alu instid0(VALU_DEP_2)
	v_lshrrev_b32_e32 v178, v179, v178
; %bb.1653:                             ;   in Loop: Header=BB4_1561 Depth=4
	s_and_not1_saveexec_b32 s13, s13
; %bb.1654:                             ;   in Loop: Header=BB4_1561 Depth=4
	s_delay_alu instid0(VALU_DEP_1)
	v_bfe_u32 v160, v178, 23, 1
; %bb.1655:                             ;   in Loop: Header=BB4_1561 Depth=4
	s_or_b32 exec_lo, exec_lo, s13
	v_lshrrev_b32_e32 v178, 20, v178
	s_delay_alu instid0(VALU_DEP_2) | instskip(SKIP_2) | instid1(VALU_DEP_2)
	v_cmp_gt_i32_e32 vcc_lo, 16, v160
	v_lshrrev_b32_e32 v177, 24, v177
	v_min_i32_e32 v179, 15, v160
	v_dual_cndmask_b32 v178, 7, v178 :: v_dual_and_b32 v177, 0x80, v177
	s_delay_alu instid0(VALU_DEP_1) | instskip(SKIP_1) | instid1(VALU_DEP_2)
	v_or_b32_e32 v160, v160, v178
	v_and_b32_e32 v180, 7, v178
	v_cmp_ne_u32_e32 vcc_lo, 0, v160
	v_lshlrev_b32_e32 v179, 3, v179
	s_delay_alu instid0(VALU_DEP_1) | instskip(NEXT) | instid1(VALU_DEP_1)
	v_or3_b32 v177, v179, v177, v180
	v_cndmask_b32_e32 v160, 0, v177, vcc_lo
.LBB4_1656:                             ;   in Loop: Header=BB4_1561 Depth=4
	s_or_b32 exec_lo, exec_lo, s34
.LBB4_1657:                             ;   in Loop: Header=BB4_1561 Depth=4
	s_delay_alu instid0(SALU_CYCLE_1) | instskip(SKIP_3) | instid1(VALU_DEP_1)
	s_or_b32 exec_lo, exec_lo, s29
	v_and_b32_e32 v178, 0xff, v176
	s_mov_b32 s13, 0
	s_mov_b32 s34, exec_lo
                                        ; implicit-def: $sgpr29
	v_cmpx_lt_i16_e64 0x7f, v178
	s_xor_b32 s34, exec_lo, s34
	s_cbranch_execnz .LBB4_1863
; %bb.1658:                             ;   in Loop: Header=BB4_1561 Depth=4
	s_or_saveexec_b32 s34, s34
	v_mov_b32_e32 v177, s29
	s_xor_b32 exec_lo, exec_lo, s34
	s_cbranch_execnz .LBB4_1866
.LBB4_1659:                             ;   in Loop: Header=BB4_1561 Depth=4
	s_or_b32 exec_lo, exec_lo, s34
	s_and_saveexec_b32 s29, s13
	s_cbranch_execz .LBB4_1661
.LBB4_1660:                             ;   in Loop: Header=BB4_1561 Depth=4
	v_lshrrev_b16 v180, 3, v176
	s_delay_alu instid0(VALU_DEP_1) | instskip(NEXT) | instid1(VALU_DEP_1)
	v_and_b32_e32 v180, 15, v180
	v_cmp_eq_u32_e32 vcc_lo, 0, v180
	v_and_b32_e32 v177, 7, v176
	s_delay_alu instid0(VALU_DEP_1) | instskip(NEXT) | instid1(VALU_DEP_1)
	v_clz_i32_u32_e32 v178, v177
	v_min_u32_e32 v178, 32, v178
	s_delay_alu instid0(VALU_DEP_1) | instskip(SKIP_1) | instid1(VALU_DEP_1)
	v_subrev_nc_u32_e32 v179, 28, v178
	v_sub_nc_u32_e32 v178, 29, v178
	v_dual_cndmask_b32 v178, v180, v178 :: v_dual_lshlrev_b32 v179, v179, v176
	v_lshlrev_b32_e32 v176, 24, v176
	s_delay_alu instid0(VALU_DEP_2) | instskip(NEXT) | instid1(VALU_DEP_3)
	v_and_b32_e32 v179, 7, v179
	v_lshl_add_u32 v178, v178, 23, 0x3b800000
	s_delay_alu instid0(VALU_DEP_2) | instskip(NEXT) | instid1(VALU_DEP_1)
	v_dual_cndmask_b32 v177, v177, v179 :: v_dual_and_b32 v176, 0x80000000, v176
	v_lshlrev_b32_e32 v177, 20, v177
	s_delay_alu instid0(VALU_DEP_1)
	v_or3_b32 v177, v176, v178, v177
.LBB4_1661:                             ;   in Loop: Header=BB4_1561 Depth=4
	s_or_b32 exec_lo, exec_lo, s29
	s_waitcnt vmcnt(9) lgkmcnt(9)
	v_and_b32_e32 v178, 0xff, v163
	s_mov_b32 s13, 0
	s_mov_b32 s34, exec_lo
                                        ; implicit-def: $sgpr29
	s_delay_alu instid0(VALU_DEP_1)
	v_cmpx_lt_i16_e64 0x7f, v178
	s_xor_b32 s34, exec_lo, s34
	s_cbranch_execnz .LBB4_1867
; %bb.1662:                             ;   in Loop: Header=BB4_1561 Depth=4
	s_or_saveexec_b32 s34, s34
	v_mov_b32_e32 v176, s29
	s_xor_b32 exec_lo, exec_lo, s34
	s_cbranch_execnz .LBB4_1870
.LBB4_1663:                             ;   in Loop: Header=BB4_1561 Depth=4
	s_or_b32 exec_lo, exec_lo, s34
	s_and_saveexec_b32 s29, s13
	s_cbranch_execz .LBB4_1665
.LBB4_1664:                             ;   in Loop: Header=BB4_1561 Depth=4
	v_and_b32_e32 v176, 7, v163
	v_lshrrev_b16 v180, 3, v163
	s_delay_alu instid0(VALU_DEP_2) | instskip(NEXT) | instid1(VALU_DEP_2)
	v_clz_i32_u32_e32 v178, v176
	v_and_b32_e32 v180, 15, v180
	s_delay_alu instid0(VALU_DEP_2) | instskip(NEXT) | instid1(VALU_DEP_2)
	v_min_u32_e32 v178, 32, v178
	v_cmp_eq_u32_e32 vcc_lo, 0, v180
	s_delay_alu instid0(VALU_DEP_2) | instskip(SKIP_1) | instid1(VALU_DEP_1)
	v_subrev_nc_u32_e32 v179, 28, v178
	v_sub_nc_u32_e32 v178, 29, v178
	v_dual_cndmask_b32 v178, v180, v178 :: v_dual_lshlrev_b32 v179, v179, v163
	v_lshlrev_b32_e32 v163, 24, v163
	s_delay_alu instid0(VALU_DEP_2) | instskip(NEXT) | instid1(VALU_DEP_3)
	v_and_b32_e32 v179, 7, v179
	v_lshl_add_u32 v178, v178, 23, 0x3b800000
	s_delay_alu instid0(VALU_DEP_3) | instskip(NEXT) | instid1(VALU_DEP_3)
	v_and_b32_e32 v163, 0x80000000, v163
	v_cndmask_b32_e32 v176, v176, v179, vcc_lo
	s_delay_alu instid0(VALU_DEP_1) | instskip(NEXT) | instid1(VALU_DEP_1)
	v_lshlrev_b32_e32 v176, 20, v176
	v_or3_b32 v176, v163, v178, v176
.LBB4_1665:                             ;   in Loop: Header=BB4_1561 Depth=4
	s_or_b32 exec_lo, exec_lo, s29
	s_delay_alu instid0(VALU_DEP_1) | instskip(NEXT) | instid1(VALU_DEP_1)
	v_add_f32_e32 v176, v177, v176
	v_and_b32_e32 v163, 0x7f800000, v176
	s_delay_alu instid0(VALU_DEP_1)
	v_cmp_ne_u32_e32 vcc_lo, 0x7f800000, v163
	v_mov_b32_e32 v163, 0x80
	s_and_saveexec_b32 s29, vcc_lo
	s_cbranch_execz .LBB4_1673
; %bb.1666:                             ;   in Loop: Header=BB4_1561 Depth=4
	v_mov_b32_e32 v163, 0
	s_mov_b32 s34, exec_lo
	v_cmpx_ne_u32_e32 0, v176
	s_cbranch_execz .LBB4_1672
; %bb.1667:                             ;   in Loop: Header=BB4_1561 Depth=4
	v_bfe_u32 v163, v176, 23, 8
	s_delay_alu instid0(VALU_DEP_1) | instskip(SKIP_1) | instid1(VALU_DEP_2)
	v_sub_nc_u32_e32 v178, 0x78, v163
	v_cmp_gt_u32_e32 vcc_lo, 0x79, v163
	v_dual_cndmask_b32 v178, 0, v178 :: v_dual_and_b32 v177, 0x7fffff, v176
	s_delay_alu instid0(VALU_DEP_1) | instskip(SKIP_2) | instid1(VALU_DEP_4)
	v_or_b32_e32 v179, 0x800000, v177
	v_cmp_eq_u32_e32 vcc_lo, 0, v163
	v_add_nc_u32_e32 v163, 0xffffff89, v163
	v_cndmask_b32_e64 v178, v178, 0x77, vcc_lo
	s_delay_alu instid0(VALU_DEP_2) | instskip(SKIP_1) | instid1(VALU_DEP_3)
	v_cndmask_b32_e64 v163, v163, 0xffffff8a, vcc_lo
	v_cndmask_b32_e32 v177, v179, v177, vcc_lo
	v_lshl_add_u32 v179, 0x100000, v178, -1
	v_lshlrev_b32_e64 v182, v178, 0x80000
	s_delay_alu instid0(VALU_DEP_3) | instskip(SKIP_1) | instid1(VALU_DEP_4)
	v_lshrrev_b32_e32 v180, v178, v177
	v_add_nc_u32_e32 v178, v178, v163
	v_and_b32_e32 v177, v179, v177
	s_delay_alu instid0(VALU_DEP_3) | instskip(NEXT) | instid1(VALU_DEP_2)
	v_bfe_u32 v181, v180, 20, 1
	v_cmp_eq_u32_e64 s13, v177, v182
	s_delay_alu instid0(VALU_DEP_2) | instskip(NEXT) | instid1(VALU_DEP_1)
	v_add_nc_u32_e32 v179, -1, v181
	v_cndmask_b32_e64 v177, 0, v179, s13
	v_lshrrev_b32_e32 v179, 23, v180
	s_mov_b32 s13, exec_lo
	s_delay_alu instid0(VALU_DEP_2) | instskip(NEXT) | instid1(VALU_DEP_2)
	v_add_nc_u32_e32 v177, v177, v180
	v_xor_b32_e32 v179, 1, v179
	s_delay_alu instid0(VALU_DEP_2) | instskip(NEXT) | instid1(VALU_DEP_1)
	v_and_b32_e32 v163, 0xfffff, v177
	v_add_nc_u32_e32 v177, v163, v180
                                        ; implicit-def: $vgpr163
	s_delay_alu instid0(VALU_DEP_3)
	v_cmpx_ne_u32_e64 v178, v179
	s_xor_b32 s13, exec_lo, s13
; %bb.1668:                             ;   in Loop: Header=BB4_1561 Depth=4
	s_delay_alu instid0(VALU_DEP_2) | instskip(SKIP_2) | instid1(VALU_DEP_2)
	v_cmp_lt_u32_e32 vcc_lo, 0xffffff, v177
	v_sub_nc_u32_e32 v163, v178, v179
	v_cndmask_b32_e64 v178, 0, 1, vcc_lo
	v_add_co_ci_u32_e32 v163, vcc_lo, 0, v163, vcc_lo
	s_delay_alu instid0(VALU_DEP_2)
	v_lshrrev_b32_e32 v177, v178, v177
; %bb.1669:                             ;   in Loop: Header=BB4_1561 Depth=4
	s_and_not1_saveexec_b32 s13, s13
; %bb.1670:                             ;   in Loop: Header=BB4_1561 Depth=4
	s_delay_alu instid0(VALU_DEP_1)
	v_bfe_u32 v163, v177, 23, 1
; %bb.1671:                             ;   in Loop: Header=BB4_1561 Depth=4
	s_or_b32 exec_lo, exec_lo, s13
	v_lshrrev_b32_e32 v177, 20, v177
	s_delay_alu instid0(VALU_DEP_2) | instskip(SKIP_2) | instid1(VALU_DEP_2)
	v_cmp_gt_i32_e32 vcc_lo, 16, v163
	v_lshrrev_b32_e32 v176, 24, v176
	v_min_i32_e32 v178, 15, v163
	v_dual_cndmask_b32 v177, 7, v177 :: v_dual_and_b32 v176, 0x80, v176
	s_delay_alu instid0(VALU_DEP_1) | instskip(SKIP_1) | instid1(VALU_DEP_2)
	v_or_b32_e32 v163, v163, v177
	v_and_b32_e32 v179, 7, v177
	v_cmp_ne_u32_e32 vcc_lo, 0, v163
	v_lshlrev_b32_e32 v178, 3, v178
	s_delay_alu instid0(VALU_DEP_1) | instskip(NEXT) | instid1(VALU_DEP_1)
	v_or3_b32 v176, v178, v176, v179
	v_cndmask_b32_e32 v163, 0, v176, vcc_lo
.LBB4_1672:                             ;   in Loop: Header=BB4_1561 Depth=4
	s_or_b32 exec_lo, exec_lo, s34
.LBB4_1673:                             ;   in Loop: Header=BB4_1561 Depth=4
	s_delay_alu instid0(SALU_CYCLE_1) | instskip(SKIP_3) | instid1(VALU_DEP_1)
	s_or_b32 exec_lo, exec_lo, s29
	v_and_b32_e32 v177, 0xff, v167
	s_mov_b32 s13, 0
	s_mov_b32 s34, exec_lo
                                        ; implicit-def: $sgpr29
	v_cmpx_lt_i16_e64 0x7f, v177
	s_xor_b32 s34, exec_lo, s34
	s_cbranch_execnz .LBB4_1871
; %bb.1674:                             ;   in Loop: Header=BB4_1561 Depth=4
	s_or_saveexec_b32 s34, s34
	v_mov_b32_e32 v176, s29
	s_xor_b32 exec_lo, exec_lo, s34
	s_cbranch_execnz .LBB4_1874
.LBB4_1675:                             ;   in Loop: Header=BB4_1561 Depth=4
	s_or_b32 exec_lo, exec_lo, s34
	s_and_saveexec_b32 s29, s13
	s_cbranch_execz .LBB4_1677
.LBB4_1676:                             ;   in Loop: Header=BB4_1561 Depth=4
	v_lshrrev_b16 v179, 3, v167
	s_delay_alu instid0(VALU_DEP_1) | instskip(NEXT) | instid1(VALU_DEP_1)
	v_and_b32_e32 v179, 15, v179
	v_cmp_eq_u32_e32 vcc_lo, 0, v179
	v_and_b32_e32 v176, 7, v167
	s_delay_alu instid0(VALU_DEP_1) | instskip(NEXT) | instid1(VALU_DEP_1)
	v_clz_i32_u32_e32 v177, v176
	v_min_u32_e32 v177, 32, v177
	s_delay_alu instid0(VALU_DEP_1) | instskip(SKIP_1) | instid1(VALU_DEP_1)
	v_subrev_nc_u32_e32 v178, 28, v177
	v_sub_nc_u32_e32 v177, 29, v177
	v_dual_cndmask_b32 v177, v179, v177 :: v_dual_lshlrev_b32 v178, v178, v167
	v_lshlrev_b32_e32 v167, 24, v167
	s_delay_alu instid0(VALU_DEP_2) | instskip(NEXT) | instid1(VALU_DEP_3)
	v_and_b32_e32 v178, 7, v178
	v_lshl_add_u32 v177, v177, 23, 0x3b800000
	s_delay_alu instid0(VALU_DEP_2) | instskip(NEXT) | instid1(VALU_DEP_1)
	v_dual_cndmask_b32 v176, v176, v178 :: v_dual_and_b32 v167, 0x80000000, v167
	v_lshlrev_b32_e32 v176, 20, v176
	s_delay_alu instid0(VALU_DEP_1)
	v_or3_b32 v176, v167, v177, v176
.LBB4_1677:                             ;   in Loop: Header=BB4_1561 Depth=4
	s_or_b32 exec_lo, exec_lo, s29
	s_waitcnt vmcnt(8) lgkmcnt(8)
	v_and_b32_e32 v177, 0xff, v166
	s_mov_b32 s13, 0
	s_mov_b32 s34, exec_lo
                                        ; implicit-def: $sgpr29
	s_delay_alu instid0(VALU_DEP_1)
	v_cmpx_lt_i16_e64 0x7f, v177
	s_xor_b32 s34, exec_lo, s34
	s_cbranch_execnz .LBB4_1875
; %bb.1678:                             ;   in Loop: Header=BB4_1561 Depth=4
	s_or_saveexec_b32 s34, s34
	v_mov_b32_e32 v167, s29
	s_xor_b32 exec_lo, exec_lo, s34
	s_cbranch_execnz .LBB4_1878
.LBB4_1679:                             ;   in Loop: Header=BB4_1561 Depth=4
	s_or_b32 exec_lo, exec_lo, s34
	s_and_saveexec_b32 s29, s13
	s_cbranch_execz .LBB4_1681
.LBB4_1680:                             ;   in Loop: Header=BB4_1561 Depth=4
	v_and_b32_e32 v167, 7, v166
	v_lshrrev_b16 v179, 3, v166
	s_delay_alu instid0(VALU_DEP_2) | instskip(NEXT) | instid1(VALU_DEP_2)
	v_clz_i32_u32_e32 v177, v167
	v_and_b32_e32 v179, 15, v179
	s_delay_alu instid0(VALU_DEP_2) | instskip(NEXT) | instid1(VALU_DEP_2)
	v_min_u32_e32 v177, 32, v177
	v_cmp_eq_u32_e32 vcc_lo, 0, v179
	s_delay_alu instid0(VALU_DEP_2) | instskip(SKIP_1) | instid1(VALU_DEP_1)
	v_subrev_nc_u32_e32 v178, 28, v177
	v_sub_nc_u32_e32 v177, 29, v177
	v_dual_cndmask_b32 v177, v179, v177 :: v_dual_lshlrev_b32 v178, v178, v166
	v_lshlrev_b32_e32 v166, 24, v166
	s_delay_alu instid0(VALU_DEP_2) | instskip(NEXT) | instid1(VALU_DEP_3)
	v_and_b32_e32 v178, 7, v178
	v_lshl_add_u32 v177, v177, 23, 0x3b800000
	s_delay_alu instid0(VALU_DEP_3) | instskip(NEXT) | instid1(VALU_DEP_3)
	v_and_b32_e32 v166, 0x80000000, v166
	v_cndmask_b32_e32 v167, v167, v178, vcc_lo
	s_delay_alu instid0(VALU_DEP_1) | instskip(NEXT) | instid1(VALU_DEP_1)
	v_lshlrev_b32_e32 v167, 20, v167
	v_or3_b32 v167, v166, v177, v167
.LBB4_1681:                             ;   in Loop: Header=BB4_1561 Depth=4
	s_or_b32 exec_lo, exec_lo, s29
	s_delay_alu instid0(VALU_DEP_1) | instskip(NEXT) | instid1(VALU_DEP_1)
	v_add_f32_e32 v167, v176, v167
	v_and_b32_e32 v166, 0x7f800000, v167
	s_delay_alu instid0(VALU_DEP_1)
	v_cmp_ne_u32_e32 vcc_lo, 0x7f800000, v166
	v_mov_b32_e32 v166, 0x80
	s_and_saveexec_b32 s29, vcc_lo
	s_cbranch_execz .LBB4_1689
; %bb.1682:                             ;   in Loop: Header=BB4_1561 Depth=4
	v_mov_b32_e32 v166, 0
	s_mov_b32 s34, exec_lo
	v_cmpx_ne_u32_e32 0, v167
	s_cbranch_execz .LBB4_1688
; %bb.1683:                             ;   in Loop: Header=BB4_1561 Depth=4
	v_bfe_u32 v166, v167, 23, 8
	s_delay_alu instid0(VALU_DEP_1) | instskip(SKIP_1) | instid1(VALU_DEP_2)
	v_sub_nc_u32_e32 v177, 0x78, v166
	v_cmp_gt_u32_e32 vcc_lo, 0x79, v166
	v_dual_cndmask_b32 v177, 0, v177 :: v_dual_and_b32 v176, 0x7fffff, v167
	s_delay_alu instid0(VALU_DEP_1) | instskip(SKIP_2) | instid1(VALU_DEP_4)
	v_or_b32_e32 v178, 0x800000, v176
	v_cmp_eq_u32_e32 vcc_lo, 0, v166
	v_add_nc_u32_e32 v166, 0xffffff89, v166
	v_cndmask_b32_e64 v177, v177, 0x77, vcc_lo
	s_delay_alu instid0(VALU_DEP_2) | instskip(SKIP_1) | instid1(VALU_DEP_3)
	v_cndmask_b32_e64 v166, v166, 0xffffff8a, vcc_lo
	v_cndmask_b32_e32 v176, v178, v176, vcc_lo
	v_lshl_add_u32 v178, 0x100000, v177, -1
	v_lshlrev_b32_e64 v181, v177, 0x80000
	s_delay_alu instid0(VALU_DEP_3) | instskip(SKIP_1) | instid1(VALU_DEP_4)
	v_lshrrev_b32_e32 v179, v177, v176
	v_add_nc_u32_e32 v177, v177, v166
	v_and_b32_e32 v176, v178, v176
	s_delay_alu instid0(VALU_DEP_3) | instskip(NEXT) | instid1(VALU_DEP_2)
	v_bfe_u32 v180, v179, 20, 1
	v_cmp_eq_u32_e64 s13, v176, v181
	s_delay_alu instid0(VALU_DEP_2) | instskip(NEXT) | instid1(VALU_DEP_1)
	v_add_nc_u32_e32 v178, -1, v180
	v_cndmask_b32_e64 v176, 0, v178, s13
	v_lshrrev_b32_e32 v178, 23, v179
	s_mov_b32 s13, exec_lo
	s_delay_alu instid0(VALU_DEP_2) | instskip(NEXT) | instid1(VALU_DEP_2)
	v_add_nc_u32_e32 v176, v176, v179
	v_xor_b32_e32 v178, 1, v178
	s_delay_alu instid0(VALU_DEP_2) | instskip(NEXT) | instid1(VALU_DEP_1)
	v_and_b32_e32 v166, 0xfffff, v176
	v_add_nc_u32_e32 v176, v166, v179
                                        ; implicit-def: $vgpr166
	s_delay_alu instid0(VALU_DEP_3)
	v_cmpx_ne_u32_e64 v177, v178
	s_xor_b32 s13, exec_lo, s13
; %bb.1684:                             ;   in Loop: Header=BB4_1561 Depth=4
	s_delay_alu instid0(VALU_DEP_2) | instskip(SKIP_2) | instid1(VALU_DEP_2)
	v_cmp_lt_u32_e32 vcc_lo, 0xffffff, v176
	v_sub_nc_u32_e32 v166, v177, v178
	v_cndmask_b32_e64 v177, 0, 1, vcc_lo
	v_add_co_ci_u32_e32 v166, vcc_lo, 0, v166, vcc_lo
	s_delay_alu instid0(VALU_DEP_2)
	v_lshrrev_b32_e32 v176, v177, v176
; %bb.1685:                             ;   in Loop: Header=BB4_1561 Depth=4
	s_and_not1_saveexec_b32 s13, s13
; %bb.1686:                             ;   in Loop: Header=BB4_1561 Depth=4
	s_delay_alu instid0(VALU_DEP_1)
	v_bfe_u32 v166, v176, 23, 1
; %bb.1687:                             ;   in Loop: Header=BB4_1561 Depth=4
	s_or_b32 exec_lo, exec_lo, s13
	v_lshrrev_b32_e32 v176, 20, v176
	s_delay_alu instid0(VALU_DEP_2) | instskip(SKIP_2) | instid1(VALU_DEP_2)
	v_cmp_gt_i32_e32 vcc_lo, 16, v166
	v_lshrrev_b32_e32 v167, 24, v167
	v_min_i32_e32 v177, 15, v166
	v_dual_cndmask_b32 v176, 7, v176 :: v_dual_and_b32 v167, 0x80, v167
	s_delay_alu instid0(VALU_DEP_1) | instskip(SKIP_1) | instid1(VALU_DEP_2)
	v_or_b32_e32 v166, v166, v176
	v_and_b32_e32 v178, 7, v176
	v_cmp_ne_u32_e32 vcc_lo, 0, v166
	v_lshlrev_b32_e32 v177, 3, v177
	s_delay_alu instid0(VALU_DEP_1) | instskip(NEXT) | instid1(VALU_DEP_1)
	v_or3_b32 v167, v177, v167, v178
	v_cndmask_b32_e32 v166, 0, v167, vcc_lo
.LBB4_1688:                             ;   in Loop: Header=BB4_1561 Depth=4
	s_or_b32 exec_lo, exec_lo, s34
.LBB4_1689:                             ;   in Loop: Header=BB4_1561 Depth=4
	s_delay_alu instid0(SALU_CYCLE_1) | instskip(SKIP_3) | instid1(VALU_DEP_1)
	s_or_b32 exec_lo, exec_lo, s29
	v_and_b32_e32 v176, 0xff, v165
	s_mov_b32 s13, 0
	s_mov_b32 s34, exec_lo
                                        ; implicit-def: $sgpr29
	v_cmpx_lt_i16_e64 0x7f, v176
	s_xor_b32 s34, exec_lo, s34
	s_cbranch_execnz .LBB4_1879
; %bb.1690:                             ;   in Loop: Header=BB4_1561 Depth=4
	s_or_saveexec_b32 s34, s34
	v_mov_b32_e32 v167, s29
	s_xor_b32 exec_lo, exec_lo, s34
	s_cbranch_execnz .LBB4_1882
.LBB4_1691:                             ;   in Loop: Header=BB4_1561 Depth=4
	s_or_b32 exec_lo, exec_lo, s34
	s_and_saveexec_b32 s29, s13
	s_cbranch_execz .LBB4_1693
.LBB4_1692:                             ;   in Loop: Header=BB4_1561 Depth=4
	v_lshrrev_b16 v178, 3, v165
	s_delay_alu instid0(VALU_DEP_1) | instskip(NEXT) | instid1(VALU_DEP_1)
	v_and_b32_e32 v178, 15, v178
	v_cmp_eq_u32_e32 vcc_lo, 0, v178
	v_and_b32_e32 v167, 7, v165
	s_delay_alu instid0(VALU_DEP_1) | instskip(NEXT) | instid1(VALU_DEP_1)
	v_clz_i32_u32_e32 v176, v167
	v_min_u32_e32 v176, 32, v176
	s_delay_alu instid0(VALU_DEP_1) | instskip(SKIP_1) | instid1(VALU_DEP_1)
	v_subrev_nc_u32_e32 v177, 28, v176
	v_sub_nc_u32_e32 v176, 29, v176
	v_dual_cndmask_b32 v176, v178, v176 :: v_dual_lshlrev_b32 v177, v177, v165
	v_lshlrev_b32_e32 v165, 24, v165
	s_delay_alu instid0(VALU_DEP_2) | instskip(NEXT) | instid1(VALU_DEP_3)
	v_and_b32_e32 v177, 7, v177
	v_lshl_add_u32 v176, v176, 23, 0x3b800000
	s_delay_alu instid0(VALU_DEP_3) | instskip(NEXT) | instid1(VALU_DEP_3)
	v_and_b32_e32 v165, 0x80000000, v165
	v_cndmask_b32_e32 v167, v167, v177, vcc_lo
	s_delay_alu instid0(VALU_DEP_1) | instskip(NEXT) | instid1(VALU_DEP_1)
	v_lshlrev_b32_e32 v167, 20, v167
	v_or3_b32 v167, v165, v176, v167
.LBB4_1693:                             ;   in Loop: Header=BB4_1561 Depth=4
	s_or_b32 exec_lo, exec_lo, s29
	s_waitcnt vmcnt(7) lgkmcnt(7)
	v_and_b32_e32 v176, 0xff, v164
	s_mov_b32 s13, 0
	s_mov_b32 s34, exec_lo
                                        ; implicit-def: $sgpr29
	s_delay_alu instid0(VALU_DEP_1)
	v_cmpx_lt_i16_e64 0x7f, v176
	s_xor_b32 s34, exec_lo, s34
	s_cbranch_execnz .LBB4_1883
; %bb.1694:                             ;   in Loop: Header=BB4_1561 Depth=4
	s_or_saveexec_b32 s34, s34
	v_mov_b32_e32 v165, s29
	s_xor_b32 exec_lo, exec_lo, s34
	s_cbranch_execnz .LBB4_1886
.LBB4_1695:                             ;   in Loop: Header=BB4_1561 Depth=4
	s_or_b32 exec_lo, exec_lo, s34
	s_and_saveexec_b32 s29, s13
	s_cbranch_execz .LBB4_1697
.LBB4_1696:                             ;   in Loop: Header=BB4_1561 Depth=4
	v_and_b32_e32 v165, 7, v164
	v_lshrrev_b16 v178, 3, v164
	s_delay_alu instid0(VALU_DEP_2) | instskip(NEXT) | instid1(VALU_DEP_1)
	v_clz_i32_u32_e32 v176, v165
	v_min_u32_e32 v176, 32, v176
	s_delay_alu instid0(VALU_DEP_1) | instskip(SKIP_1) | instid1(VALU_DEP_2)
	v_subrev_nc_u32_e32 v177, 28, v176
	v_sub_nc_u32_e32 v176, 29, v176
	v_lshlrev_b32_e32 v177, v177, v164
	v_lshlrev_b32_e32 v164, 24, v164
	s_delay_alu instid0(VALU_DEP_2) | instskip(SKIP_1) | instid1(VALU_DEP_3)
	v_and_b32_e32 v177, 7, v177
	v_and_b32_e32 v178, 15, v178
	v_and_b32_e32 v164, 0x80000000, v164
	s_delay_alu instid0(VALU_DEP_2) | instskip(NEXT) | instid1(VALU_DEP_4)
	v_cmp_eq_u32_e32 vcc_lo, 0, v178
	v_dual_cndmask_b32 v165, v165, v177 :: v_dual_cndmask_b32 v176, v178, v176
	s_delay_alu instid0(VALU_DEP_1) | instskip(NEXT) | instid1(VALU_DEP_2)
	v_lshlrev_b32_e32 v165, 20, v165
	v_lshl_add_u32 v176, v176, 23, 0x3b800000
	s_delay_alu instid0(VALU_DEP_1)
	v_or3_b32 v165, v164, v176, v165
.LBB4_1697:                             ;   in Loop: Header=BB4_1561 Depth=4
	s_or_b32 exec_lo, exec_lo, s29
	s_delay_alu instid0(VALU_DEP_1) | instskip(NEXT) | instid1(VALU_DEP_1)
	v_add_f32_e32 v165, v167, v165
	v_and_b32_e32 v164, 0x7f800000, v165
	s_delay_alu instid0(VALU_DEP_1)
	v_cmp_ne_u32_e32 vcc_lo, 0x7f800000, v164
	v_mov_b32_e32 v164, 0x80
	s_and_saveexec_b32 s29, vcc_lo
	s_cbranch_execz .LBB4_1705
; %bb.1698:                             ;   in Loop: Header=BB4_1561 Depth=4
	v_mov_b32_e32 v164, 0
	s_mov_b32 s34, exec_lo
	v_cmpx_ne_u32_e32 0, v165
	s_cbranch_execz .LBB4_1704
; %bb.1699:                             ;   in Loop: Header=BB4_1561 Depth=4
	v_bfe_u32 v164, v165, 23, 8
	s_delay_alu instid0(VALU_DEP_1) | instskip(SKIP_1) | instid1(VALU_DEP_2)
	v_sub_nc_u32_e32 v176, 0x78, v164
	v_cmp_gt_u32_e32 vcc_lo, 0x79, v164
	v_dual_cndmask_b32 v176, 0, v176 :: v_dual_and_b32 v167, 0x7fffff, v165
	s_delay_alu instid0(VALU_DEP_1) | instskip(SKIP_2) | instid1(VALU_DEP_4)
	v_or_b32_e32 v177, 0x800000, v167
	v_cmp_eq_u32_e32 vcc_lo, 0, v164
	v_add_nc_u32_e32 v164, 0xffffff89, v164
	v_cndmask_b32_e64 v176, v176, 0x77, vcc_lo
	s_delay_alu instid0(VALU_DEP_4) | instskip(NEXT) | instid1(VALU_DEP_3)
	v_cndmask_b32_e32 v167, v177, v167, vcc_lo
	v_cndmask_b32_e64 v164, v164, 0xffffff8a, vcc_lo
	s_delay_alu instid0(VALU_DEP_3) | instskip(NEXT) | instid1(VALU_DEP_3)
	v_lshl_add_u32 v177, 0x100000, v176, -1
	v_lshrrev_b32_e32 v178, v176, v167
	v_lshlrev_b32_e64 v180, v176, 0x80000
	s_delay_alu instid0(VALU_DEP_4) | instskip(NEXT) | instid1(VALU_DEP_4)
	v_add_nc_u32_e32 v176, v176, v164
	v_and_b32_e32 v167, v177, v167
	s_delay_alu instid0(VALU_DEP_4) | instskip(NEXT) | instid1(VALU_DEP_2)
	v_bfe_u32 v179, v178, 20, 1
	v_cmp_eq_u32_e64 s13, v167, v180
	s_delay_alu instid0(VALU_DEP_2) | instskip(NEXT) | instid1(VALU_DEP_1)
	v_add_nc_u32_e32 v177, -1, v179
	v_cndmask_b32_e64 v167, 0, v177, s13
	v_lshrrev_b32_e32 v177, 23, v178
	s_mov_b32 s13, exec_lo
	s_delay_alu instid0(VALU_DEP_2) | instskip(NEXT) | instid1(VALU_DEP_2)
	v_add_nc_u32_e32 v167, v167, v178
	v_xor_b32_e32 v177, 1, v177
	s_delay_alu instid0(VALU_DEP_2) | instskip(NEXT) | instid1(VALU_DEP_1)
	v_and_b32_e32 v164, 0xfffff, v167
	v_add_nc_u32_e32 v167, v164, v178
                                        ; implicit-def: $vgpr164
	s_delay_alu instid0(VALU_DEP_3)
	v_cmpx_ne_u32_e64 v176, v177
	s_xor_b32 s13, exec_lo, s13
; %bb.1700:                             ;   in Loop: Header=BB4_1561 Depth=4
	s_delay_alu instid0(VALU_DEP_2) | instskip(SKIP_2) | instid1(VALU_DEP_2)
	v_cmp_lt_u32_e32 vcc_lo, 0xffffff, v167
	v_sub_nc_u32_e32 v164, v176, v177
	v_cndmask_b32_e64 v176, 0, 1, vcc_lo
	v_add_co_ci_u32_e32 v164, vcc_lo, 0, v164, vcc_lo
	s_delay_alu instid0(VALU_DEP_2)
	v_lshrrev_b32_e32 v167, v176, v167
; %bb.1701:                             ;   in Loop: Header=BB4_1561 Depth=4
	s_and_not1_saveexec_b32 s13, s13
; %bb.1702:                             ;   in Loop: Header=BB4_1561 Depth=4
	s_delay_alu instid0(VALU_DEP_1)
	v_bfe_u32 v164, v167, 23, 1
; %bb.1703:                             ;   in Loop: Header=BB4_1561 Depth=4
	s_or_b32 exec_lo, exec_lo, s13
	v_lshrrev_b32_e32 v167, 20, v167
	s_delay_alu instid0(VALU_DEP_2) | instskip(SKIP_2) | instid1(VALU_DEP_2)
	v_cmp_gt_i32_e32 vcc_lo, 16, v164
	v_min_i32_e32 v176, 15, v164
	v_lshrrev_b32_e32 v165, 24, v165
	v_dual_cndmask_b32 v167, 7, v167 :: v_dual_lshlrev_b32 v176, 3, v176
	s_delay_alu instid0(VALU_DEP_2) | instskip(NEXT) | instid1(VALU_DEP_2)
	v_and_b32_e32 v165, 0x80, v165
	v_or_b32_e32 v164, v164, v167
	s_delay_alu instid0(VALU_DEP_1) | instskip(SKIP_1) | instid1(VALU_DEP_1)
	v_cmp_ne_u32_e32 vcc_lo, 0, v164
	v_and_b32_e32 v177, 7, v167
	v_or3_b32 v165, v176, v165, v177
	s_delay_alu instid0(VALU_DEP_1)
	v_cndmask_b32_e32 v164, 0, v165, vcc_lo
.LBB4_1704:                             ;   in Loop: Header=BB4_1561 Depth=4
	s_or_b32 exec_lo, exec_lo, s34
.LBB4_1705:                             ;   in Loop: Header=BB4_1561 Depth=4
	s_delay_alu instid0(SALU_CYCLE_1) | instskip(SKIP_3) | instid1(VALU_DEP_1)
	s_or_b32 exec_lo, exec_lo, s29
	v_and_b32_e32 v167, 0xff, v162
	s_mov_b32 s13, 0
	s_mov_b32 s34, exec_lo
                                        ; implicit-def: $sgpr29
	v_cmpx_lt_i16_e64 0x7f, v167
	s_xor_b32 s34, exec_lo, s34
	s_cbranch_execnz .LBB4_1887
; %bb.1706:                             ;   in Loop: Header=BB4_1561 Depth=4
	s_or_saveexec_b32 s34, s34
	v_mov_b32_e32 v165, s29
	s_xor_b32 exec_lo, exec_lo, s34
	s_cbranch_execnz .LBB4_1890
.LBB4_1707:                             ;   in Loop: Header=BB4_1561 Depth=4
	s_or_b32 exec_lo, exec_lo, s34
	s_and_saveexec_b32 s29, s13
	s_cbranch_execz .LBB4_1709
.LBB4_1708:                             ;   in Loop: Header=BB4_1561 Depth=4
	v_and_b32_e32 v165, 7, v162
	v_lshrrev_b16 v177, 3, v162
	s_delay_alu instid0(VALU_DEP_2) | instskip(NEXT) | instid1(VALU_DEP_2)
	v_clz_i32_u32_e32 v167, v165
	v_and_b32_e32 v177, 15, v177
	s_delay_alu instid0(VALU_DEP_2) | instskip(NEXT) | instid1(VALU_DEP_2)
	v_min_u32_e32 v167, 32, v167
	v_cmp_eq_u32_e32 vcc_lo, 0, v177
	s_delay_alu instid0(VALU_DEP_2) | instskip(SKIP_1) | instid1(VALU_DEP_1)
	v_subrev_nc_u32_e32 v176, 28, v167
	v_sub_nc_u32_e32 v167, 29, v167
	v_dual_cndmask_b32 v167, v177, v167 :: v_dual_lshlrev_b32 v176, v176, v162
	s_delay_alu instid0(VALU_DEP_1) | instskip(SKIP_1) | instid1(VALU_DEP_3)
	v_and_b32_e32 v176, 7, v176
	v_lshlrev_b32_e32 v162, 24, v162
	v_lshl_add_u32 v167, v167, 23, 0x3b800000
	s_delay_alu instid0(VALU_DEP_2) | instskip(NEXT) | instid1(VALU_DEP_1)
	v_dual_cndmask_b32 v165, v165, v176 :: v_dual_and_b32 v162, 0x80000000, v162
	v_lshlrev_b32_e32 v165, 20, v165
	s_delay_alu instid0(VALU_DEP_1)
	v_or3_b32 v165, v162, v167, v165
.LBB4_1709:                             ;   in Loop: Header=BB4_1561 Depth=4
	s_or_b32 exec_lo, exec_lo, s29
	s_waitcnt vmcnt(6) lgkmcnt(6)
	v_and_b32_e32 v167, 0xff, v161
	s_mov_b32 s13, 0
	s_mov_b32 s34, exec_lo
                                        ; implicit-def: $sgpr29
	s_delay_alu instid0(VALU_DEP_1)
	v_cmpx_lt_i16_e64 0x7f, v167
	s_xor_b32 s34, exec_lo, s34
	s_cbranch_execnz .LBB4_1891
; %bb.1710:                             ;   in Loop: Header=BB4_1561 Depth=4
	s_or_saveexec_b32 s34, s34
	v_mov_b32_e32 v162, s29
	s_xor_b32 exec_lo, exec_lo, s34
	s_cbranch_execnz .LBB4_1894
.LBB4_1711:                             ;   in Loop: Header=BB4_1561 Depth=4
	s_or_b32 exec_lo, exec_lo, s34
	s_and_saveexec_b32 s29, s13
	s_cbranch_execz .LBB4_1713
.LBB4_1712:                             ;   in Loop: Header=BB4_1561 Depth=4
	v_lshrrev_b16 v177, 3, v161
	s_delay_alu instid0(VALU_DEP_1) | instskip(NEXT) | instid1(VALU_DEP_1)
	v_and_b32_e32 v177, 15, v177
	v_cmp_eq_u32_e32 vcc_lo, 0, v177
	v_and_b32_e32 v162, 7, v161
	s_delay_alu instid0(VALU_DEP_1) | instskip(NEXT) | instid1(VALU_DEP_1)
	v_clz_i32_u32_e32 v167, v162
	v_min_u32_e32 v167, 32, v167
	s_delay_alu instid0(VALU_DEP_1) | instskip(SKIP_1) | instid1(VALU_DEP_1)
	v_subrev_nc_u32_e32 v176, 28, v167
	v_sub_nc_u32_e32 v167, 29, v167
	v_dual_cndmask_b32 v167, v177, v167 :: v_dual_lshlrev_b32 v176, v176, v161
	v_lshlrev_b32_e32 v161, 24, v161
	s_delay_alu instid0(VALU_DEP_2) | instskip(NEXT) | instid1(VALU_DEP_3)
	v_and_b32_e32 v176, 7, v176
	v_lshl_add_u32 v167, v167, 23, 0x3b800000
	s_delay_alu instid0(VALU_DEP_2) | instskip(NEXT) | instid1(VALU_DEP_1)
	v_dual_cndmask_b32 v162, v162, v176 :: v_dual_and_b32 v161, 0x80000000, v161
	v_lshlrev_b32_e32 v162, 20, v162
	s_delay_alu instid0(VALU_DEP_1)
	v_or3_b32 v162, v161, v167, v162
.LBB4_1713:                             ;   in Loop: Header=BB4_1561 Depth=4
	s_or_b32 exec_lo, exec_lo, s29
	s_delay_alu instid0(VALU_DEP_1) | instskip(NEXT) | instid1(VALU_DEP_1)
	v_add_f32_e32 v162, v165, v162
	v_and_b32_e32 v161, 0x7f800000, v162
	s_delay_alu instid0(VALU_DEP_1)
	v_cmp_ne_u32_e32 vcc_lo, 0x7f800000, v161
	v_mov_b32_e32 v161, 0x80
	s_and_saveexec_b32 s29, vcc_lo
	s_cbranch_execz .LBB4_1721
; %bb.1714:                             ;   in Loop: Header=BB4_1561 Depth=4
	v_mov_b32_e32 v161, 0
	s_mov_b32 s34, exec_lo
	v_cmpx_ne_u32_e32 0, v162
	s_cbranch_execz .LBB4_1720
; %bb.1715:                             ;   in Loop: Header=BB4_1561 Depth=4
	v_bfe_u32 v161, v162, 23, 8
	v_and_b32_e32 v165, 0x7fffff, v162
	s_delay_alu instid0(VALU_DEP_2) | instskip(SKIP_1) | instid1(VALU_DEP_3)
	v_sub_nc_u32_e32 v167, 0x78, v161
	v_cmp_gt_u32_e32 vcc_lo, 0x79, v161
	v_or_b32_e32 v176, 0x800000, v165
	s_delay_alu instid0(VALU_DEP_3) | instskip(SKIP_2) | instid1(VALU_DEP_3)
	v_cndmask_b32_e32 v167, 0, v167, vcc_lo
	v_cmp_eq_u32_e32 vcc_lo, 0, v161
	v_add_nc_u32_e32 v161, 0xffffff89, v161
	v_cndmask_b32_e64 v167, v167, 0x77, vcc_lo
	v_cndmask_b32_e32 v165, v176, v165, vcc_lo
	s_delay_alu instid0(VALU_DEP_3) | instskip(NEXT) | instid1(VALU_DEP_3)
	v_cndmask_b32_e64 v161, v161, 0xffffff8a, vcc_lo
	v_lshl_add_u32 v176, 0x100000, v167, -1
	s_delay_alu instid0(VALU_DEP_3) | instskip(SKIP_1) | instid1(VALU_DEP_4)
	v_lshrrev_b32_e32 v177, v167, v165
	v_lshlrev_b32_e64 v179, v167, 0x80000
	v_add_nc_u32_e32 v167, v167, v161
	s_delay_alu instid0(VALU_DEP_4) | instskip(NEXT) | instid1(VALU_DEP_4)
	v_and_b32_e32 v165, v176, v165
	v_bfe_u32 v178, v177, 20, 1
	s_delay_alu instid0(VALU_DEP_2) | instskip(NEXT) | instid1(VALU_DEP_2)
	v_cmp_eq_u32_e64 s13, v165, v179
	v_add_nc_u32_e32 v176, -1, v178
	s_delay_alu instid0(VALU_DEP_1) | instskip(SKIP_2) | instid1(VALU_DEP_2)
	v_cndmask_b32_e64 v165, 0, v176, s13
	v_lshrrev_b32_e32 v176, 23, v177
	s_mov_b32 s13, exec_lo
	v_add_nc_u32_e32 v165, v165, v177
	s_delay_alu instid0(VALU_DEP_2) | instskip(NEXT) | instid1(VALU_DEP_2)
	v_xor_b32_e32 v176, 1, v176
	v_and_b32_e32 v161, 0xfffff, v165
	s_delay_alu instid0(VALU_DEP_1) | instskip(NEXT) | instid1(VALU_DEP_3)
	v_add_nc_u32_e32 v165, v161, v177
                                        ; implicit-def: $vgpr161
	v_cmpx_ne_u32_e64 v167, v176
	s_xor_b32 s13, exec_lo, s13
; %bb.1716:                             ;   in Loop: Header=BB4_1561 Depth=4
	s_delay_alu instid0(VALU_DEP_2) | instskip(SKIP_2) | instid1(VALU_DEP_2)
	v_cmp_lt_u32_e32 vcc_lo, 0xffffff, v165
	v_sub_nc_u32_e32 v161, v167, v176
	v_cndmask_b32_e64 v167, 0, 1, vcc_lo
	v_add_co_ci_u32_e32 v161, vcc_lo, 0, v161, vcc_lo
	s_delay_alu instid0(VALU_DEP_2)
	v_lshrrev_b32_e32 v165, v167, v165
; %bb.1717:                             ;   in Loop: Header=BB4_1561 Depth=4
	s_and_not1_saveexec_b32 s13, s13
; %bb.1718:                             ;   in Loop: Header=BB4_1561 Depth=4
	s_delay_alu instid0(VALU_DEP_1)
	v_bfe_u32 v161, v165, 23, 1
; %bb.1719:                             ;   in Loop: Header=BB4_1561 Depth=4
	s_or_b32 exec_lo, exec_lo, s13
	v_lshrrev_b32_e32 v165, 20, v165
	s_delay_alu instid0(VALU_DEP_2) | instskip(SKIP_2) | instid1(VALU_DEP_2)
	v_cmp_gt_i32_e32 vcc_lo, 16, v161
	v_lshrrev_b32_e32 v162, 24, v162
	v_min_i32_e32 v167, 15, v161
	v_dual_cndmask_b32 v165, 7, v165 :: v_dual_and_b32 v162, 0x80, v162
	s_delay_alu instid0(VALU_DEP_2) | instskip(NEXT) | instid1(VALU_DEP_2)
	v_lshlrev_b32_e32 v167, 3, v167
	v_or_b32_e32 v161, v161, v165
	s_delay_alu instid0(VALU_DEP_1) | instskip(SKIP_1) | instid1(VALU_DEP_1)
	v_cmp_ne_u32_e32 vcc_lo, 0, v161
	v_and_b32_e32 v176, 7, v165
	v_or3_b32 v162, v167, v162, v176
	s_delay_alu instid0(VALU_DEP_1)
	v_cndmask_b32_e32 v161, 0, v162, vcc_lo
.LBB4_1720:                             ;   in Loop: Header=BB4_1561 Depth=4
	s_or_b32 exec_lo, exec_lo, s34
.LBB4_1721:                             ;   in Loop: Header=BB4_1561 Depth=4
	s_delay_alu instid0(SALU_CYCLE_1) | instskip(SKIP_3) | instid1(VALU_DEP_1)
	s_or_b32 exec_lo, exec_lo, s29
	v_and_b32_e32 v165, 0xff, v151
	s_mov_b32 s13, 0
	s_mov_b32 s34, exec_lo
                                        ; implicit-def: $sgpr29
	v_cmpx_lt_i16_e64 0x7f, v165
	s_xor_b32 s34, exec_lo, s34
	s_cbranch_execnz .LBB4_1895
; %bb.1722:                             ;   in Loop: Header=BB4_1561 Depth=4
	s_or_saveexec_b32 s34, s34
	v_mov_b32_e32 v162, s29
	s_xor_b32 exec_lo, exec_lo, s34
	s_cbranch_execnz .LBB4_1898
.LBB4_1723:                             ;   in Loop: Header=BB4_1561 Depth=4
	s_or_b32 exec_lo, exec_lo, s34
	s_and_saveexec_b32 s29, s13
	s_cbranch_execz .LBB4_1725
.LBB4_1724:                             ;   in Loop: Header=BB4_1561 Depth=4
	v_lshrrev_b16 v176, 3, v151
	s_delay_alu instid0(VALU_DEP_1) | instskip(NEXT) | instid1(VALU_DEP_1)
	v_and_b32_e32 v176, 15, v176
	v_cmp_eq_u32_e32 vcc_lo, 0, v176
	v_and_b32_e32 v162, 7, v151
	s_delay_alu instid0(VALU_DEP_1) | instskip(NEXT) | instid1(VALU_DEP_1)
	v_clz_i32_u32_e32 v165, v162
	v_min_u32_e32 v165, 32, v165
	s_delay_alu instid0(VALU_DEP_1) | instskip(SKIP_1) | instid1(VALU_DEP_2)
	v_subrev_nc_u32_e32 v167, 28, v165
	v_sub_nc_u32_e32 v165, 29, v165
	v_lshlrev_b32_e32 v167, v167, v151
	s_delay_alu instid0(VALU_DEP_2) | instskip(SKIP_1) | instid1(VALU_DEP_3)
	v_cndmask_b32_e32 v165, v176, v165, vcc_lo
	v_lshlrev_b32_e32 v151, 24, v151
	v_and_b32_e32 v167, 7, v167
	s_delay_alu instid0(VALU_DEP_3) | instskip(NEXT) | instid1(VALU_DEP_3)
	v_lshl_add_u32 v165, v165, 23, 0x3b800000
	v_and_b32_e32 v151, 0x80000000, v151
	s_delay_alu instid0(VALU_DEP_3) | instskip(NEXT) | instid1(VALU_DEP_1)
	v_cndmask_b32_e32 v162, v162, v167, vcc_lo
	v_lshlrev_b32_e32 v162, 20, v162
	s_delay_alu instid0(VALU_DEP_1)
	v_or3_b32 v162, v151, v165, v162
.LBB4_1725:                             ;   in Loop: Header=BB4_1561 Depth=4
	s_or_b32 exec_lo, exec_lo, s29
	s_waitcnt vmcnt(5) lgkmcnt(5)
	v_and_b32_e32 v165, 0xff, v150
	s_mov_b32 s13, 0
	s_mov_b32 s34, exec_lo
                                        ; implicit-def: $sgpr29
	s_delay_alu instid0(VALU_DEP_1)
	v_cmpx_lt_i16_e64 0x7f, v165
	s_xor_b32 s34, exec_lo, s34
	s_cbranch_execnz .LBB4_1899
; %bb.1726:                             ;   in Loop: Header=BB4_1561 Depth=4
	s_or_saveexec_b32 s34, s34
	v_mov_b32_e32 v151, s29
	s_xor_b32 exec_lo, exec_lo, s34
	s_cbranch_execnz .LBB4_1902
.LBB4_1727:                             ;   in Loop: Header=BB4_1561 Depth=4
	s_or_b32 exec_lo, exec_lo, s34
	s_and_saveexec_b32 s29, s13
	s_cbranch_execz .LBB4_1729
.LBB4_1728:                             ;   in Loop: Header=BB4_1561 Depth=4
	v_and_b32_e32 v151, 7, v150
	v_lshrrev_b16 v176, 3, v150
	s_delay_alu instid0(VALU_DEP_2) | instskip(NEXT) | instid1(VALU_DEP_1)
	v_clz_i32_u32_e32 v165, v151
	v_min_u32_e32 v165, 32, v165
	s_delay_alu instid0(VALU_DEP_1) | instskip(SKIP_1) | instid1(VALU_DEP_2)
	v_subrev_nc_u32_e32 v167, 28, v165
	v_sub_nc_u32_e32 v165, 29, v165
	v_lshlrev_b32_e32 v167, v167, v150
	s_delay_alu instid0(VALU_DEP_1) | instskip(SKIP_1) | instid1(VALU_DEP_1)
	v_and_b32_e32 v167, 7, v167
	v_and_b32_e32 v176, 15, v176
	v_cmp_eq_u32_e32 vcc_lo, 0, v176
	s_delay_alu instid0(VALU_DEP_3) | instskip(SKIP_1) | instid1(VALU_DEP_2)
	v_dual_cndmask_b32 v151, v151, v167 :: v_dual_lshlrev_b32 v150, 24, v150
	v_cndmask_b32_e32 v165, v176, v165, vcc_lo
	v_lshlrev_b32_e32 v151, 20, v151
	s_delay_alu instid0(VALU_DEP_3) | instskip(NEXT) | instid1(VALU_DEP_3)
	v_and_b32_e32 v150, 0x80000000, v150
	v_lshl_add_u32 v165, v165, 23, 0x3b800000
	s_delay_alu instid0(VALU_DEP_1)
	v_or3_b32 v151, v150, v165, v151
.LBB4_1729:                             ;   in Loop: Header=BB4_1561 Depth=4
	s_or_b32 exec_lo, exec_lo, s29
	s_delay_alu instid0(VALU_DEP_1) | instskip(NEXT) | instid1(VALU_DEP_1)
	v_add_f32_e32 v151, v162, v151
	v_and_b32_e32 v150, 0x7f800000, v151
	s_delay_alu instid0(VALU_DEP_1)
	v_cmp_ne_u32_e32 vcc_lo, 0x7f800000, v150
	v_mov_b32_e32 v150, 0x80
	s_and_saveexec_b32 s29, vcc_lo
	s_cbranch_execz .LBB4_1737
; %bb.1730:                             ;   in Loop: Header=BB4_1561 Depth=4
	v_mov_b32_e32 v150, 0
	s_mov_b32 s34, exec_lo
	v_cmpx_ne_u32_e32 0, v151
	s_cbranch_execz .LBB4_1736
; %bb.1731:                             ;   in Loop: Header=BB4_1561 Depth=4
	v_bfe_u32 v150, v151, 23, 8
	s_delay_alu instid0(VALU_DEP_1) | instskip(SKIP_1) | instid1(VALU_DEP_2)
	v_sub_nc_u32_e32 v165, 0x78, v150
	v_cmp_gt_u32_e32 vcc_lo, 0x79, v150
	v_dual_cndmask_b32 v165, 0, v165 :: v_dual_and_b32 v162, 0x7fffff, v151
	s_delay_alu instid0(VALU_DEP_1) | instskip(SKIP_2) | instid1(VALU_DEP_4)
	v_or_b32_e32 v167, 0x800000, v162
	v_cmp_eq_u32_e32 vcc_lo, 0, v150
	v_add_nc_u32_e32 v150, 0xffffff89, v150
	v_cndmask_b32_e64 v165, v165, 0x77, vcc_lo
	s_delay_alu instid0(VALU_DEP_4) | instskip(NEXT) | instid1(VALU_DEP_3)
	v_cndmask_b32_e32 v162, v167, v162, vcc_lo
	v_cndmask_b32_e64 v150, v150, 0xffffff8a, vcc_lo
	s_delay_alu instid0(VALU_DEP_3) | instskip(NEXT) | instid1(VALU_DEP_3)
	v_lshl_add_u32 v167, 0x100000, v165, -1
	v_lshrrev_b32_e32 v176, v165, v162
	v_lshlrev_b32_e64 v178, v165, 0x80000
	s_delay_alu instid0(VALU_DEP_4) | instskip(NEXT) | instid1(VALU_DEP_4)
	v_add_nc_u32_e32 v165, v165, v150
	v_and_b32_e32 v162, v167, v162
	s_delay_alu instid0(VALU_DEP_4) | instskip(NEXT) | instid1(VALU_DEP_2)
	v_bfe_u32 v177, v176, 20, 1
	v_cmp_eq_u32_e64 s13, v162, v178
	s_delay_alu instid0(VALU_DEP_2) | instskip(NEXT) | instid1(VALU_DEP_1)
	v_add_nc_u32_e32 v167, -1, v177
	v_cndmask_b32_e64 v162, 0, v167, s13
	v_lshrrev_b32_e32 v167, 23, v176
	s_mov_b32 s13, exec_lo
	s_delay_alu instid0(VALU_DEP_2) | instskip(NEXT) | instid1(VALU_DEP_2)
	v_add_nc_u32_e32 v162, v162, v176
	v_xor_b32_e32 v167, 1, v167
	s_delay_alu instid0(VALU_DEP_2) | instskip(NEXT) | instid1(VALU_DEP_1)
	v_and_b32_e32 v150, 0xfffff, v162
	v_add_nc_u32_e32 v162, v150, v176
                                        ; implicit-def: $vgpr150
	s_delay_alu instid0(VALU_DEP_3)
	v_cmpx_ne_u32_e64 v165, v167
	s_xor_b32 s13, exec_lo, s13
; %bb.1732:                             ;   in Loop: Header=BB4_1561 Depth=4
	s_delay_alu instid0(VALU_DEP_2) | instskip(SKIP_2) | instid1(VALU_DEP_2)
	v_cmp_lt_u32_e32 vcc_lo, 0xffffff, v162
	v_sub_nc_u32_e32 v150, v165, v167
	v_cndmask_b32_e64 v165, 0, 1, vcc_lo
	v_add_co_ci_u32_e32 v150, vcc_lo, 0, v150, vcc_lo
	s_delay_alu instid0(VALU_DEP_2)
	v_lshrrev_b32_e32 v162, v165, v162
; %bb.1733:                             ;   in Loop: Header=BB4_1561 Depth=4
	s_and_not1_saveexec_b32 s13, s13
; %bb.1734:                             ;   in Loop: Header=BB4_1561 Depth=4
	s_delay_alu instid0(VALU_DEP_1)
	v_bfe_u32 v150, v162, 23, 1
; %bb.1735:                             ;   in Loop: Header=BB4_1561 Depth=4
	s_or_b32 exec_lo, exec_lo, s13
	v_lshrrev_b32_e32 v162, 20, v162
	s_delay_alu instid0(VALU_DEP_2) | instskip(SKIP_2) | instid1(VALU_DEP_2)
	v_cmp_gt_i32_e32 vcc_lo, 16, v150
	v_lshrrev_b32_e32 v151, 24, v151
	v_min_i32_e32 v165, 15, v150
	v_dual_cndmask_b32 v162, 7, v162 :: v_dual_and_b32 v151, 0x80, v151
	s_delay_alu instid0(VALU_DEP_2) | instskip(NEXT) | instid1(VALU_DEP_2)
	v_lshlrev_b32_e32 v165, 3, v165
	v_or_b32_e32 v150, v150, v162
	s_delay_alu instid0(VALU_DEP_1) | instskip(SKIP_1) | instid1(VALU_DEP_1)
	v_cmp_ne_u32_e32 vcc_lo, 0, v150
	v_and_b32_e32 v167, 7, v162
	v_or3_b32 v151, v165, v151, v167
	s_delay_alu instid0(VALU_DEP_1)
	v_cndmask_b32_e32 v150, 0, v151, vcc_lo
.LBB4_1736:                             ;   in Loop: Header=BB4_1561 Depth=4
	s_or_b32 exec_lo, exec_lo, s34
.LBB4_1737:                             ;   in Loop: Header=BB4_1561 Depth=4
	s_delay_alu instid0(SALU_CYCLE_1) | instskip(SKIP_3) | instid1(VALU_DEP_1)
	s_or_b32 exec_lo, exec_lo, s29
	v_and_b32_e32 v162, 0xff, v148
	s_mov_b32 s13, 0
	s_mov_b32 s34, exec_lo
                                        ; implicit-def: $sgpr29
	v_cmpx_lt_i16_e64 0x7f, v162
	s_xor_b32 s34, exec_lo, s34
	s_cbranch_execnz .LBB4_1903
; %bb.1738:                             ;   in Loop: Header=BB4_1561 Depth=4
	s_or_saveexec_b32 s34, s34
	v_mov_b32_e32 v151, s29
	s_xor_b32 exec_lo, exec_lo, s34
	s_cbranch_execnz .LBB4_1906
.LBB4_1739:                             ;   in Loop: Header=BB4_1561 Depth=4
	s_or_b32 exec_lo, exec_lo, s34
	s_and_saveexec_b32 s29, s13
	s_cbranch_execz .LBB4_1741
.LBB4_1740:                             ;   in Loop: Header=BB4_1561 Depth=4
	v_lshrrev_b16 v167, 3, v148
	s_delay_alu instid0(VALU_DEP_1) | instskip(NEXT) | instid1(VALU_DEP_1)
	v_and_b32_e32 v167, 15, v167
	v_cmp_eq_u32_e32 vcc_lo, 0, v167
	v_and_b32_e32 v151, 7, v148
	s_delay_alu instid0(VALU_DEP_1) | instskip(NEXT) | instid1(VALU_DEP_1)
	v_clz_i32_u32_e32 v162, v151
	v_min_u32_e32 v162, 32, v162
	s_delay_alu instid0(VALU_DEP_1) | instskip(SKIP_1) | instid1(VALU_DEP_1)
	v_subrev_nc_u32_e32 v165, 28, v162
	v_sub_nc_u32_e32 v162, 29, v162
	v_dual_cndmask_b32 v162, v167, v162 :: v_dual_lshlrev_b32 v165, v165, v148
	s_delay_alu instid0(VALU_DEP_1) | instskip(SKIP_1) | instid1(VALU_DEP_3)
	v_and_b32_e32 v165, 7, v165
	v_lshlrev_b32_e32 v148, 24, v148
	v_lshl_add_u32 v162, v162, 23, 0x3b800000
	s_delay_alu instid0(VALU_DEP_2) | instskip(NEXT) | instid1(VALU_DEP_1)
	v_dual_cndmask_b32 v151, v151, v165 :: v_dual_and_b32 v148, 0x80000000, v148
	v_lshlrev_b32_e32 v151, 20, v151
	s_delay_alu instid0(VALU_DEP_1)
	v_or3_b32 v151, v148, v162, v151
.LBB4_1741:                             ;   in Loop: Header=BB4_1561 Depth=4
	s_or_b32 exec_lo, exec_lo, s29
	s_waitcnt vmcnt(4) lgkmcnt(4)
	v_and_b32_e32 v162, 0xff, v147
	s_mov_b32 s13, 0
	s_mov_b32 s34, exec_lo
                                        ; implicit-def: $sgpr29
	s_delay_alu instid0(VALU_DEP_1)
	v_cmpx_lt_i16_e64 0x7f, v162
	s_xor_b32 s34, exec_lo, s34
	s_cbranch_execnz .LBB4_1907
; %bb.1742:                             ;   in Loop: Header=BB4_1561 Depth=4
	s_or_saveexec_b32 s34, s34
	v_mov_b32_e32 v148, s29
	s_xor_b32 exec_lo, exec_lo, s34
	s_cbranch_execnz .LBB4_1910
.LBB4_1743:                             ;   in Loop: Header=BB4_1561 Depth=4
	s_or_b32 exec_lo, exec_lo, s34
	s_and_saveexec_b32 s29, s13
	s_cbranch_execz .LBB4_1745
.LBB4_1744:                             ;   in Loop: Header=BB4_1561 Depth=4
	v_and_b32_e32 v148, 7, v147
	v_lshrrev_b16 v167, 3, v147
	s_delay_alu instid0(VALU_DEP_2) | instskip(NEXT) | instid1(VALU_DEP_2)
	v_clz_i32_u32_e32 v162, v148
	v_and_b32_e32 v167, 15, v167
	s_delay_alu instid0(VALU_DEP_2) | instskip(NEXT) | instid1(VALU_DEP_2)
	v_min_u32_e32 v162, 32, v162
	v_cmp_eq_u32_e32 vcc_lo, 0, v167
	s_delay_alu instid0(VALU_DEP_2) | instskip(SKIP_1) | instid1(VALU_DEP_1)
	v_subrev_nc_u32_e32 v165, 28, v162
	v_sub_nc_u32_e32 v162, 29, v162
	v_dual_cndmask_b32 v162, v167, v162 :: v_dual_lshlrev_b32 v165, v165, v147
	v_lshlrev_b32_e32 v147, 24, v147
	s_delay_alu instid0(VALU_DEP_2) | instskip(NEXT) | instid1(VALU_DEP_3)
	v_and_b32_e32 v165, 7, v165
	v_lshl_add_u32 v162, v162, 23, 0x3b800000
	s_delay_alu instid0(VALU_DEP_2) | instskip(NEXT) | instid1(VALU_DEP_1)
	v_dual_cndmask_b32 v148, v148, v165 :: v_dual_and_b32 v147, 0x80000000, v147
	v_lshlrev_b32_e32 v148, 20, v148
	s_delay_alu instid0(VALU_DEP_1)
	v_or3_b32 v148, v147, v162, v148
.LBB4_1745:                             ;   in Loop: Header=BB4_1561 Depth=4
	s_or_b32 exec_lo, exec_lo, s29
	s_delay_alu instid0(VALU_DEP_1) | instskip(NEXT) | instid1(VALU_DEP_1)
	v_add_f32_e32 v148, v151, v148
	v_and_b32_e32 v147, 0x7f800000, v148
	s_delay_alu instid0(VALU_DEP_1)
	v_cmp_ne_u32_e32 vcc_lo, 0x7f800000, v147
	v_mov_b32_e32 v147, 0x80
	s_and_saveexec_b32 s29, vcc_lo
	s_cbranch_execz .LBB4_1753
; %bb.1746:                             ;   in Loop: Header=BB4_1561 Depth=4
	v_mov_b32_e32 v147, 0
	s_mov_b32 s34, exec_lo
	v_cmpx_ne_u32_e32 0, v148
	s_cbranch_execz .LBB4_1752
; %bb.1747:                             ;   in Loop: Header=BB4_1561 Depth=4
	v_bfe_u32 v147, v148, 23, 8
	s_delay_alu instid0(VALU_DEP_1) | instskip(SKIP_1) | instid1(VALU_DEP_2)
	v_sub_nc_u32_e32 v162, 0x78, v147
	v_cmp_gt_u32_e32 vcc_lo, 0x79, v147
	v_dual_cndmask_b32 v162, 0, v162 :: v_dual_and_b32 v151, 0x7fffff, v148
	s_delay_alu instid0(VALU_DEP_1) | instskip(SKIP_2) | instid1(VALU_DEP_4)
	v_or_b32_e32 v165, 0x800000, v151
	v_cmp_eq_u32_e32 vcc_lo, 0, v147
	v_add_nc_u32_e32 v147, 0xffffff89, v147
	v_cndmask_b32_e64 v162, v162, 0x77, vcc_lo
	s_delay_alu instid0(VALU_DEP_4) | instskip(NEXT) | instid1(VALU_DEP_3)
	v_cndmask_b32_e32 v151, v165, v151, vcc_lo
	v_cndmask_b32_e64 v147, v147, 0xffffff8a, vcc_lo
	s_delay_alu instid0(VALU_DEP_3) | instskip(NEXT) | instid1(VALU_DEP_3)
	v_lshl_add_u32 v165, 0x100000, v162, -1
	v_lshrrev_b32_e32 v167, v162, v151
	v_lshlrev_b32_e64 v177, v162, 0x80000
	s_delay_alu instid0(VALU_DEP_4) | instskip(NEXT) | instid1(VALU_DEP_4)
	v_add_nc_u32_e32 v162, v162, v147
	v_and_b32_e32 v151, v165, v151
	s_delay_alu instid0(VALU_DEP_4) | instskip(NEXT) | instid1(VALU_DEP_2)
	v_bfe_u32 v176, v167, 20, 1
	v_cmp_eq_u32_e64 s13, v151, v177
	s_delay_alu instid0(VALU_DEP_2) | instskip(NEXT) | instid1(VALU_DEP_1)
	v_add_nc_u32_e32 v165, -1, v176
	v_cndmask_b32_e64 v151, 0, v165, s13
	v_lshrrev_b32_e32 v165, 23, v167
	s_mov_b32 s13, exec_lo
	s_delay_alu instid0(VALU_DEP_2) | instskip(NEXT) | instid1(VALU_DEP_2)
	v_add_nc_u32_e32 v151, v151, v167
	v_xor_b32_e32 v165, 1, v165
	s_delay_alu instid0(VALU_DEP_2) | instskip(NEXT) | instid1(VALU_DEP_1)
	v_and_b32_e32 v147, 0xfffff, v151
	v_add_nc_u32_e32 v151, v147, v167
                                        ; implicit-def: $vgpr147
	s_delay_alu instid0(VALU_DEP_3)
	v_cmpx_ne_u32_e64 v162, v165
	s_xor_b32 s13, exec_lo, s13
; %bb.1748:                             ;   in Loop: Header=BB4_1561 Depth=4
	s_delay_alu instid0(VALU_DEP_2) | instskip(SKIP_2) | instid1(VALU_DEP_2)
	v_cmp_lt_u32_e32 vcc_lo, 0xffffff, v151
	v_sub_nc_u32_e32 v147, v162, v165
	v_cndmask_b32_e64 v162, 0, 1, vcc_lo
	v_add_co_ci_u32_e32 v147, vcc_lo, 0, v147, vcc_lo
	s_delay_alu instid0(VALU_DEP_2)
	v_lshrrev_b32_e32 v151, v162, v151
; %bb.1749:                             ;   in Loop: Header=BB4_1561 Depth=4
	s_and_not1_saveexec_b32 s13, s13
; %bb.1750:                             ;   in Loop: Header=BB4_1561 Depth=4
	s_delay_alu instid0(VALU_DEP_1)
	v_bfe_u32 v147, v151, 23, 1
; %bb.1751:                             ;   in Loop: Header=BB4_1561 Depth=4
	s_or_b32 exec_lo, exec_lo, s13
	v_lshrrev_b32_e32 v151, 20, v151
	s_delay_alu instid0(VALU_DEP_2) | instskip(SKIP_2) | instid1(VALU_DEP_2)
	v_cmp_gt_i32_e32 vcc_lo, 16, v147
	v_lshrrev_b32_e32 v148, 24, v148
	v_min_i32_e32 v162, 15, v147
	v_dual_cndmask_b32 v151, 7, v151 :: v_dual_and_b32 v148, 0x80, v148
	s_delay_alu instid0(VALU_DEP_1) | instskip(SKIP_1) | instid1(VALU_DEP_2)
	v_or_b32_e32 v147, v147, v151
	v_and_b32_e32 v165, 7, v151
	v_cmp_ne_u32_e32 vcc_lo, 0, v147
	v_lshlrev_b32_e32 v162, 3, v162
	s_delay_alu instid0(VALU_DEP_1) | instskip(NEXT) | instid1(VALU_DEP_1)
	v_or3_b32 v148, v162, v148, v165
	v_cndmask_b32_e32 v147, 0, v148, vcc_lo
.LBB4_1752:                             ;   in Loop: Header=BB4_1561 Depth=4
	s_or_b32 exec_lo, exec_lo, s34
.LBB4_1753:                             ;   in Loop: Header=BB4_1561 Depth=4
	s_delay_alu instid0(SALU_CYCLE_1) | instskip(SKIP_3) | instid1(VALU_DEP_1)
	s_or_b32 exec_lo, exec_lo, s29
	v_and_b32_e32 v151, 0xff, v84
	s_mov_b32 s13, 0
	s_mov_b32 s34, exec_lo
                                        ; implicit-def: $sgpr29
	v_cmpx_lt_i16_e64 0x7f, v151
	s_xor_b32 s34, exec_lo, s34
	s_cbranch_execnz .LBB4_1911
; %bb.1754:                             ;   in Loop: Header=BB4_1561 Depth=4
	s_or_saveexec_b32 s34, s34
	v_mov_b32_e32 v148, s29
	s_xor_b32 exec_lo, exec_lo, s34
	s_cbranch_execnz .LBB4_1914
.LBB4_1755:                             ;   in Loop: Header=BB4_1561 Depth=4
	s_or_b32 exec_lo, exec_lo, s34
	s_and_saveexec_b32 s29, s13
	s_cbranch_execz .LBB4_1757
.LBB4_1756:                             ;   in Loop: Header=BB4_1561 Depth=4
	v_lshrrev_b16 v165, 3, v84
	s_delay_alu instid0(VALU_DEP_1) | instskip(NEXT) | instid1(VALU_DEP_1)
	v_and_b32_e32 v165, 15, v165
	v_cmp_eq_u32_e32 vcc_lo, 0, v165
	v_and_b32_e32 v148, 7, v84
	s_delay_alu instid0(VALU_DEP_1) | instskip(NEXT) | instid1(VALU_DEP_1)
	v_clz_i32_u32_e32 v151, v148
	v_min_u32_e32 v151, 32, v151
	s_delay_alu instid0(VALU_DEP_1) | instskip(SKIP_1) | instid1(VALU_DEP_1)
	v_subrev_nc_u32_e32 v162, 28, v151
	v_sub_nc_u32_e32 v151, 29, v151
	v_dual_cndmask_b32 v151, v165, v151 :: v_dual_lshlrev_b32 v162, v162, v84
	v_lshlrev_b32_e32 v84, 24, v84
	s_delay_alu instid0(VALU_DEP_2) | instskip(NEXT) | instid1(VALU_DEP_3)
	v_and_b32_e32 v162, 7, v162
	v_lshl_add_u32 v151, v151, 23, 0x3b800000
	s_delay_alu instid0(VALU_DEP_3) | instskip(NEXT) | instid1(VALU_DEP_3)
	v_and_b32_e32 v84, 0x80000000, v84
	v_cndmask_b32_e32 v148, v148, v162, vcc_lo
	s_delay_alu instid0(VALU_DEP_1) | instskip(NEXT) | instid1(VALU_DEP_1)
	v_lshlrev_b32_e32 v148, 20, v148
	v_or3_b32 v148, v84, v151, v148
.LBB4_1757:                             ;   in Loop: Header=BB4_1561 Depth=4
	s_or_b32 exec_lo, exec_lo, s29
	s_waitcnt vmcnt(3) lgkmcnt(3)
	v_and_b32_e32 v151, 0xff, v83
	s_mov_b32 s13, 0
	s_mov_b32 s34, exec_lo
                                        ; implicit-def: $sgpr29
	s_delay_alu instid0(VALU_DEP_1)
	v_cmpx_lt_i16_e64 0x7f, v151
	s_xor_b32 s34, exec_lo, s34
	s_cbranch_execnz .LBB4_1915
; %bb.1758:                             ;   in Loop: Header=BB4_1561 Depth=4
	s_or_saveexec_b32 s34, s34
	v_mov_b32_e32 v84, s29
	s_xor_b32 exec_lo, exec_lo, s34
	s_cbranch_execnz .LBB4_1918
.LBB4_1759:                             ;   in Loop: Header=BB4_1561 Depth=4
	s_or_b32 exec_lo, exec_lo, s34
	s_and_saveexec_b32 s29, s13
	s_cbranch_execz .LBB4_1761
.LBB4_1760:                             ;   in Loop: Header=BB4_1561 Depth=4
	v_and_b32_e32 v84, 7, v83
	v_lshrrev_b16 v165, 3, v83
	s_delay_alu instid0(VALU_DEP_2) | instskip(NEXT) | instid1(VALU_DEP_1)
	v_clz_i32_u32_e32 v151, v84
	v_min_u32_e32 v151, 32, v151
	s_delay_alu instid0(VALU_DEP_1) | instskip(SKIP_1) | instid1(VALU_DEP_2)
	v_subrev_nc_u32_e32 v162, 28, v151
	v_sub_nc_u32_e32 v151, 29, v151
	v_lshlrev_b32_e32 v162, v162, v83
	v_lshlrev_b32_e32 v83, 24, v83
	s_delay_alu instid0(VALU_DEP_2) | instskip(SKIP_1) | instid1(VALU_DEP_3)
	v_and_b32_e32 v162, 7, v162
	v_and_b32_e32 v165, 15, v165
	;; [unrolled: 1-line block ×3, first 2 shown]
	s_delay_alu instid0(VALU_DEP_2) | instskip(NEXT) | instid1(VALU_DEP_4)
	v_cmp_eq_u32_e32 vcc_lo, 0, v165
	v_dual_cndmask_b32 v84, v84, v162 :: v_dual_cndmask_b32 v151, v165, v151
	s_delay_alu instid0(VALU_DEP_1) | instskip(NEXT) | instid1(VALU_DEP_2)
	v_lshlrev_b32_e32 v84, 20, v84
	v_lshl_add_u32 v151, v151, 23, 0x3b800000
	s_delay_alu instid0(VALU_DEP_1)
	v_or3_b32 v84, v83, v151, v84
.LBB4_1761:                             ;   in Loop: Header=BB4_1561 Depth=4
	s_or_b32 exec_lo, exec_lo, s29
	s_delay_alu instid0(VALU_DEP_1) | instskip(NEXT) | instid1(VALU_DEP_1)
	v_add_f32_e32 v84, v148, v84
	v_and_b32_e32 v83, 0x7f800000, v84
	s_delay_alu instid0(VALU_DEP_1)
	v_cmp_ne_u32_e32 vcc_lo, 0x7f800000, v83
	v_mov_b32_e32 v83, 0x80
	s_and_saveexec_b32 s29, vcc_lo
	s_cbranch_execz .LBB4_1769
; %bb.1762:                             ;   in Loop: Header=BB4_1561 Depth=4
	v_mov_b32_e32 v83, 0
	s_mov_b32 s34, exec_lo
	v_cmpx_ne_u32_e32 0, v84
	s_cbranch_execz .LBB4_1768
; %bb.1763:                             ;   in Loop: Header=BB4_1561 Depth=4
	v_bfe_u32 v83, v84, 23, 8
	s_delay_alu instid0(VALU_DEP_1) | instskip(SKIP_1) | instid1(VALU_DEP_2)
	v_sub_nc_u32_e32 v151, 0x78, v83
	v_cmp_gt_u32_e32 vcc_lo, 0x79, v83
	v_dual_cndmask_b32 v151, 0, v151 :: v_dual_and_b32 v148, 0x7fffff, v84
	s_delay_alu instid0(VALU_DEP_1) | instskip(SKIP_2) | instid1(VALU_DEP_4)
	v_or_b32_e32 v162, 0x800000, v148
	v_cmp_eq_u32_e32 vcc_lo, 0, v83
	v_add_nc_u32_e32 v83, 0xffffff89, v83
	v_cndmask_b32_e64 v151, v151, 0x77, vcc_lo
	s_delay_alu instid0(VALU_DEP_4) | instskip(NEXT) | instid1(VALU_DEP_3)
	v_cndmask_b32_e32 v148, v162, v148, vcc_lo
	v_cndmask_b32_e64 v83, v83, 0xffffff8a, vcc_lo
	s_delay_alu instid0(VALU_DEP_3) | instskip(NEXT) | instid1(VALU_DEP_3)
	v_lshl_add_u32 v162, 0x100000, v151, -1
	v_lshrrev_b32_e32 v165, v151, v148
	v_lshlrev_b32_e64 v176, v151, 0x80000
	s_delay_alu instid0(VALU_DEP_4) | instskip(NEXT) | instid1(VALU_DEP_4)
	v_add_nc_u32_e32 v151, v151, v83
	v_and_b32_e32 v148, v162, v148
	s_delay_alu instid0(VALU_DEP_4) | instskip(NEXT) | instid1(VALU_DEP_2)
	v_bfe_u32 v167, v165, 20, 1
	v_cmp_eq_u32_e64 s13, v148, v176
	s_delay_alu instid0(VALU_DEP_2) | instskip(NEXT) | instid1(VALU_DEP_1)
	v_add_nc_u32_e32 v162, -1, v167
	v_cndmask_b32_e64 v148, 0, v162, s13
	v_lshrrev_b32_e32 v162, 23, v165
	s_mov_b32 s13, exec_lo
	s_delay_alu instid0(VALU_DEP_2) | instskip(NEXT) | instid1(VALU_DEP_2)
	v_add_nc_u32_e32 v148, v148, v165
	v_xor_b32_e32 v162, 1, v162
	s_delay_alu instid0(VALU_DEP_2) | instskip(NEXT) | instid1(VALU_DEP_1)
	v_and_b32_e32 v83, 0xfffff, v148
	v_add_nc_u32_e32 v148, v83, v165
                                        ; implicit-def: $vgpr83
	s_delay_alu instid0(VALU_DEP_3)
	v_cmpx_ne_u32_e64 v151, v162
	s_xor_b32 s13, exec_lo, s13
; %bb.1764:                             ;   in Loop: Header=BB4_1561 Depth=4
	s_delay_alu instid0(VALU_DEP_2) | instskip(SKIP_2) | instid1(VALU_DEP_2)
	v_cmp_lt_u32_e32 vcc_lo, 0xffffff, v148
	v_sub_nc_u32_e32 v83, v151, v162
	v_cndmask_b32_e64 v151, 0, 1, vcc_lo
	v_add_co_ci_u32_e32 v83, vcc_lo, 0, v83, vcc_lo
	s_delay_alu instid0(VALU_DEP_2)
	v_lshrrev_b32_e32 v148, v151, v148
; %bb.1765:                             ;   in Loop: Header=BB4_1561 Depth=4
	s_and_not1_saveexec_b32 s13, s13
; %bb.1766:                             ;   in Loop: Header=BB4_1561 Depth=4
	s_delay_alu instid0(VALU_DEP_1)
	v_bfe_u32 v83, v148, 23, 1
; %bb.1767:                             ;   in Loop: Header=BB4_1561 Depth=4
	s_or_b32 exec_lo, exec_lo, s13
	v_lshrrev_b32_e32 v148, 20, v148
	s_delay_alu instid0(VALU_DEP_2) | instskip(SKIP_2) | instid1(VALU_DEP_4)
	v_cmp_gt_i32_e32 vcc_lo, 16, v83
	v_lshrrev_b32_e32 v84, 24, v84
	v_min_i32_e32 v151, 15, v83
	v_cndmask_b32_e32 v148, 7, v148, vcc_lo
	s_delay_alu instid0(VALU_DEP_3) | instskip(NEXT) | instid1(VALU_DEP_3)
	v_and_b32_e32 v84, 0x80, v84
	v_lshlrev_b32_e32 v151, 3, v151
	s_delay_alu instid0(VALU_DEP_3) | instskip(SKIP_1) | instid1(VALU_DEP_2)
	v_and_b32_e32 v162, 7, v148
	v_or_b32_e32 v83, v83, v148
	v_or3_b32 v84, v151, v84, v162
	s_delay_alu instid0(VALU_DEP_2) | instskip(NEXT) | instid1(VALU_DEP_2)
	v_cmp_ne_u32_e32 vcc_lo, 0, v83
	v_cndmask_b32_e32 v83, 0, v84, vcc_lo
.LBB4_1768:                             ;   in Loop: Header=BB4_1561 Depth=4
	s_or_b32 exec_lo, exec_lo, s34
.LBB4_1769:                             ;   in Loop: Header=BB4_1561 Depth=4
	s_delay_alu instid0(SALU_CYCLE_1) | instskip(SKIP_3) | instid1(VALU_DEP_1)
	s_or_b32 exec_lo, exec_lo, s29
	v_and_b32_e32 v148, 0xff, v81
	s_mov_b32 s13, 0
	s_mov_b32 s34, exec_lo
                                        ; implicit-def: $sgpr29
	v_cmpx_lt_i16_e64 0x7f, v148
	s_xor_b32 s34, exec_lo, s34
	s_cbranch_execnz .LBB4_1919
; %bb.1770:                             ;   in Loop: Header=BB4_1561 Depth=4
	s_or_saveexec_b32 s34, s34
	v_mov_b32_e32 v84, s29
	s_xor_b32 exec_lo, exec_lo, s34
	s_cbranch_execnz .LBB4_1922
.LBB4_1771:                             ;   in Loop: Header=BB4_1561 Depth=4
	s_or_b32 exec_lo, exec_lo, s34
	s_and_saveexec_b32 s29, s13
	s_cbranch_execz .LBB4_1773
.LBB4_1772:                             ;   in Loop: Header=BB4_1561 Depth=4
	v_and_b32_e32 v84, 7, v81
	v_lshrrev_b16 v162, 3, v81
	s_delay_alu instid0(VALU_DEP_2) | instskip(NEXT) | instid1(VALU_DEP_2)
	v_clz_i32_u32_e32 v148, v84
	v_and_b32_e32 v162, 15, v162
	s_delay_alu instid0(VALU_DEP_2) | instskip(NEXT) | instid1(VALU_DEP_2)
	v_min_u32_e32 v148, 32, v148
	v_cmp_eq_u32_e32 vcc_lo, 0, v162
	s_delay_alu instid0(VALU_DEP_2) | instskip(SKIP_1) | instid1(VALU_DEP_1)
	v_subrev_nc_u32_e32 v151, 28, v148
	v_sub_nc_u32_e32 v148, 29, v148
	v_dual_cndmask_b32 v148, v162, v148 :: v_dual_lshlrev_b32 v151, v151, v81
	s_delay_alu instid0(VALU_DEP_1) | instskip(SKIP_1) | instid1(VALU_DEP_3)
	v_and_b32_e32 v151, 7, v151
	v_lshlrev_b32_e32 v81, 24, v81
	v_lshl_add_u32 v148, v148, 23, 0x3b800000
	s_delay_alu instid0(VALU_DEP_2) | instskip(NEXT) | instid1(VALU_DEP_1)
	v_dual_cndmask_b32 v84, v84, v151 :: v_dual_and_b32 v81, 0x80000000, v81
	v_lshlrev_b32_e32 v84, 20, v84
	s_delay_alu instid0(VALU_DEP_1)
	v_or3_b32 v84, v81, v148, v84
.LBB4_1773:                             ;   in Loop: Header=BB4_1561 Depth=4
	s_or_b32 exec_lo, exec_lo, s29
	s_waitcnt vmcnt(2) lgkmcnt(2)
	v_and_b32_e32 v148, 0xff, v80
	s_mov_b32 s13, 0
	s_mov_b32 s34, exec_lo
                                        ; implicit-def: $sgpr29
	s_delay_alu instid0(VALU_DEP_1)
	v_cmpx_lt_i16_e64 0x7f, v148
	s_xor_b32 s34, exec_lo, s34
	s_cbranch_execnz .LBB4_1923
; %bb.1774:                             ;   in Loop: Header=BB4_1561 Depth=4
	s_or_saveexec_b32 s34, s34
	v_mov_b32_e32 v81, s29
	s_xor_b32 exec_lo, exec_lo, s34
	s_cbranch_execnz .LBB4_1926
.LBB4_1775:                             ;   in Loop: Header=BB4_1561 Depth=4
	s_or_b32 exec_lo, exec_lo, s34
	s_and_saveexec_b32 s29, s13
	s_cbranch_execz .LBB4_1777
.LBB4_1776:                             ;   in Loop: Header=BB4_1561 Depth=4
	v_and_b32_e32 v81, 7, v80
	v_lshrrev_b16 v162, 3, v80
	s_delay_alu instid0(VALU_DEP_2) | instskip(NEXT) | instid1(VALU_DEP_1)
	v_clz_i32_u32_e32 v148, v81
	v_min_u32_e32 v148, 32, v148
	s_delay_alu instid0(VALU_DEP_1) | instskip(SKIP_1) | instid1(VALU_DEP_2)
	v_subrev_nc_u32_e32 v151, 28, v148
	v_sub_nc_u32_e32 v148, 29, v148
	v_lshlrev_b32_e32 v151, v151, v80
	v_lshlrev_b32_e32 v80, 24, v80
	s_delay_alu instid0(VALU_DEP_2) | instskip(SKIP_1) | instid1(VALU_DEP_3)
	v_and_b32_e32 v151, 7, v151
	v_and_b32_e32 v162, 15, v162
	;; [unrolled: 1-line block ×3, first 2 shown]
	s_delay_alu instid0(VALU_DEP_2) | instskip(NEXT) | instid1(VALU_DEP_4)
	v_cmp_eq_u32_e32 vcc_lo, 0, v162
	v_dual_cndmask_b32 v81, v81, v151 :: v_dual_cndmask_b32 v148, v162, v148
	s_delay_alu instid0(VALU_DEP_1) | instskip(NEXT) | instid1(VALU_DEP_2)
	v_lshlrev_b32_e32 v81, 20, v81
	v_lshl_add_u32 v148, v148, 23, 0x3b800000
	s_delay_alu instid0(VALU_DEP_1)
	v_or3_b32 v81, v80, v148, v81
.LBB4_1777:                             ;   in Loop: Header=BB4_1561 Depth=4
	s_or_b32 exec_lo, exec_lo, s29
	s_delay_alu instid0(VALU_DEP_1) | instskip(NEXT) | instid1(VALU_DEP_1)
	v_add_f32_e32 v81, v84, v81
	v_and_b32_e32 v80, 0x7f800000, v81
	s_delay_alu instid0(VALU_DEP_1)
	v_cmp_ne_u32_e32 vcc_lo, 0x7f800000, v80
	v_mov_b32_e32 v80, 0x80
	s_and_saveexec_b32 s29, vcc_lo
	s_cbranch_execz .LBB4_1785
; %bb.1778:                             ;   in Loop: Header=BB4_1561 Depth=4
	v_mov_b32_e32 v80, 0
	s_mov_b32 s34, exec_lo
	v_cmpx_ne_u32_e32 0, v81
	s_cbranch_execz .LBB4_1784
; %bb.1779:                             ;   in Loop: Header=BB4_1561 Depth=4
	v_bfe_u32 v80, v81, 23, 8
	v_and_b32_e32 v84, 0x7fffff, v81
	s_delay_alu instid0(VALU_DEP_2) | instskip(SKIP_1) | instid1(VALU_DEP_3)
	v_sub_nc_u32_e32 v148, 0x78, v80
	v_cmp_gt_u32_e32 vcc_lo, 0x79, v80
	v_or_b32_e32 v151, 0x800000, v84
	s_delay_alu instid0(VALU_DEP_3) | instskip(SKIP_2) | instid1(VALU_DEP_3)
	v_cndmask_b32_e32 v148, 0, v148, vcc_lo
	v_cmp_eq_u32_e32 vcc_lo, 0, v80
	v_add_nc_u32_e32 v80, 0xffffff89, v80
	v_cndmask_b32_e64 v148, v148, 0x77, vcc_lo
	v_cndmask_b32_e32 v84, v151, v84, vcc_lo
	s_delay_alu instid0(VALU_DEP_3) | instskip(NEXT) | instid1(VALU_DEP_3)
	v_cndmask_b32_e64 v80, v80, 0xffffff8a, vcc_lo
	v_lshl_add_u32 v151, 0x100000, v148, -1
	s_delay_alu instid0(VALU_DEP_3) | instskip(SKIP_1) | instid1(VALU_DEP_4)
	v_lshrrev_b32_e32 v162, v148, v84
	v_lshlrev_b32_e64 v167, v148, 0x80000
	v_add_nc_u32_e32 v148, v148, v80
	s_delay_alu instid0(VALU_DEP_4) | instskip(NEXT) | instid1(VALU_DEP_4)
	v_and_b32_e32 v84, v151, v84
	v_bfe_u32 v165, v162, 20, 1
	s_delay_alu instid0(VALU_DEP_2) | instskip(NEXT) | instid1(VALU_DEP_2)
	v_cmp_eq_u32_e64 s13, v84, v167
	v_add_nc_u32_e32 v151, -1, v165
	s_delay_alu instid0(VALU_DEP_1) | instskip(SKIP_2) | instid1(VALU_DEP_2)
	v_cndmask_b32_e64 v84, 0, v151, s13
	v_lshrrev_b32_e32 v151, 23, v162
	s_mov_b32 s13, exec_lo
	v_add_nc_u32_e32 v84, v84, v162
	s_delay_alu instid0(VALU_DEP_2) | instskip(NEXT) | instid1(VALU_DEP_2)
	v_xor_b32_e32 v151, 1, v151
	v_and_b32_e32 v80, 0xfffff, v84
	s_delay_alu instid0(VALU_DEP_1) | instskip(NEXT) | instid1(VALU_DEP_3)
	v_add_nc_u32_e32 v84, v80, v162
                                        ; implicit-def: $vgpr80
	v_cmpx_ne_u32_e64 v148, v151
	s_xor_b32 s13, exec_lo, s13
; %bb.1780:                             ;   in Loop: Header=BB4_1561 Depth=4
	s_delay_alu instid0(VALU_DEP_2) | instskip(SKIP_2) | instid1(VALU_DEP_2)
	v_cmp_lt_u32_e32 vcc_lo, 0xffffff, v84
	v_sub_nc_u32_e32 v80, v148, v151
	v_cndmask_b32_e64 v148, 0, 1, vcc_lo
	v_add_co_ci_u32_e32 v80, vcc_lo, 0, v80, vcc_lo
	s_delay_alu instid0(VALU_DEP_2)
	v_lshrrev_b32_e32 v84, v148, v84
; %bb.1781:                             ;   in Loop: Header=BB4_1561 Depth=4
	s_and_not1_saveexec_b32 s13, s13
; %bb.1782:                             ;   in Loop: Header=BB4_1561 Depth=4
	s_delay_alu instid0(VALU_DEP_1)
	v_bfe_u32 v80, v84, 23, 1
; %bb.1783:                             ;   in Loop: Header=BB4_1561 Depth=4
	s_or_b32 exec_lo, exec_lo, s13
	v_lshrrev_b32_e32 v84, 20, v84
	s_delay_alu instid0(VALU_DEP_2) | instskip(SKIP_2) | instid1(VALU_DEP_2)
	v_cmp_gt_i32_e32 vcc_lo, 16, v80
	v_lshrrev_b32_e32 v81, 24, v81
	v_min_i32_e32 v148, 15, v80
	v_dual_cndmask_b32 v84, 7, v84 :: v_dual_and_b32 v81, 0x80, v81
	s_delay_alu instid0(VALU_DEP_2) | instskip(NEXT) | instid1(VALU_DEP_2)
	v_lshlrev_b32_e32 v148, 3, v148
	v_or_b32_e32 v80, v80, v84
	s_delay_alu instid0(VALU_DEP_1) | instskip(SKIP_1) | instid1(VALU_DEP_1)
	v_cmp_ne_u32_e32 vcc_lo, 0, v80
	v_and_b32_e32 v151, 7, v84
	v_or3_b32 v81, v148, v81, v151
	s_delay_alu instid0(VALU_DEP_1)
	v_cndmask_b32_e32 v80, 0, v81, vcc_lo
.LBB4_1784:                             ;   in Loop: Header=BB4_1561 Depth=4
	s_or_b32 exec_lo, exec_lo, s34
.LBB4_1785:                             ;   in Loop: Header=BB4_1561 Depth=4
	s_delay_alu instid0(SALU_CYCLE_1) | instskip(SKIP_3) | instid1(VALU_DEP_1)
	s_or_b32 exec_lo, exec_lo, s29
	v_and_b32_e32 v84, 0xff, v22
	s_mov_b32 s13, 0
	s_mov_b32 s34, exec_lo
                                        ; implicit-def: $sgpr29
	v_cmpx_lt_i16_e32 0x7f, v84
	s_xor_b32 s34, exec_lo, s34
	s_cbranch_execnz .LBB4_1927
; %bb.1786:                             ;   in Loop: Header=BB4_1561 Depth=4
	s_or_saveexec_b32 s34, s34
	v_mov_b32_e32 v81, s29
	s_xor_b32 exec_lo, exec_lo, s34
	s_cbranch_execnz .LBB4_1930
.LBB4_1787:                             ;   in Loop: Header=BB4_1561 Depth=4
	s_or_b32 exec_lo, exec_lo, s34
	s_and_saveexec_b32 s29, s13
	s_cbranch_execz .LBB4_1789
.LBB4_1788:                             ;   in Loop: Header=BB4_1561 Depth=4
	v_lshrrev_b16 v151, 3, v22
	s_delay_alu instid0(VALU_DEP_1) | instskip(NEXT) | instid1(VALU_DEP_1)
	v_and_b32_e32 v151, 15, v151
	v_cmp_eq_u32_e32 vcc_lo, 0, v151
	v_and_b32_e32 v81, 7, v22
	s_delay_alu instid0(VALU_DEP_1) | instskip(NEXT) | instid1(VALU_DEP_1)
	v_clz_i32_u32_e32 v84, v81
	v_min_u32_e32 v84, 32, v84
	s_delay_alu instid0(VALU_DEP_1) | instskip(SKIP_1) | instid1(VALU_DEP_2)
	v_subrev_nc_u32_e32 v148, 28, v84
	v_sub_nc_u32_e32 v84, 29, v84
	v_lshlrev_b32_e32 v148, v148, v22
	s_delay_alu instid0(VALU_DEP_2) | instskip(NEXT) | instid1(VALU_DEP_2)
	v_cndmask_b32_e32 v84, v151, v84, vcc_lo
	v_and_b32_e32 v148, 7, v148
	v_lshlrev_b32_e32 v22, 24, v22
	s_delay_alu instid0(VALU_DEP_3) | instskip(NEXT) | instid1(VALU_DEP_2)
	v_lshl_add_u32 v84, v84, 23, 0x3b800000
	v_dual_cndmask_b32 v81, v81, v148 :: v_dual_and_b32 v22, 0x80000000, v22
	s_delay_alu instid0(VALU_DEP_1) | instskip(NEXT) | instid1(VALU_DEP_1)
	v_lshlrev_b32_e32 v81, 20, v81
	v_or3_b32 v81, v22, v84, v81
.LBB4_1789:                             ;   in Loop: Header=BB4_1561 Depth=4
	s_or_b32 exec_lo, exec_lo, s29
	s_waitcnt vmcnt(1) lgkmcnt(1)
	v_and_b32_e32 v84, 0xff, v21
	s_mov_b32 s13, 0
	s_mov_b32 s34, exec_lo
                                        ; implicit-def: $sgpr29
	s_delay_alu instid0(VALU_DEP_1)
	v_cmpx_lt_i16_e32 0x7f, v84
	s_xor_b32 s34, exec_lo, s34
	s_cbranch_execnz .LBB4_1931
; %bb.1790:                             ;   in Loop: Header=BB4_1561 Depth=4
	s_or_saveexec_b32 s34, s34
	v_mov_b32_e32 v22, s29
	s_xor_b32 exec_lo, exec_lo, s34
	s_cbranch_execnz .LBB4_1934
.LBB4_1791:                             ;   in Loop: Header=BB4_1561 Depth=4
	s_or_b32 exec_lo, exec_lo, s34
	s_and_saveexec_b32 s29, s13
	s_cbranch_execz .LBB4_1793
.LBB4_1792:                             ;   in Loop: Header=BB4_1561 Depth=4
	v_and_b32_e32 v22, 7, v21
	v_lshrrev_b16 v151, 3, v21
	s_delay_alu instid0(VALU_DEP_2) | instskip(NEXT) | instid1(VALU_DEP_1)
	v_clz_i32_u32_e32 v84, v22
	v_min_u32_e32 v84, 32, v84
	s_delay_alu instid0(VALU_DEP_1) | instskip(SKIP_1) | instid1(VALU_DEP_2)
	v_subrev_nc_u32_e32 v148, 28, v84
	v_sub_nc_u32_e32 v84, 29, v84
	v_lshlrev_b32_e32 v148, v148, v21
	s_delay_alu instid0(VALU_DEP_1) | instskip(SKIP_1) | instid1(VALU_DEP_1)
	v_and_b32_e32 v148, 7, v148
	v_and_b32_e32 v151, 15, v151
	v_cmp_eq_u32_e32 vcc_lo, 0, v151
	s_delay_alu instid0(VALU_DEP_3) | instskip(SKIP_1) | instid1(VALU_DEP_2)
	v_dual_cndmask_b32 v22, v22, v148 :: v_dual_lshlrev_b32 v21, 24, v21
	v_cndmask_b32_e32 v84, v151, v84, vcc_lo
	v_lshlrev_b32_e32 v22, 20, v22
	s_delay_alu instid0(VALU_DEP_3) | instskip(NEXT) | instid1(VALU_DEP_3)
	v_and_b32_e32 v21, 0x80000000, v21
	v_lshl_add_u32 v84, v84, 23, 0x3b800000
	s_delay_alu instid0(VALU_DEP_1)
	v_or3_b32 v22, v21, v84, v22
.LBB4_1793:                             ;   in Loop: Header=BB4_1561 Depth=4
	s_or_b32 exec_lo, exec_lo, s29
	s_delay_alu instid0(VALU_DEP_1) | instskip(NEXT) | instid1(VALU_DEP_1)
	v_add_f32_e32 v22, v81, v22
	v_and_b32_e32 v21, 0x7f800000, v22
	s_delay_alu instid0(VALU_DEP_1)
	v_cmp_ne_u32_e32 vcc_lo, 0x7f800000, v21
	v_mov_b32_e32 v21, 0x80
	s_and_saveexec_b32 s29, vcc_lo
	s_cbranch_execz .LBB4_1801
; %bb.1794:                             ;   in Loop: Header=BB4_1561 Depth=4
	v_mov_b32_e32 v21, 0
	s_mov_b32 s34, exec_lo
	v_cmpx_ne_u32_e32 0, v22
	s_cbranch_execz .LBB4_1800
; %bb.1795:                             ;   in Loop: Header=BB4_1561 Depth=4
	v_bfe_u32 v21, v22, 23, 8
	s_delay_alu instid0(VALU_DEP_1) | instskip(SKIP_1) | instid1(VALU_DEP_2)
	v_sub_nc_u32_e32 v84, 0x78, v21
	v_cmp_gt_u32_e32 vcc_lo, 0x79, v21
	v_dual_cndmask_b32 v84, 0, v84 :: v_dual_and_b32 v81, 0x7fffff, v22
	s_delay_alu instid0(VALU_DEP_1) | instskip(SKIP_2) | instid1(VALU_DEP_4)
	v_or_b32_e32 v148, 0x800000, v81
	v_cmp_eq_u32_e32 vcc_lo, 0, v21
	v_add_nc_u32_e32 v21, 0xffffff89, v21
	v_cndmask_b32_e64 v84, v84, 0x77, vcc_lo
	s_delay_alu instid0(VALU_DEP_4) | instskip(NEXT) | instid1(VALU_DEP_3)
	v_cndmask_b32_e32 v81, v148, v81, vcc_lo
	v_cndmask_b32_e64 v21, v21, 0xffffff8a, vcc_lo
	s_delay_alu instid0(VALU_DEP_3) | instskip(NEXT) | instid1(VALU_DEP_3)
	v_lshl_add_u32 v148, 0x100000, v84, -1
	v_lshrrev_b32_e32 v151, v84, v81
	v_lshlrev_b32_e64 v165, v84, 0x80000
	s_delay_alu instid0(VALU_DEP_4) | instskip(NEXT) | instid1(VALU_DEP_4)
	v_add_nc_u32_e32 v84, v84, v21
	v_and_b32_e32 v81, v148, v81
	s_delay_alu instid0(VALU_DEP_4) | instskip(NEXT) | instid1(VALU_DEP_2)
	v_bfe_u32 v162, v151, 20, 1
	v_cmp_eq_u32_e64 s13, v81, v165
	s_delay_alu instid0(VALU_DEP_2) | instskip(NEXT) | instid1(VALU_DEP_1)
	v_add_nc_u32_e32 v148, -1, v162
	v_cndmask_b32_e64 v81, 0, v148, s13
	v_lshrrev_b32_e32 v148, 23, v151
	s_mov_b32 s13, exec_lo
	s_delay_alu instid0(VALU_DEP_2) | instskip(NEXT) | instid1(VALU_DEP_2)
	v_add_nc_u32_e32 v81, v81, v151
	v_xor_b32_e32 v148, 1, v148
	s_delay_alu instid0(VALU_DEP_2) | instskip(NEXT) | instid1(VALU_DEP_1)
	v_and_b32_e32 v21, 0xfffff, v81
	v_add_nc_u32_e32 v81, v21, v151
                                        ; implicit-def: $vgpr21
	s_delay_alu instid0(VALU_DEP_3)
	v_cmpx_ne_u32_e64 v84, v148
	s_xor_b32 s13, exec_lo, s13
; %bb.1796:                             ;   in Loop: Header=BB4_1561 Depth=4
	s_delay_alu instid0(VALU_DEP_2) | instskip(SKIP_2) | instid1(VALU_DEP_2)
	v_cmp_lt_u32_e32 vcc_lo, 0xffffff, v81
	v_sub_nc_u32_e32 v21, v84, v148
	v_cndmask_b32_e64 v84, 0, 1, vcc_lo
	v_add_co_ci_u32_e32 v21, vcc_lo, 0, v21, vcc_lo
	s_delay_alu instid0(VALU_DEP_2)
	v_lshrrev_b32_e32 v81, v84, v81
; %bb.1797:                             ;   in Loop: Header=BB4_1561 Depth=4
	s_and_not1_saveexec_b32 s13, s13
; %bb.1798:                             ;   in Loop: Header=BB4_1561 Depth=4
	s_delay_alu instid0(VALU_DEP_1)
	v_bfe_u32 v21, v81, 23, 1
; %bb.1799:                             ;   in Loop: Header=BB4_1561 Depth=4
	s_or_b32 exec_lo, exec_lo, s13
	v_lshrrev_b32_e32 v81, 20, v81
	s_delay_alu instid0(VALU_DEP_2) | instskip(SKIP_2) | instid1(VALU_DEP_2)
	v_cmp_gt_i32_e32 vcc_lo, 16, v21
	v_lshrrev_b32_e32 v22, 24, v22
	v_min_i32_e32 v84, 15, v21
	v_dual_cndmask_b32 v81, 7, v81 :: v_dual_and_b32 v22, 0x80, v22
	s_delay_alu instid0(VALU_DEP_2) | instskip(NEXT) | instid1(VALU_DEP_2)
	v_lshlrev_b32_e32 v84, 3, v84
	v_or_b32_e32 v21, v21, v81
	s_delay_alu instid0(VALU_DEP_1) | instskip(SKIP_1) | instid1(VALU_DEP_1)
	v_cmp_ne_u32_e32 vcc_lo, 0, v21
	v_and_b32_e32 v148, 7, v81
	v_or3_b32 v22, v84, v22, v148
	s_delay_alu instid0(VALU_DEP_1)
	v_cndmask_b32_e32 v21, 0, v22, vcc_lo
.LBB4_1800:                             ;   in Loop: Header=BB4_1561 Depth=4
	s_or_b32 exec_lo, exec_lo, s34
.LBB4_1801:                             ;   in Loop: Header=BB4_1561 Depth=4
	s_delay_alu instid0(SALU_CYCLE_1) | instskip(SKIP_3) | instid1(VALU_DEP_1)
	s_or_b32 exec_lo, exec_lo, s29
	v_and_b32_e32 v81, 0xff, v19
	s_mov_b32 s13, 0
	s_mov_b32 s34, exec_lo
                                        ; implicit-def: $sgpr29
	v_cmpx_lt_i16_e32 0x7f, v81
	s_xor_b32 s34, exec_lo, s34
	s_cbranch_execnz .LBB4_1935
; %bb.1802:                             ;   in Loop: Header=BB4_1561 Depth=4
	s_or_saveexec_b32 s34, s34
	v_mov_b32_e32 v22, s29
	s_xor_b32 exec_lo, exec_lo, s34
	s_cbranch_execnz .LBB4_1938
.LBB4_1803:                             ;   in Loop: Header=BB4_1561 Depth=4
	s_or_b32 exec_lo, exec_lo, s34
	s_and_saveexec_b32 s29, s13
	s_cbranch_execz .LBB4_1805
.LBB4_1804:                             ;   in Loop: Header=BB4_1561 Depth=4
	v_lshrrev_b16 v148, 3, v19
	s_delay_alu instid0(VALU_DEP_1) | instskip(NEXT) | instid1(VALU_DEP_1)
	v_and_b32_e32 v148, 15, v148
	v_cmp_eq_u32_e32 vcc_lo, 0, v148
	v_and_b32_e32 v22, 7, v19
	s_delay_alu instid0(VALU_DEP_1) | instskip(NEXT) | instid1(VALU_DEP_1)
	v_clz_i32_u32_e32 v81, v22
	v_min_u32_e32 v81, 32, v81
	s_delay_alu instid0(VALU_DEP_1) | instskip(SKIP_1) | instid1(VALU_DEP_2)
	v_subrev_nc_u32_e32 v84, 28, v81
	v_sub_nc_u32_e32 v81, 29, v81
	v_lshlrev_b32_e32 v84, v84, v19
	s_delay_alu instid0(VALU_DEP_1) | instskip(SKIP_1) | instid1(VALU_DEP_2)
	v_dual_cndmask_b32 v81, v148, v81 :: v_dual_and_b32 v84, 7, v84
	v_lshlrev_b32_e32 v19, 24, v19
	v_lshl_add_u32 v81, v81, 23, 0x3b800000
	s_delay_alu instid0(VALU_DEP_2) | instskip(NEXT) | instid1(VALU_DEP_1)
	v_dual_cndmask_b32 v22, v22, v84 :: v_dual_and_b32 v19, 0x80000000, v19
	v_lshlrev_b32_e32 v22, 20, v22
	s_delay_alu instid0(VALU_DEP_1)
	v_or3_b32 v22, v19, v81, v22
.LBB4_1805:                             ;   in Loop: Header=BB4_1561 Depth=4
	s_or_b32 exec_lo, exec_lo, s29
	s_waitcnt vmcnt(0) lgkmcnt(0)
	v_and_b32_e32 v81, 0xff, v18
	s_mov_b32 s13, 0
	s_mov_b32 s34, exec_lo
                                        ; implicit-def: $sgpr29
	s_delay_alu instid0(VALU_DEP_1)
	v_cmpx_lt_i16_e32 0x7f, v81
	s_xor_b32 s34, exec_lo, s34
	s_cbranch_execnz .LBB4_1939
; %bb.1806:                             ;   in Loop: Header=BB4_1561 Depth=4
	s_or_saveexec_b32 s34, s34
	v_mov_b32_e32 v19, s29
	s_xor_b32 exec_lo, exec_lo, s34
	s_cbranch_execnz .LBB4_1942
.LBB4_1807:                             ;   in Loop: Header=BB4_1561 Depth=4
	s_or_b32 exec_lo, exec_lo, s34
	s_and_saveexec_b32 s29, s13
	s_cbranch_execz .LBB4_1809
.LBB4_1808:                             ;   in Loop: Header=BB4_1561 Depth=4
	v_and_b32_e32 v19, 7, v18
	v_lshrrev_b16 v148, 3, v18
	s_delay_alu instid0(VALU_DEP_2) | instskip(NEXT) | instid1(VALU_DEP_2)
	v_clz_i32_u32_e32 v81, v19
	v_and_b32_e32 v148, 15, v148
	s_delay_alu instid0(VALU_DEP_2) | instskip(NEXT) | instid1(VALU_DEP_2)
	v_min_u32_e32 v81, 32, v81
	v_cmp_eq_u32_e32 vcc_lo, 0, v148
	s_delay_alu instid0(VALU_DEP_2) | instskip(SKIP_1) | instid1(VALU_DEP_2)
	v_subrev_nc_u32_e32 v84, 28, v81
	v_sub_nc_u32_e32 v81, 29, v81
	v_lshlrev_b32_e32 v84, v84, v18
	s_delay_alu instid0(VALU_DEP_1) | instskip(SKIP_1) | instid1(VALU_DEP_2)
	v_dual_cndmask_b32 v81, v148, v81 :: v_dual_and_b32 v84, 7, v84
	v_lshlrev_b32_e32 v18, 24, v18
	v_lshl_add_u32 v81, v81, 23, 0x3b800000
	s_delay_alu instid0(VALU_DEP_2) | instskip(NEXT) | instid1(VALU_DEP_1)
	v_dual_cndmask_b32 v19, v19, v84 :: v_dual_and_b32 v18, 0x80000000, v18
	v_lshlrev_b32_e32 v19, 20, v19
	s_delay_alu instid0(VALU_DEP_1)
	v_or3_b32 v19, v18, v81, v19
.LBB4_1809:                             ;   in Loop: Header=BB4_1561 Depth=4
	s_or_b32 exec_lo, exec_lo, s29
	s_delay_alu instid0(VALU_DEP_1) | instskip(NEXT) | instid1(VALU_DEP_1)
	v_add_f32_e32 v19, v22, v19
	v_and_b32_e32 v18, 0x7f800000, v19
	s_delay_alu instid0(VALU_DEP_1)
	v_cmp_ne_u32_e32 vcc_lo, 0x7f800000, v18
	v_mov_b32_e32 v18, 0x80
	s_and_saveexec_b32 s29, vcc_lo
	s_cbranch_execz .LBB4_1560
; %bb.1810:                             ;   in Loop: Header=BB4_1561 Depth=4
	v_mov_b32_e32 v18, 0
	s_mov_b32 s34, exec_lo
	v_cmpx_ne_u32_e32 0, v19
	s_cbranch_execz .LBB4_1559
; %bb.1811:                             ;   in Loop: Header=BB4_1561 Depth=4
	v_bfe_u32 v18, v19, 23, 8
	s_delay_alu instid0(VALU_DEP_1) | instskip(SKIP_1) | instid1(VALU_DEP_2)
	v_sub_nc_u32_e32 v81, 0x78, v18
	v_cmp_gt_u32_e32 vcc_lo, 0x79, v18
	v_dual_cndmask_b32 v81, 0, v81 :: v_dual_and_b32 v22, 0x7fffff, v19
	s_delay_alu instid0(VALU_DEP_1) | instskip(SKIP_2) | instid1(VALU_DEP_4)
	v_or_b32_e32 v84, 0x800000, v22
	v_cmp_eq_u32_e32 vcc_lo, 0, v18
	v_add_nc_u32_e32 v18, 0xffffff89, v18
	v_cndmask_b32_e64 v81, v81, 0x77, vcc_lo
	s_delay_alu instid0(VALU_DEP_4) | instskip(NEXT) | instid1(VALU_DEP_3)
	v_cndmask_b32_e32 v22, v84, v22, vcc_lo
	v_cndmask_b32_e64 v18, v18, 0xffffff8a, vcc_lo
	s_delay_alu instid0(VALU_DEP_3) | instskip(NEXT) | instid1(VALU_DEP_3)
	v_lshl_add_u32 v84, 0x100000, v81, -1
	v_lshrrev_b32_e32 v148, v81, v22
	v_lshlrev_b32_e64 v162, v81, 0x80000
	s_delay_alu instid0(VALU_DEP_4) | instskip(NEXT) | instid1(VALU_DEP_4)
	v_add_nc_u32_e32 v81, v81, v18
	v_and_b32_e32 v22, v84, v22
	s_delay_alu instid0(VALU_DEP_4) | instskip(NEXT) | instid1(VALU_DEP_2)
	v_bfe_u32 v151, v148, 20, 1
	v_cmp_eq_u32_e64 s13, v22, v162
	s_delay_alu instid0(VALU_DEP_2) | instskip(NEXT) | instid1(VALU_DEP_1)
	v_add_nc_u32_e32 v84, -1, v151
	v_cndmask_b32_e64 v22, 0, v84, s13
	v_lshrrev_b32_e32 v84, 23, v148
	s_mov_b32 s13, exec_lo
	s_delay_alu instid0(VALU_DEP_2) | instskip(NEXT) | instid1(VALU_DEP_2)
	v_add_nc_u32_e32 v22, v22, v148
	v_xor_b32_e32 v84, 1, v84
	s_delay_alu instid0(VALU_DEP_2) | instskip(NEXT) | instid1(VALU_DEP_1)
	v_and_b32_e32 v18, 0xfffff, v22
	v_add_nc_u32_e32 v22, v18, v148
                                        ; implicit-def: $vgpr18
	s_delay_alu instid0(VALU_DEP_3)
	v_cmpx_ne_u32_e64 v81, v84
	s_xor_b32 s13, exec_lo, s13
; %bb.1812:                             ;   in Loop: Header=BB4_1561 Depth=4
	s_delay_alu instid0(VALU_DEP_2) | instskip(SKIP_2) | instid1(VALU_DEP_2)
	v_cmp_lt_u32_e32 vcc_lo, 0xffffff, v22
	v_sub_nc_u32_e32 v18, v81, v84
	v_cndmask_b32_e64 v81, 0, 1, vcc_lo
	v_add_co_ci_u32_e32 v18, vcc_lo, 0, v18, vcc_lo
	s_delay_alu instid0(VALU_DEP_2)
	v_lshrrev_b32_e32 v22, v81, v22
; %bb.1813:                             ;   in Loop: Header=BB4_1561 Depth=4
	s_and_not1_saveexec_b32 s13, s13
	s_cbranch_execz .LBB4_1558
; %bb.1814:                             ;   in Loop: Header=BB4_1561 Depth=4
	s_delay_alu instid0(VALU_DEP_1)
	v_bfe_u32 v18, v22, 23, 1
	s_branch .LBB4_1558
.LBB4_1815:                             ;   in Loop: Header=BB4_1561 Depth=4
	s_mov_b32 s13, -1
	s_mov_b32 s35, exec_lo
                                        ; implicit-def: $sgpr29
	v_cmpx_eq_u16_e64 0x80, v183
; %bb.1816:                             ;   in Loop: Header=BB4_1561 Depth=4
	s_mov_b32 s29, 0x7f800001
	s_xor_b32 s13, exec_lo, -1
; %bb.1817:                             ;   in Loop: Header=BB4_1561 Depth=4
	s_or_b32 exec_lo, exec_lo, s35
	s_delay_alu instid0(SALU_CYCLE_1)
	s_and_b32 s13, s13, exec_lo
	s_or_saveexec_b32 s34, s34
	v_mov_b32_e32 v182, s29
	s_xor_b32 exec_lo, exec_lo, s34
	s_cbranch_execz .LBB4_1563
.LBB4_1818:                             ;   in Loop: Header=BB4_1561 Depth=4
	v_cmp_ne_u16_e64 vcc_lo, 0, v183
	v_mov_b32_e32 v182, 0
	s_and_not1_b32 s13, s13, exec_lo
	s_delay_alu instid0(VALU_DEP_2) | instskip(NEXT) | instid1(SALU_CYCLE_1)
	s_and_b32 s29, vcc_lo, exec_lo
	s_or_b32 s13, s13, s29
	s_or_b32 exec_lo, exec_lo, s34
	s_and_saveexec_b32 s29, s13
	s_cbranch_execnz .LBB4_1564
	s_branch .LBB4_1565
.LBB4_1819:                             ;   in Loop: Header=BB4_1561 Depth=4
	s_mov_b32 s13, -1
	s_mov_b32 s35, exec_lo
                                        ; implicit-def: $sgpr29
	v_cmpx_eq_u16_e32 0x80, v40
; %bb.1820:                             ;   in Loop: Header=BB4_1561 Depth=4
	s_mov_b32 s29, 0x7f800001
	s_xor_b32 s13, exec_lo, -1
; %bb.1821:                             ;   in Loop: Header=BB4_1561 Depth=4
	s_or_b32 exec_lo, exec_lo, s35
	s_delay_alu instid0(SALU_CYCLE_1)
	s_and_b32 s13, s13, exec_lo
                                        ; implicit-def: $vgpr40
	s_or_saveexec_b32 s34, s34
	v_mov_b32_e32 v183, s29
	s_xor_b32 exec_lo, exec_lo, s34
	s_cbranch_execz .LBB4_1567
.LBB4_1822:                             ;   in Loop: Header=BB4_1561 Depth=4
	v_cmp_ne_u16_e32 vcc_lo, 0, v40
	v_mov_b32_e32 v183, 0
	s_and_not1_b32 s13, s13, exec_lo
	s_and_b32 s29, vcc_lo, exec_lo
	s_delay_alu instid0(SALU_CYCLE_1)
	s_or_b32 s13, s13, s29
	s_or_b32 exec_lo, exec_lo, s34
	s_and_saveexec_b32 s29, s13
	s_cbranch_execnz .LBB4_1568
	s_branch .LBB4_1569
.LBB4_1823:                             ;   in Loop: Header=BB4_1561 Depth=4
	s_mov_b32 s13, -1
	s_mov_b32 s35, exec_lo
                                        ; implicit-def: $sgpr29
	v_cmpx_eq_u16_e64 0x80, v183
; %bb.1824:                             ;   in Loop: Header=BB4_1561 Depth=4
	s_mov_b32 s29, 0x7f800001
	s_xor_b32 s13, exec_lo, -1
; %bb.1825:                             ;   in Loop: Header=BB4_1561 Depth=4
	s_or_b32 exec_lo, exec_lo, s35
	s_delay_alu instid0(SALU_CYCLE_1)
	s_and_b32 s13, s13, exec_lo
                                        ; implicit-def: $vgpr183
	s_or_saveexec_b32 s34, s34
	v_mov_b32_e32 v182, s29
	s_xor_b32 exec_lo, exec_lo, s34
	s_cbranch_execz .LBB4_1579
.LBB4_1826:                             ;   in Loop: Header=BB4_1561 Depth=4
	v_cmp_ne_u16_e64 vcc_lo, 0, v183
	v_mov_b32_e32 v182, 0
	s_and_not1_b32 s13, s13, exec_lo
	s_delay_alu instid0(VALU_DEP_2) | instskip(NEXT) | instid1(SALU_CYCLE_1)
	s_and_b32 s29, vcc_lo, exec_lo
	s_or_b32 s13, s13, s29
	s_or_b32 exec_lo, exec_lo, s34
	s_and_saveexec_b32 s29, s13
	s_cbranch_execnz .LBB4_1580
	s_branch .LBB4_1581
.LBB4_1827:                             ;   in Loop: Header=BB4_1561 Depth=4
	s_mov_b32 s13, -1
	s_mov_b32 s35, exec_lo
                                        ; implicit-def: $sgpr29
	v_cmpx_eq_u16_e64 0x80, v183
; %bb.1828:                             ;   in Loop: Header=BB4_1561 Depth=4
	s_mov_b32 s29, 0x7f800001
	s_xor_b32 s13, exec_lo, -1
; %bb.1829:                             ;   in Loop: Header=BB4_1561 Depth=4
	s_or_b32 exec_lo, exec_lo, s35
	s_delay_alu instid0(SALU_CYCLE_1)
	s_and_b32 s13, s13, exec_lo
                                        ; implicit-def: $vgpr183
	s_or_saveexec_b32 s34, s34
	v_mov_b32_e32 v181, s29
	s_xor_b32 exec_lo, exec_lo, s34
	s_cbranch_execz .LBB4_1583
.LBB4_1830:                             ;   in Loop: Header=BB4_1561 Depth=4
	v_cmp_ne_u16_e64 vcc_lo, 0, v183
	v_mov_b32_e32 v181, 0
	s_and_not1_b32 s13, s13, exec_lo
	s_delay_alu instid0(VALU_DEP_2) | instskip(NEXT) | instid1(SALU_CYCLE_1)
	s_and_b32 s29, vcc_lo, exec_lo
	s_or_b32 s13, s13, s29
	s_or_b32 exec_lo, exec_lo, s34
	s_and_saveexec_b32 s29, s13
	s_cbranch_execnz .LBB4_1584
	s_branch .LBB4_1585
.LBB4_1831:                             ;   in Loop: Header=BB4_1561 Depth=4
	s_mov_b32 s13, -1
	s_mov_b32 s35, exec_lo
                                        ; implicit-def: $sgpr29
	v_cmpx_eq_u16_e64 0x80, v182
; %bb.1832:                             ;   in Loop: Header=BB4_1561 Depth=4
	s_mov_b32 s29, 0x7f800001
	s_xor_b32 s13, exec_lo, -1
; %bb.1833:                             ;   in Loop: Header=BB4_1561 Depth=4
	s_or_b32 exec_lo, exec_lo, s35
	s_delay_alu instid0(SALU_CYCLE_1)
	s_and_b32 s13, s13, exec_lo
                                        ; implicit-def: $vgpr182
	s_or_saveexec_b32 s34, s34
	v_mov_b32_e32 v181, s29
	s_xor_b32 exec_lo, exec_lo, s34
	s_cbranch_execz .LBB4_1595
.LBB4_1834:                             ;   in Loop: Header=BB4_1561 Depth=4
	v_cmp_ne_u16_e64 vcc_lo, 0, v182
	v_mov_b32_e32 v181, 0
	s_and_not1_b32 s13, s13, exec_lo
	s_delay_alu instid0(VALU_DEP_2) | instskip(NEXT) | instid1(SALU_CYCLE_1)
	s_and_b32 s29, vcc_lo, exec_lo
	s_or_b32 s13, s13, s29
	s_or_b32 exec_lo, exec_lo, s34
	s_and_saveexec_b32 s29, s13
	s_cbranch_execnz .LBB4_1596
	s_branch .LBB4_1597
.LBB4_1835:                             ;   in Loop: Header=BB4_1561 Depth=4
	s_mov_b32 s13, -1
	s_mov_b32 s35, exec_lo
                                        ; implicit-def: $sgpr29
	v_cmpx_eq_u16_e64 0x80, v182
; %bb.1836:                             ;   in Loop: Header=BB4_1561 Depth=4
	s_mov_b32 s29, 0x7f800001
	s_xor_b32 s13, exec_lo, -1
; %bb.1837:                             ;   in Loop: Header=BB4_1561 Depth=4
	s_or_b32 exec_lo, exec_lo, s35
	s_delay_alu instid0(SALU_CYCLE_1)
	s_and_b32 s13, s13, exec_lo
                                        ; implicit-def: $vgpr182
	s_or_saveexec_b32 s34, s34
	v_mov_b32_e32 v180, s29
	s_xor_b32 exec_lo, exec_lo, s34
	s_cbranch_execz .LBB4_1599
.LBB4_1838:                             ;   in Loop: Header=BB4_1561 Depth=4
	v_cmp_ne_u16_e64 vcc_lo, 0, v182
	v_mov_b32_e32 v180, 0
	s_and_not1_b32 s13, s13, exec_lo
	s_delay_alu instid0(VALU_DEP_2) | instskip(NEXT) | instid1(SALU_CYCLE_1)
	s_and_b32 s29, vcc_lo, exec_lo
	s_or_b32 s13, s13, s29
	s_or_b32 exec_lo, exec_lo, s34
	s_and_saveexec_b32 s29, s13
	s_cbranch_execnz .LBB4_1600
	s_branch .LBB4_1601
.LBB4_1839:                             ;   in Loop: Header=BB4_1561 Depth=4
	s_mov_b32 s13, -1
	s_mov_b32 s35, exec_lo
                                        ; implicit-def: $sgpr29
	v_cmpx_eq_u16_e64 0x80, v181
; %bb.1840:                             ;   in Loop: Header=BB4_1561 Depth=4
	s_mov_b32 s29, 0x7f800001
	s_xor_b32 s13, exec_lo, -1
; %bb.1841:                             ;   in Loop: Header=BB4_1561 Depth=4
	s_or_b32 exec_lo, exec_lo, s35
	s_delay_alu instid0(SALU_CYCLE_1)
	s_and_b32 s13, s13, exec_lo
                                        ; implicit-def: $vgpr181
	s_or_saveexec_b32 s34, s34
	v_mov_b32_e32 v180, s29
	s_xor_b32 exec_lo, exec_lo, s34
	s_cbranch_execz .LBB4_1611
.LBB4_1842:                             ;   in Loop: Header=BB4_1561 Depth=4
	v_cmp_ne_u16_e64 vcc_lo, 0, v181
	v_mov_b32_e32 v180, 0
	s_and_not1_b32 s13, s13, exec_lo
	s_delay_alu instid0(VALU_DEP_2) | instskip(NEXT) | instid1(SALU_CYCLE_1)
	s_and_b32 s29, vcc_lo, exec_lo
	s_or_b32 s13, s13, s29
	s_or_b32 exec_lo, exec_lo, s34
	s_and_saveexec_b32 s29, s13
	s_cbranch_execnz .LBB4_1612
	s_branch .LBB4_1613
.LBB4_1843:                             ;   in Loop: Header=BB4_1561 Depth=4
	s_mov_b32 s13, -1
	s_mov_b32 s35, exec_lo
                                        ; implicit-def: $sgpr29
	v_cmpx_eq_u16_e64 0x80, v181
; %bb.1844:                             ;   in Loop: Header=BB4_1561 Depth=4
	s_mov_b32 s29, 0x7f800001
	s_xor_b32 s13, exec_lo, -1
; %bb.1845:                             ;   in Loop: Header=BB4_1561 Depth=4
	s_or_b32 exec_lo, exec_lo, s35
	s_delay_alu instid0(SALU_CYCLE_1)
	s_and_b32 s13, s13, exec_lo
                                        ; implicit-def: $vgpr181
	s_or_saveexec_b32 s34, s34
	v_mov_b32_e32 v179, s29
	s_xor_b32 exec_lo, exec_lo, s34
	s_cbranch_execz .LBB4_1615
.LBB4_1846:                             ;   in Loop: Header=BB4_1561 Depth=4
	v_cmp_ne_u16_e64 vcc_lo, 0, v181
	v_mov_b32_e32 v179, 0
	s_and_not1_b32 s13, s13, exec_lo
	s_delay_alu instid0(VALU_DEP_2) | instskip(NEXT) | instid1(SALU_CYCLE_1)
	s_and_b32 s29, vcc_lo, exec_lo
	s_or_b32 s13, s13, s29
	s_or_b32 exec_lo, exec_lo, s34
	s_and_saveexec_b32 s29, s13
	s_cbranch_execnz .LBB4_1616
	s_branch .LBB4_1617
.LBB4_1847:                             ;   in Loop: Header=BB4_1561 Depth=4
	s_mov_b32 s13, -1
	s_mov_b32 s35, exec_lo
                                        ; implicit-def: $sgpr29
	v_cmpx_eq_u16_e64 0x80, v180
; %bb.1848:                             ;   in Loop: Header=BB4_1561 Depth=4
	s_mov_b32 s29, 0x7f800001
	s_xor_b32 s13, exec_lo, -1
; %bb.1849:                             ;   in Loop: Header=BB4_1561 Depth=4
	s_or_b32 exec_lo, exec_lo, s35
	s_delay_alu instid0(SALU_CYCLE_1)
	s_and_b32 s13, s13, exec_lo
                                        ; implicit-def: $vgpr180
	s_or_saveexec_b32 s34, s34
	v_mov_b32_e32 v179, s29
	s_xor_b32 exec_lo, exec_lo, s34
	s_cbranch_execz .LBB4_1627
.LBB4_1850:                             ;   in Loop: Header=BB4_1561 Depth=4
	v_cmp_ne_u16_e64 vcc_lo, 0, v180
	v_mov_b32_e32 v179, 0
	s_and_not1_b32 s13, s13, exec_lo
	s_delay_alu instid0(VALU_DEP_2) | instskip(NEXT) | instid1(SALU_CYCLE_1)
	s_and_b32 s29, vcc_lo, exec_lo
	s_or_b32 s13, s13, s29
	s_or_b32 exec_lo, exec_lo, s34
	s_and_saveexec_b32 s29, s13
	s_cbranch_execnz .LBB4_1628
	s_branch .LBB4_1629
.LBB4_1851:                             ;   in Loop: Header=BB4_1561 Depth=4
	s_mov_b32 s13, -1
	s_mov_b32 s35, exec_lo
                                        ; implicit-def: $sgpr29
	v_cmpx_eq_u16_e64 0x80, v180
; %bb.1852:                             ;   in Loop: Header=BB4_1561 Depth=4
	s_mov_b32 s29, 0x7f800001
	s_xor_b32 s13, exec_lo, -1
; %bb.1853:                             ;   in Loop: Header=BB4_1561 Depth=4
	s_or_b32 exec_lo, exec_lo, s35
	s_delay_alu instid0(SALU_CYCLE_1)
	s_and_b32 s13, s13, exec_lo
                                        ; implicit-def: $vgpr180
	s_or_saveexec_b32 s34, s34
	v_mov_b32_e32 v178, s29
	s_xor_b32 exec_lo, exec_lo, s34
	s_cbranch_execz .LBB4_1631
.LBB4_1854:                             ;   in Loop: Header=BB4_1561 Depth=4
	v_cmp_ne_u16_e64 vcc_lo, 0, v180
	v_mov_b32_e32 v178, 0
	s_and_not1_b32 s13, s13, exec_lo
	s_delay_alu instid0(VALU_DEP_2) | instskip(NEXT) | instid1(SALU_CYCLE_1)
	s_and_b32 s29, vcc_lo, exec_lo
	s_or_b32 s13, s13, s29
	s_or_b32 exec_lo, exec_lo, s34
	s_and_saveexec_b32 s29, s13
	s_cbranch_execnz .LBB4_1632
	s_branch .LBB4_1633
.LBB4_1855:                             ;   in Loop: Header=BB4_1561 Depth=4
	s_mov_b32 s13, -1
	s_mov_b32 s35, exec_lo
                                        ; implicit-def: $sgpr29
	v_cmpx_eq_u16_e64 0x80, v179
; %bb.1856:                             ;   in Loop: Header=BB4_1561 Depth=4
	s_mov_b32 s29, 0x7f800001
	s_xor_b32 s13, exec_lo, -1
; %bb.1857:                             ;   in Loop: Header=BB4_1561 Depth=4
	s_or_b32 exec_lo, exec_lo, s35
	s_delay_alu instid0(SALU_CYCLE_1)
	s_and_b32 s13, s13, exec_lo
                                        ; implicit-def: $vgpr179
	s_or_saveexec_b32 s34, s34
	v_mov_b32_e32 v178, s29
	s_xor_b32 exec_lo, exec_lo, s34
	s_cbranch_execz .LBB4_1643
.LBB4_1858:                             ;   in Loop: Header=BB4_1561 Depth=4
	v_cmp_ne_u16_e64 vcc_lo, 0, v179
	v_mov_b32_e32 v178, 0
	s_and_not1_b32 s13, s13, exec_lo
	s_delay_alu instid0(VALU_DEP_2) | instskip(NEXT) | instid1(SALU_CYCLE_1)
	s_and_b32 s29, vcc_lo, exec_lo
	s_or_b32 s13, s13, s29
	s_or_b32 exec_lo, exec_lo, s34
	s_and_saveexec_b32 s29, s13
	s_cbranch_execnz .LBB4_1644
	s_branch .LBB4_1645
.LBB4_1859:                             ;   in Loop: Header=BB4_1561 Depth=4
	s_mov_b32 s13, -1
	s_mov_b32 s35, exec_lo
                                        ; implicit-def: $sgpr29
	v_cmpx_eq_u16_e64 0x80, v179
; %bb.1860:                             ;   in Loop: Header=BB4_1561 Depth=4
	s_mov_b32 s29, 0x7f800001
	s_xor_b32 s13, exec_lo, -1
; %bb.1861:                             ;   in Loop: Header=BB4_1561 Depth=4
	s_or_b32 exec_lo, exec_lo, s35
	s_delay_alu instid0(SALU_CYCLE_1)
	s_and_b32 s13, s13, exec_lo
                                        ; implicit-def: $vgpr179
	s_or_saveexec_b32 s34, s34
	v_mov_b32_e32 v177, s29
	s_xor_b32 exec_lo, exec_lo, s34
	s_cbranch_execz .LBB4_1647
.LBB4_1862:                             ;   in Loop: Header=BB4_1561 Depth=4
	v_cmp_ne_u16_e64 vcc_lo, 0, v179
	v_mov_b32_e32 v177, 0
	s_and_not1_b32 s13, s13, exec_lo
	s_delay_alu instid0(VALU_DEP_2) | instskip(NEXT) | instid1(SALU_CYCLE_1)
	s_and_b32 s29, vcc_lo, exec_lo
	s_or_b32 s13, s13, s29
	s_or_b32 exec_lo, exec_lo, s34
	s_and_saveexec_b32 s29, s13
	s_cbranch_execnz .LBB4_1648
	s_branch .LBB4_1649
.LBB4_1863:                             ;   in Loop: Header=BB4_1561 Depth=4
	s_mov_b32 s13, -1
	s_mov_b32 s35, exec_lo
                                        ; implicit-def: $sgpr29
	v_cmpx_eq_u16_e64 0x80, v178
; %bb.1864:                             ;   in Loop: Header=BB4_1561 Depth=4
	s_mov_b32 s29, 0x7f800001
	s_xor_b32 s13, exec_lo, -1
; %bb.1865:                             ;   in Loop: Header=BB4_1561 Depth=4
	s_or_b32 exec_lo, exec_lo, s35
	s_delay_alu instid0(SALU_CYCLE_1)
	s_and_b32 s13, s13, exec_lo
                                        ; implicit-def: $vgpr178
	s_or_saveexec_b32 s34, s34
	v_mov_b32_e32 v177, s29
	s_xor_b32 exec_lo, exec_lo, s34
	s_cbranch_execz .LBB4_1659
.LBB4_1866:                             ;   in Loop: Header=BB4_1561 Depth=4
	v_cmp_ne_u16_e64 vcc_lo, 0, v178
	v_mov_b32_e32 v177, 0
	s_and_not1_b32 s13, s13, exec_lo
	s_delay_alu instid0(VALU_DEP_2) | instskip(NEXT) | instid1(SALU_CYCLE_1)
	s_and_b32 s29, vcc_lo, exec_lo
	s_or_b32 s13, s13, s29
	s_or_b32 exec_lo, exec_lo, s34
	s_and_saveexec_b32 s29, s13
	s_cbranch_execnz .LBB4_1660
	s_branch .LBB4_1661
.LBB4_1867:                             ;   in Loop: Header=BB4_1561 Depth=4
	s_mov_b32 s13, -1
	s_mov_b32 s35, exec_lo
                                        ; implicit-def: $sgpr29
	v_cmpx_eq_u16_e64 0x80, v178
; %bb.1868:                             ;   in Loop: Header=BB4_1561 Depth=4
	s_mov_b32 s29, 0x7f800001
	s_xor_b32 s13, exec_lo, -1
; %bb.1869:                             ;   in Loop: Header=BB4_1561 Depth=4
	s_or_b32 exec_lo, exec_lo, s35
	s_delay_alu instid0(SALU_CYCLE_1)
	s_and_b32 s13, s13, exec_lo
                                        ; implicit-def: $vgpr178
	s_or_saveexec_b32 s34, s34
	v_mov_b32_e32 v176, s29
	s_xor_b32 exec_lo, exec_lo, s34
	s_cbranch_execz .LBB4_1663
.LBB4_1870:                             ;   in Loop: Header=BB4_1561 Depth=4
	v_cmp_ne_u16_e64 vcc_lo, 0, v178
	v_mov_b32_e32 v176, 0
	s_and_not1_b32 s13, s13, exec_lo
	s_delay_alu instid0(VALU_DEP_2) | instskip(NEXT) | instid1(SALU_CYCLE_1)
	s_and_b32 s29, vcc_lo, exec_lo
	s_or_b32 s13, s13, s29
	s_or_b32 exec_lo, exec_lo, s34
	s_and_saveexec_b32 s29, s13
	s_cbranch_execnz .LBB4_1664
	s_branch .LBB4_1665
.LBB4_1871:                             ;   in Loop: Header=BB4_1561 Depth=4
	s_mov_b32 s13, -1
	s_mov_b32 s35, exec_lo
                                        ; implicit-def: $sgpr29
	v_cmpx_eq_u16_e64 0x80, v177
; %bb.1872:                             ;   in Loop: Header=BB4_1561 Depth=4
	s_mov_b32 s29, 0x7f800001
	s_xor_b32 s13, exec_lo, -1
; %bb.1873:                             ;   in Loop: Header=BB4_1561 Depth=4
	s_or_b32 exec_lo, exec_lo, s35
	s_delay_alu instid0(SALU_CYCLE_1)
	s_and_b32 s13, s13, exec_lo
                                        ; implicit-def: $vgpr177
	s_or_saveexec_b32 s34, s34
	v_mov_b32_e32 v176, s29
	s_xor_b32 exec_lo, exec_lo, s34
	s_cbranch_execz .LBB4_1675
.LBB4_1874:                             ;   in Loop: Header=BB4_1561 Depth=4
	v_cmp_ne_u16_e64 vcc_lo, 0, v177
	v_mov_b32_e32 v176, 0
	s_and_not1_b32 s13, s13, exec_lo
	s_delay_alu instid0(VALU_DEP_2) | instskip(NEXT) | instid1(SALU_CYCLE_1)
	s_and_b32 s29, vcc_lo, exec_lo
	s_or_b32 s13, s13, s29
	s_or_b32 exec_lo, exec_lo, s34
	s_and_saveexec_b32 s29, s13
	s_cbranch_execnz .LBB4_1676
	s_branch .LBB4_1677
.LBB4_1875:                             ;   in Loop: Header=BB4_1561 Depth=4
	s_mov_b32 s13, -1
	s_mov_b32 s35, exec_lo
                                        ; implicit-def: $sgpr29
	v_cmpx_eq_u16_e64 0x80, v177
; %bb.1876:                             ;   in Loop: Header=BB4_1561 Depth=4
	s_mov_b32 s29, 0x7f800001
	s_xor_b32 s13, exec_lo, -1
; %bb.1877:                             ;   in Loop: Header=BB4_1561 Depth=4
	s_or_b32 exec_lo, exec_lo, s35
	s_delay_alu instid0(SALU_CYCLE_1)
	s_and_b32 s13, s13, exec_lo
                                        ; implicit-def: $vgpr177
	s_or_saveexec_b32 s34, s34
	v_mov_b32_e32 v167, s29
	s_xor_b32 exec_lo, exec_lo, s34
	s_cbranch_execz .LBB4_1679
.LBB4_1878:                             ;   in Loop: Header=BB4_1561 Depth=4
	v_cmp_ne_u16_e64 vcc_lo, 0, v177
	v_mov_b32_e32 v167, 0
	s_and_not1_b32 s13, s13, exec_lo
	s_delay_alu instid0(VALU_DEP_2) | instskip(NEXT) | instid1(SALU_CYCLE_1)
	s_and_b32 s29, vcc_lo, exec_lo
	s_or_b32 s13, s13, s29
	s_or_b32 exec_lo, exec_lo, s34
	s_and_saveexec_b32 s29, s13
	s_cbranch_execnz .LBB4_1680
	s_branch .LBB4_1681
.LBB4_1879:                             ;   in Loop: Header=BB4_1561 Depth=4
	s_mov_b32 s13, -1
	s_mov_b32 s35, exec_lo
                                        ; implicit-def: $sgpr29
	v_cmpx_eq_u16_e64 0x80, v176
; %bb.1880:                             ;   in Loop: Header=BB4_1561 Depth=4
	s_mov_b32 s29, 0x7f800001
	s_xor_b32 s13, exec_lo, -1
; %bb.1881:                             ;   in Loop: Header=BB4_1561 Depth=4
	s_or_b32 exec_lo, exec_lo, s35
	s_delay_alu instid0(SALU_CYCLE_1)
	s_and_b32 s13, s13, exec_lo
                                        ; implicit-def: $vgpr176
	s_or_saveexec_b32 s34, s34
	v_mov_b32_e32 v167, s29
	s_xor_b32 exec_lo, exec_lo, s34
	s_cbranch_execz .LBB4_1691
.LBB4_1882:                             ;   in Loop: Header=BB4_1561 Depth=4
	v_cmp_ne_u16_e64 vcc_lo, 0, v176
	v_mov_b32_e32 v167, 0
	s_and_not1_b32 s13, s13, exec_lo
	s_delay_alu instid0(VALU_DEP_2) | instskip(NEXT) | instid1(SALU_CYCLE_1)
	s_and_b32 s29, vcc_lo, exec_lo
	s_or_b32 s13, s13, s29
	s_or_b32 exec_lo, exec_lo, s34
	s_and_saveexec_b32 s29, s13
	s_cbranch_execnz .LBB4_1692
	s_branch .LBB4_1693
.LBB4_1883:                             ;   in Loop: Header=BB4_1561 Depth=4
	s_mov_b32 s13, -1
	s_mov_b32 s35, exec_lo
                                        ; implicit-def: $sgpr29
	v_cmpx_eq_u16_e64 0x80, v176
; %bb.1884:                             ;   in Loop: Header=BB4_1561 Depth=4
	s_mov_b32 s29, 0x7f800001
	s_xor_b32 s13, exec_lo, -1
; %bb.1885:                             ;   in Loop: Header=BB4_1561 Depth=4
	s_or_b32 exec_lo, exec_lo, s35
	s_delay_alu instid0(SALU_CYCLE_1)
	s_and_b32 s13, s13, exec_lo
                                        ; implicit-def: $vgpr176
	s_or_saveexec_b32 s34, s34
	v_mov_b32_e32 v165, s29
	s_xor_b32 exec_lo, exec_lo, s34
	s_cbranch_execz .LBB4_1695
.LBB4_1886:                             ;   in Loop: Header=BB4_1561 Depth=4
	v_cmp_ne_u16_e64 vcc_lo, 0, v176
	v_mov_b32_e32 v165, 0
	s_and_not1_b32 s13, s13, exec_lo
	s_delay_alu instid0(VALU_DEP_2) | instskip(NEXT) | instid1(SALU_CYCLE_1)
	s_and_b32 s29, vcc_lo, exec_lo
	s_or_b32 s13, s13, s29
	s_or_b32 exec_lo, exec_lo, s34
	s_and_saveexec_b32 s29, s13
	s_cbranch_execnz .LBB4_1696
	s_branch .LBB4_1697
.LBB4_1887:                             ;   in Loop: Header=BB4_1561 Depth=4
	s_mov_b32 s13, -1
	s_mov_b32 s35, exec_lo
                                        ; implicit-def: $sgpr29
	v_cmpx_eq_u16_e64 0x80, v167
; %bb.1888:                             ;   in Loop: Header=BB4_1561 Depth=4
	s_mov_b32 s29, 0x7f800001
	s_xor_b32 s13, exec_lo, -1
; %bb.1889:                             ;   in Loop: Header=BB4_1561 Depth=4
	s_or_b32 exec_lo, exec_lo, s35
	s_delay_alu instid0(SALU_CYCLE_1)
	s_and_b32 s13, s13, exec_lo
                                        ; implicit-def: $vgpr167
	s_or_saveexec_b32 s34, s34
	v_mov_b32_e32 v165, s29
	s_xor_b32 exec_lo, exec_lo, s34
	s_cbranch_execz .LBB4_1707
.LBB4_1890:                             ;   in Loop: Header=BB4_1561 Depth=4
	v_cmp_ne_u16_e64 vcc_lo, 0, v167
	v_mov_b32_e32 v165, 0
	s_and_not1_b32 s13, s13, exec_lo
	s_delay_alu instid0(VALU_DEP_2) | instskip(NEXT) | instid1(SALU_CYCLE_1)
	s_and_b32 s29, vcc_lo, exec_lo
	s_or_b32 s13, s13, s29
	s_or_b32 exec_lo, exec_lo, s34
	s_and_saveexec_b32 s29, s13
	s_cbranch_execnz .LBB4_1708
	s_branch .LBB4_1709
.LBB4_1891:                             ;   in Loop: Header=BB4_1561 Depth=4
	s_mov_b32 s13, -1
	s_mov_b32 s35, exec_lo
                                        ; implicit-def: $sgpr29
	v_cmpx_eq_u16_e64 0x80, v167
; %bb.1892:                             ;   in Loop: Header=BB4_1561 Depth=4
	s_mov_b32 s29, 0x7f800001
	s_xor_b32 s13, exec_lo, -1
; %bb.1893:                             ;   in Loop: Header=BB4_1561 Depth=4
	s_or_b32 exec_lo, exec_lo, s35
	s_delay_alu instid0(SALU_CYCLE_1)
	s_and_b32 s13, s13, exec_lo
                                        ; implicit-def: $vgpr167
	s_or_saveexec_b32 s34, s34
	v_mov_b32_e32 v162, s29
	s_xor_b32 exec_lo, exec_lo, s34
	s_cbranch_execz .LBB4_1711
.LBB4_1894:                             ;   in Loop: Header=BB4_1561 Depth=4
	v_cmp_ne_u16_e64 vcc_lo, 0, v167
	v_mov_b32_e32 v162, 0
	s_and_not1_b32 s13, s13, exec_lo
	s_delay_alu instid0(VALU_DEP_2) | instskip(NEXT) | instid1(SALU_CYCLE_1)
	s_and_b32 s29, vcc_lo, exec_lo
	s_or_b32 s13, s13, s29
	s_or_b32 exec_lo, exec_lo, s34
	s_and_saveexec_b32 s29, s13
	s_cbranch_execnz .LBB4_1712
	s_branch .LBB4_1713
.LBB4_1895:                             ;   in Loop: Header=BB4_1561 Depth=4
	s_mov_b32 s13, -1
	s_mov_b32 s35, exec_lo
                                        ; implicit-def: $sgpr29
	v_cmpx_eq_u16_e64 0x80, v165
; %bb.1896:                             ;   in Loop: Header=BB4_1561 Depth=4
	s_mov_b32 s29, 0x7f800001
	s_xor_b32 s13, exec_lo, -1
; %bb.1897:                             ;   in Loop: Header=BB4_1561 Depth=4
	s_or_b32 exec_lo, exec_lo, s35
	s_delay_alu instid0(SALU_CYCLE_1)
	s_and_b32 s13, s13, exec_lo
                                        ; implicit-def: $vgpr165
	s_or_saveexec_b32 s34, s34
	v_mov_b32_e32 v162, s29
	s_xor_b32 exec_lo, exec_lo, s34
	s_cbranch_execz .LBB4_1723
.LBB4_1898:                             ;   in Loop: Header=BB4_1561 Depth=4
	v_cmp_ne_u16_e64 vcc_lo, 0, v165
	v_mov_b32_e32 v162, 0
	s_and_not1_b32 s13, s13, exec_lo
	s_delay_alu instid0(VALU_DEP_2) | instskip(NEXT) | instid1(SALU_CYCLE_1)
	s_and_b32 s29, vcc_lo, exec_lo
	s_or_b32 s13, s13, s29
	s_or_b32 exec_lo, exec_lo, s34
	s_and_saveexec_b32 s29, s13
	s_cbranch_execnz .LBB4_1724
	s_branch .LBB4_1725
.LBB4_1899:                             ;   in Loop: Header=BB4_1561 Depth=4
	s_mov_b32 s13, -1
	s_mov_b32 s35, exec_lo
                                        ; implicit-def: $sgpr29
	v_cmpx_eq_u16_e64 0x80, v165
; %bb.1900:                             ;   in Loop: Header=BB4_1561 Depth=4
	s_mov_b32 s29, 0x7f800001
	s_xor_b32 s13, exec_lo, -1
; %bb.1901:                             ;   in Loop: Header=BB4_1561 Depth=4
	s_or_b32 exec_lo, exec_lo, s35
	s_delay_alu instid0(SALU_CYCLE_1)
	s_and_b32 s13, s13, exec_lo
                                        ; implicit-def: $vgpr165
	s_or_saveexec_b32 s34, s34
	v_mov_b32_e32 v151, s29
	s_xor_b32 exec_lo, exec_lo, s34
	s_cbranch_execz .LBB4_1727
.LBB4_1902:                             ;   in Loop: Header=BB4_1561 Depth=4
	v_cmp_ne_u16_e64 vcc_lo, 0, v165
	v_mov_b32_e32 v151, 0
	s_and_not1_b32 s13, s13, exec_lo
	s_delay_alu instid0(VALU_DEP_2) | instskip(NEXT) | instid1(SALU_CYCLE_1)
	s_and_b32 s29, vcc_lo, exec_lo
	s_or_b32 s13, s13, s29
	s_or_b32 exec_lo, exec_lo, s34
	s_and_saveexec_b32 s29, s13
	s_cbranch_execnz .LBB4_1728
	s_branch .LBB4_1729
.LBB4_1903:                             ;   in Loop: Header=BB4_1561 Depth=4
	s_mov_b32 s13, -1
	s_mov_b32 s35, exec_lo
                                        ; implicit-def: $sgpr29
	v_cmpx_eq_u16_e64 0x80, v162
; %bb.1904:                             ;   in Loop: Header=BB4_1561 Depth=4
	s_mov_b32 s29, 0x7f800001
	s_xor_b32 s13, exec_lo, -1
; %bb.1905:                             ;   in Loop: Header=BB4_1561 Depth=4
	s_or_b32 exec_lo, exec_lo, s35
	s_delay_alu instid0(SALU_CYCLE_1)
	s_and_b32 s13, s13, exec_lo
                                        ; implicit-def: $vgpr162
	s_or_saveexec_b32 s34, s34
	v_mov_b32_e32 v151, s29
	s_xor_b32 exec_lo, exec_lo, s34
	s_cbranch_execz .LBB4_1739
.LBB4_1906:                             ;   in Loop: Header=BB4_1561 Depth=4
	v_cmp_ne_u16_e64 vcc_lo, 0, v162
	v_mov_b32_e32 v151, 0
	s_and_not1_b32 s13, s13, exec_lo
	s_delay_alu instid0(VALU_DEP_2) | instskip(NEXT) | instid1(SALU_CYCLE_1)
	s_and_b32 s29, vcc_lo, exec_lo
	s_or_b32 s13, s13, s29
	s_or_b32 exec_lo, exec_lo, s34
	s_and_saveexec_b32 s29, s13
	s_cbranch_execnz .LBB4_1740
	s_branch .LBB4_1741
.LBB4_1907:                             ;   in Loop: Header=BB4_1561 Depth=4
	s_mov_b32 s13, -1
	s_mov_b32 s35, exec_lo
                                        ; implicit-def: $sgpr29
	v_cmpx_eq_u16_e64 0x80, v162
; %bb.1908:                             ;   in Loop: Header=BB4_1561 Depth=4
	s_mov_b32 s29, 0x7f800001
	s_xor_b32 s13, exec_lo, -1
; %bb.1909:                             ;   in Loop: Header=BB4_1561 Depth=4
	s_or_b32 exec_lo, exec_lo, s35
	s_delay_alu instid0(SALU_CYCLE_1)
	s_and_b32 s13, s13, exec_lo
                                        ; implicit-def: $vgpr162
	s_or_saveexec_b32 s34, s34
	v_mov_b32_e32 v148, s29
	s_xor_b32 exec_lo, exec_lo, s34
	s_cbranch_execz .LBB4_1743
.LBB4_1910:                             ;   in Loop: Header=BB4_1561 Depth=4
	v_cmp_ne_u16_e64 vcc_lo, 0, v162
	v_mov_b32_e32 v148, 0
	s_and_not1_b32 s13, s13, exec_lo
	s_delay_alu instid0(VALU_DEP_2) | instskip(NEXT) | instid1(SALU_CYCLE_1)
	s_and_b32 s29, vcc_lo, exec_lo
	s_or_b32 s13, s13, s29
	s_or_b32 exec_lo, exec_lo, s34
	s_and_saveexec_b32 s29, s13
	s_cbranch_execnz .LBB4_1744
	s_branch .LBB4_1745
.LBB4_1911:                             ;   in Loop: Header=BB4_1561 Depth=4
	s_mov_b32 s13, -1
	s_mov_b32 s35, exec_lo
                                        ; implicit-def: $sgpr29
	v_cmpx_eq_u16_e64 0x80, v151
; %bb.1912:                             ;   in Loop: Header=BB4_1561 Depth=4
	s_mov_b32 s29, 0x7f800001
	s_xor_b32 s13, exec_lo, -1
; %bb.1913:                             ;   in Loop: Header=BB4_1561 Depth=4
	s_or_b32 exec_lo, exec_lo, s35
	s_delay_alu instid0(SALU_CYCLE_1)
	s_and_b32 s13, s13, exec_lo
                                        ; implicit-def: $vgpr151
	s_or_saveexec_b32 s34, s34
	v_mov_b32_e32 v148, s29
	s_xor_b32 exec_lo, exec_lo, s34
	s_cbranch_execz .LBB4_1755
.LBB4_1914:                             ;   in Loop: Header=BB4_1561 Depth=4
	v_cmp_ne_u16_e64 vcc_lo, 0, v151
	v_mov_b32_e32 v148, 0
	s_and_not1_b32 s13, s13, exec_lo
	s_delay_alu instid0(VALU_DEP_2) | instskip(NEXT) | instid1(SALU_CYCLE_1)
	s_and_b32 s29, vcc_lo, exec_lo
	s_or_b32 s13, s13, s29
	s_or_b32 exec_lo, exec_lo, s34
	s_and_saveexec_b32 s29, s13
	s_cbranch_execnz .LBB4_1756
	s_branch .LBB4_1757
.LBB4_1915:                             ;   in Loop: Header=BB4_1561 Depth=4
	s_mov_b32 s13, -1
	s_mov_b32 s35, exec_lo
                                        ; implicit-def: $sgpr29
	v_cmpx_eq_u16_e64 0x80, v151
; %bb.1916:                             ;   in Loop: Header=BB4_1561 Depth=4
	s_mov_b32 s29, 0x7f800001
	s_xor_b32 s13, exec_lo, -1
; %bb.1917:                             ;   in Loop: Header=BB4_1561 Depth=4
	s_or_b32 exec_lo, exec_lo, s35
	s_delay_alu instid0(SALU_CYCLE_1)
	s_and_b32 s13, s13, exec_lo
                                        ; implicit-def: $vgpr151
	s_or_saveexec_b32 s34, s34
	v_mov_b32_e32 v84, s29
	s_xor_b32 exec_lo, exec_lo, s34
	s_cbranch_execz .LBB4_1759
.LBB4_1918:                             ;   in Loop: Header=BB4_1561 Depth=4
	v_cmp_ne_u16_e64 vcc_lo, 0, v151
	v_mov_b32_e32 v84, 0
	s_and_not1_b32 s13, s13, exec_lo
	s_delay_alu instid0(VALU_DEP_2) | instskip(NEXT) | instid1(SALU_CYCLE_1)
	s_and_b32 s29, vcc_lo, exec_lo
	s_or_b32 s13, s13, s29
	s_or_b32 exec_lo, exec_lo, s34
	s_and_saveexec_b32 s29, s13
	s_cbranch_execnz .LBB4_1760
	s_branch .LBB4_1761
.LBB4_1919:                             ;   in Loop: Header=BB4_1561 Depth=4
	s_mov_b32 s13, -1
	s_mov_b32 s35, exec_lo
                                        ; implicit-def: $sgpr29
	v_cmpx_eq_u16_e64 0x80, v148
; %bb.1920:                             ;   in Loop: Header=BB4_1561 Depth=4
	s_mov_b32 s29, 0x7f800001
	s_xor_b32 s13, exec_lo, -1
; %bb.1921:                             ;   in Loop: Header=BB4_1561 Depth=4
	s_or_b32 exec_lo, exec_lo, s35
	s_delay_alu instid0(SALU_CYCLE_1)
	s_and_b32 s13, s13, exec_lo
                                        ; implicit-def: $vgpr148
	s_or_saveexec_b32 s34, s34
	v_mov_b32_e32 v84, s29
	s_xor_b32 exec_lo, exec_lo, s34
	s_cbranch_execz .LBB4_1771
.LBB4_1922:                             ;   in Loop: Header=BB4_1561 Depth=4
	v_cmp_ne_u16_e64 vcc_lo, 0, v148
	v_mov_b32_e32 v84, 0
	s_and_not1_b32 s13, s13, exec_lo
	s_delay_alu instid0(VALU_DEP_2) | instskip(NEXT) | instid1(SALU_CYCLE_1)
	s_and_b32 s29, vcc_lo, exec_lo
	s_or_b32 s13, s13, s29
	s_or_b32 exec_lo, exec_lo, s34
	s_and_saveexec_b32 s29, s13
	s_cbranch_execnz .LBB4_1772
	s_branch .LBB4_1773
.LBB4_1923:                             ;   in Loop: Header=BB4_1561 Depth=4
	s_mov_b32 s13, -1
	s_mov_b32 s35, exec_lo
                                        ; implicit-def: $sgpr29
	v_cmpx_eq_u16_e64 0x80, v148
; %bb.1924:                             ;   in Loop: Header=BB4_1561 Depth=4
	s_mov_b32 s29, 0x7f800001
	s_xor_b32 s13, exec_lo, -1
; %bb.1925:                             ;   in Loop: Header=BB4_1561 Depth=4
	s_or_b32 exec_lo, exec_lo, s35
	s_delay_alu instid0(SALU_CYCLE_1)
	s_and_b32 s13, s13, exec_lo
                                        ; implicit-def: $vgpr148
	s_or_saveexec_b32 s34, s34
	v_mov_b32_e32 v81, s29
	s_xor_b32 exec_lo, exec_lo, s34
	s_cbranch_execz .LBB4_1775
.LBB4_1926:                             ;   in Loop: Header=BB4_1561 Depth=4
	v_cmp_ne_u16_e64 vcc_lo, 0, v148
	v_mov_b32_e32 v81, 0
	s_and_not1_b32 s13, s13, exec_lo
	s_delay_alu instid0(VALU_DEP_2) | instskip(NEXT) | instid1(SALU_CYCLE_1)
	s_and_b32 s29, vcc_lo, exec_lo
	s_or_b32 s13, s13, s29
	s_or_b32 exec_lo, exec_lo, s34
	s_and_saveexec_b32 s29, s13
	s_cbranch_execnz .LBB4_1776
	s_branch .LBB4_1777
.LBB4_1927:                             ;   in Loop: Header=BB4_1561 Depth=4
	s_mov_b32 s13, -1
	s_mov_b32 s35, exec_lo
                                        ; implicit-def: $sgpr29
	v_cmpx_eq_u16_e32 0x80, v84
; %bb.1928:                             ;   in Loop: Header=BB4_1561 Depth=4
	s_mov_b32 s29, 0x7f800001
	s_xor_b32 s13, exec_lo, -1
; %bb.1929:                             ;   in Loop: Header=BB4_1561 Depth=4
	s_or_b32 exec_lo, exec_lo, s35
	s_delay_alu instid0(SALU_CYCLE_1)
	s_and_b32 s13, s13, exec_lo
                                        ; implicit-def: $vgpr84
	s_or_saveexec_b32 s34, s34
	v_mov_b32_e32 v81, s29
	s_xor_b32 exec_lo, exec_lo, s34
	s_cbranch_execz .LBB4_1787
.LBB4_1930:                             ;   in Loop: Header=BB4_1561 Depth=4
	v_cmp_ne_u16_e32 vcc_lo, 0, v84
	v_mov_b32_e32 v81, 0
	s_and_not1_b32 s13, s13, exec_lo
	s_and_b32 s29, vcc_lo, exec_lo
	s_delay_alu instid0(SALU_CYCLE_1)
	s_or_b32 s13, s13, s29
	s_or_b32 exec_lo, exec_lo, s34
	s_and_saveexec_b32 s29, s13
	s_cbranch_execnz .LBB4_1788
	s_branch .LBB4_1789
.LBB4_1931:                             ;   in Loop: Header=BB4_1561 Depth=4
	s_mov_b32 s13, -1
	s_mov_b32 s35, exec_lo
                                        ; implicit-def: $sgpr29
	v_cmpx_eq_u16_e32 0x80, v84
; %bb.1932:                             ;   in Loop: Header=BB4_1561 Depth=4
	s_mov_b32 s29, 0x7f800001
	s_xor_b32 s13, exec_lo, -1
; %bb.1933:                             ;   in Loop: Header=BB4_1561 Depth=4
	s_or_b32 exec_lo, exec_lo, s35
	s_delay_alu instid0(SALU_CYCLE_1)
	s_and_b32 s13, s13, exec_lo
                                        ; implicit-def: $vgpr84
	s_or_saveexec_b32 s34, s34
	v_mov_b32_e32 v22, s29
	s_xor_b32 exec_lo, exec_lo, s34
	s_cbranch_execz .LBB4_1791
.LBB4_1934:                             ;   in Loop: Header=BB4_1561 Depth=4
	v_cmp_ne_u16_e32 vcc_lo, 0, v84
	v_mov_b32_e32 v22, 0
	s_and_not1_b32 s13, s13, exec_lo
	s_and_b32 s29, vcc_lo, exec_lo
	s_delay_alu instid0(SALU_CYCLE_1)
	s_or_b32 s13, s13, s29
	s_or_b32 exec_lo, exec_lo, s34
	s_and_saveexec_b32 s29, s13
	s_cbranch_execnz .LBB4_1792
	s_branch .LBB4_1793
.LBB4_1935:                             ;   in Loop: Header=BB4_1561 Depth=4
	s_mov_b32 s13, -1
	s_mov_b32 s35, exec_lo
                                        ; implicit-def: $sgpr29
	v_cmpx_eq_u16_e32 0x80, v81
; %bb.1936:                             ;   in Loop: Header=BB4_1561 Depth=4
	s_mov_b32 s29, 0x7f800001
	s_xor_b32 s13, exec_lo, -1
; %bb.1937:                             ;   in Loop: Header=BB4_1561 Depth=4
	s_or_b32 exec_lo, exec_lo, s35
	s_delay_alu instid0(SALU_CYCLE_1)
	s_and_b32 s13, s13, exec_lo
                                        ; implicit-def: $vgpr81
	s_or_saveexec_b32 s34, s34
	v_mov_b32_e32 v22, s29
	s_xor_b32 exec_lo, exec_lo, s34
	s_cbranch_execz .LBB4_1803
.LBB4_1938:                             ;   in Loop: Header=BB4_1561 Depth=4
	v_cmp_ne_u16_e32 vcc_lo, 0, v81
	v_mov_b32_e32 v22, 0
	s_and_not1_b32 s13, s13, exec_lo
	s_and_b32 s29, vcc_lo, exec_lo
	s_delay_alu instid0(SALU_CYCLE_1)
	s_or_b32 s13, s13, s29
	s_or_b32 exec_lo, exec_lo, s34
	s_and_saveexec_b32 s29, s13
	s_cbranch_execnz .LBB4_1804
	s_branch .LBB4_1805
.LBB4_1939:                             ;   in Loop: Header=BB4_1561 Depth=4
	s_mov_b32 s13, -1
	s_mov_b32 s35, exec_lo
                                        ; implicit-def: $sgpr29
	v_cmpx_eq_u16_e32 0x80, v81
; %bb.1940:                             ;   in Loop: Header=BB4_1561 Depth=4
	s_mov_b32 s29, 0x7f800001
	s_xor_b32 s13, exec_lo, -1
; %bb.1941:                             ;   in Loop: Header=BB4_1561 Depth=4
	s_or_b32 exec_lo, exec_lo, s35
	s_delay_alu instid0(SALU_CYCLE_1)
	s_and_b32 s13, s13, exec_lo
                                        ; implicit-def: $vgpr81
	s_or_saveexec_b32 s34, s34
	v_mov_b32_e32 v19, s29
	s_xor_b32 exec_lo, exec_lo, s34
	s_cbranch_execz .LBB4_1807
.LBB4_1942:                             ;   in Loop: Header=BB4_1561 Depth=4
	v_cmp_ne_u16_e32 vcc_lo, 0, v81
	v_mov_b32_e32 v19, 0
	s_and_not1_b32 s13, s13, exec_lo
	s_and_b32 s29, vcc_lo, exec_lo
	s_delay_alu instid0(SALU_CYCLE_1)
	s_or_b32 s13, s13, s29
	s_or_b32 exec_lo, exec_lo, s34
	s_and_saveexec_b32 s29, s13
	s_cbranch_execnz .LBB4_1808
	s_branch .LBB4_1809
.LBB4_1943:                             ;   in Loop: Header=BB4_305 Depth=3
	s_or_b32 exec_lo, exec_lo, s31
.LBB4_1944:                             ;   in Loop: Header=BB4_305 Depth=3
	s_delay_alu instid0(SALU_CYCLE_1) | instskip(SKIP_2) | instid1(VALU_DEP_1)
	s_or_b32 exec_lo, exec_lo, s30
	v_lshlrev_b32_e32 v8, 9, v17
	s_mov_b32 s30, exec_lo
	v_cmpx_ne_u32_e64 v15, v8
	s_cbranch_execz .LBB4_1973
; %bb.1945:                             ;   in Loop: Header=BB4_305 Depth=3
	v_ashrrev_i32_e32 v9, 31, v16
	v_lshlrev_b32_e32 v2, 5, v2
	s_delay_alu instid0(VALU_DEP_2) | instskip(NEXT) | instid1(VALU_DEP_1)
	v_lshrrev_b32_e32 v9, 27, v9
	v_add_nc_u32_e32 v9, v16, v9
	s_delay_alu instid0(VALU_DEP_1) | instskip(NEXT) | instid1(VALU_DEP_1)
	v_and_b32_e32 v9, 0xffffffe0, v9
	v_sub_nc_u32_e32 v9, v16, v9
	s_delay_alu instid0(VALU_DEP_1) | instskip(NEXT) | instid1(VALU_DEP_1)
	v_sub_nc_u32_e32 v2, v9, v2
	v_add_nc_u32_e32 v8, v8, v2
	s_delay_alu instid0(VALU_DEP_1) | instskip(NEXT) | instid1(VALU_DEP_1)
	v_sub_nc_u32_e32 v2, v15, v8
	v_cmp_lt_i32_e32 vcc_lo, 0, v2
	s_and_b32 exec_lo, exec_lo, vcc_lo
	s_cbranch_execz .LBB4_1973
; %bb.1946:                             ;   in Loop: Header=BB4_305 Depth=3
	s_cbranch_execz .LBB4_1947
; %bb.6769:
	s_getpc_b64 s[46:47]
.Lpost_getpc158:
	s_add_u32 s46, s46, (.LBB4_6403-.Lpost_getpc158)&4294967295
	s_addc_u32 s47, s47, (.LBB4_6403-.Lpost_getpc158)>>32
	s_setpc_b64 s[46:47]
.LBB4_1947:                             ;   in Loop: Header=BB4_305 Depth=3
	ds_load_b128 v[9:12], v0
	ds_load_b64 v[15:16], v0
	v_add_nc_u32_e32 v13, v8, v14
	s_mov_b32 s31, 0
	s_delay_alu instid0(VALU_DEP_1) | instskip(SKIP_2) | instid1(VALU_DEP_2)
	v_ashrrev_i32_e32 v14, 31, v13
	s_waitcnt lgkmcnt(1)
	v_add_co_u32 v8, vcc_lo, v9, v13
	v_add_co_ci_u32_e32 v9, vcc_lo, v10, v14, vcc_lo
	v_add_co_u32 v10, vcc_lo, v11, v13
	v_add_co_ci_u32_e32 v11, vcc_lo, v12, v14, vcc_lo
	s_waitcnt lgkmcnt(0)
	v_add_co_u32 v12, vcc_lo, v15, v13
	v_add_co_ci_u32_e32 v13, vcc_lo, v16, v14, vcc_lo
	s_branch .LBB4_1951
.LBB4_1948:                             ;   in Loop: Header=BB4_1951 Depth=4
	s_or_b32 exec_lo, exec_lo, s13
	s_delay_alu instid0(VALU_DEP_1) | instskip(NEXT) | instid1(VALU_DEP_2)
	v_lshrrev_b32_e32 v16, 20, v16
	v_cmp_gt_i32_e32 vcc_lo, 16, v15
	v_min_i32_e32 v17, 15, v15
	v_lshrrev_b32_e32 v14, 24, v14
	s_delay_alu instid0(VALU_DEP_2) | instskip(NEXT) | instid1(VALU_DEP_2)
	v_dual_cndmask_b32 v16, 7, v16 :: v_dual_lshlrev_b32 v17, 3, v17
	v_and_b32_e32 v14, 0x80, v14
	s_delay_alu instid0(VALU_DEP_2) | instskip(NEXT) | instid1(VALU_DEP_1)
	v_or_b32_e32 v15, v15, v16
	v_cmp_ne_u32_e32 vcc_lo, 0, v15
	v_and_b32_e32 v18, 7, v16
	s_delay_alu instid0(VALU_DEP_1) | instskip(NEXT) | instid1(VALU_DEP_1)
	v_or3_b32 v14, v17, v14, v18
	v_cndmask_b32_e32 v15, 0, v14, vcc_lo
.LBB4_1949:                             ;   in Loop: Header=BB4_1951 Depth=4
	s_or_b32 exec_lo, exec_lo, s34
.LBB4_1950:                             ;   in Loop: Header=BB4_1951 Depth=4
	s_delay_alu instid0(SALU_CYCLE_1)
	s_or_b32 exec_lo, exec_lo, s29
	v_add_co_u32 v8, vcc_lo, v8, v128
	v_sub_nc_u32_e32 v2, v2, v98
	v_add_co_ci_u32_e32 v9, vcc_lo, v9, v129, vcc_lo
	v_add_co_u32 v10, vcc_lo, v10, v128
	v_add_co_ci_u32_e32 v11, vcc_lo, v11, v129, vcc_lo
	flat_store_b8 v[12:13], v15 glc slc dlc
	v_cmp_gt_i32_e32 vcc_lo, 1, v2
	v_add_co_u32 v12, s13, v12, v128
	s_delay_alu instid0(VALU_DEP_1) | instskip(SKIP_1) | instid1(SALU_CYCLE_1)
	v_add_co_ci_u32_e64 v13, s13, v13, v129, s13
	s_or_b32 s31, vcc_lo, s31
	s_and_not1_b32 exec_lo, exec_lo, s31
	s_cbranch_execz .LBB4_1973
.LBB4_1951:                             ;   Parent Loop BB4_51 Depth=1
                                        ;     Parent Loop BB4_303 Depth=2
                                        ;       Parent Loop BB4_305 Depth=3
                                        ; =>      This Inner Loop Header: Depth=4
	flat_load_u8 v16, v[8:9] slc dlc
	flat_load_u8 v14, v[10:11] slc dlc
	s_mov_b32 s13, 0
	s_mov_b32 s34, exec_lo
                                        ; implicit-def: $sgpr29
	s_waitcnt vmcnt(1) lgkmcnt(1)
	v_cmpx_lt_i16_e32 0x7f, v16
	s_xor_b32 s34, exec_lo, s34
	s_cbranch_execnz .LBB4_1965
; %bb.1952:                             ;   in Loop: Header=BB4_1951 Depth=4
	s_or_saveexec_b32 s34, s34
	v_mov_b32_e32 v15, s29
	s_xor_b32 exec_lo, exec_lo, s34
	s_cbranch_execnz .LBB4_1968
.LBB4_1953:                             ;   in Loop: Header=BB4_1951 Depth=4
	s_or_b32 exec_lo, exec_lo, s34
	s_and_saveexec_b32 s29, s13
	s_cbranch_execz .LBB4_1955
.LBB4_1954:                             ;   in Loop: Header=BB4_1951 Depth=4
	v_and_b32_e32 v15, 0xffff, v16
	s_delay_alu instid0(VALU_DEP_1) | instskip(NEXT) | instid1(VALU_DEP_1)
	v_and_b32_e32 v17, 7, v15
	v_clz_i32_u32_e32 v18, v17
	s_delay_alu instid0(VALU_DEP_1) | instskip(NEXT) | instid1(VALU_DEP_1)
	v_min_u32_e32 v18, 32, v18
	v_subrev_nc_u32_e32 v19, 28, v18
	v_sub_nc_u32_e32 v18, 29, v18
	s_delay_alu instid0(VALU_DEP_2) | instskip(SKIP_1) | instid1(VALU_DEP_2)
	v_lshlrev_b32_e32 v19, v19, v15
	v_bfe_u32 v15, v15, 3, 4
	v_and_b32_e32 v19, 7, v19
	s_delay_alu instid0(VALU_DEP_2) | instskip(SKIP_1) | instid1(VALU_DEP_1)
	v_cmp_eq_u32_e32 vcc_lo, 0, v15
	v_dual_cndmask_b32 v15, v15, v18 :: v_dual_lshlrev_b32 v16, 24, v16
	v_dual_cndmask_b32 v17, v17, v19 :: v_dual_and_b32 v16, 0x80000000, v16
	s_delay_alu instid0(VALU_DEP_2) | instskip(NEXT) | instid1(VALU_DEP_2)
	v_lshl_add_u32 v15, v15, 23, 0x3b800000
	v_lshlrev_b32_e32 v17, 20, v17
	s_delay_alu instid0(VALU_DEP_1)
	v_or3_b32 v15, v16, v15, v17
.LBB4_1955:                             ;   in Loop: Header=BB4_1951 Depth=4
	s_or_b32 exec_lo, exec_lo, s29
	s_waitcnt vmcnt(0) lgkmcnt(0)
	v_and_b32_e32 v17, 0xff, v14
	s_mov_b32 s13, 0
	s_mov_b32 s34, exec_lo
                                        ; implicit-def: $sgpr29
	s_delay_alu instid0(VALU_DEP_1)
	v_cmpx_lt_i16_e32 0x7f, v17
	s_xor_b32 s34, exec_lo, s34
	s_cbranch_execnz .LBB4_1969
; %bb.1956:                             ;   in Loop: Header=BB4_1951 Depth=4
	s_or_saveexec_b32 s34, s34
	v_mov_b32_e32 v16, s29
	s_xor_b32 exec_lo, exec_lo, s34
	s_cbranch_execnz .LBB4_1972
.LBB4_1957:                             ;   in Loop: Header=BB4_1951 Depth=4
	s_or_b32 exec_lo, exec_lo, s34
	s_and_saveexec_b32 s29, s13
	s_cbranch_execz .LBB4_1959
.LBB4_1958:                             ;   in Loop: Header=BB4_1951 Depth=4
	v_lshrrev_b16 v19, 3, v14
	s_delay_alu instid0(VALU_DEP_1) | instskip(NEXT) | instid1(VALU_DEP_1)
	v_and_b32_e32 v19, 15, v19
	v_cmp_eq_u32_e32 vcc_lo, 0, v19
	v_and_b32_e32 v16, 7, v14
	s_delay_alu instid0(VALU_DEP_1) | instskip(NEXT) | instid1(VALU_DEP_1)
	v_clz_i32_u32_e32 v17, v16
	v_min_u32_e32 v17, 32, v17
	s_delay_alu instid0(VALU_DEP_1) | instskip(SKIP_1) | instid1(VALU_DEP_1)
	v_subrev_nc_u32_e32 v18, 28, v17
	v_sub_nc_u32_e32 v17, 29, v17
	v_dual_cndmask_b32 v17, v19, v17 :: v_dual_lshlrev_b32 v18, v18, v14
	v_lshlrev_b32_e32 v14, 24, v14
	s_delay_alu instid0(VALU_DEP_2) | instskip(NEXT) | instid1(VALU_DEP_3)
	v_and_b32_e32 v18, 7, v18
	v_lshl_add_u32 v17, v17, 23, 0x3b800000
	s_delay_alu instid0(VALU_DEP_3) | instskip(NEXT) | instid1(VALU_DEP_3)
	v_and_b32_e32 v14, 0x80000000, v14
	v_cndmask_b32_e32 v16, v16, v18, vcc_lo
	s_delay_alu instid0(VALU_DEP_1) | instskip(NEXT) | instid1(VALU_DEP_1)
	v_lshlrev_b32_e32 v16, 20, v16
	v_or3_b32 v16, v14, v17, v16
.LBB4_1959:                             ;   in Loop: Header=BB4_1951 Depth=4
	s_or_b32 exec_lo, exec_lo, s29
	s_delay_alu instid0(VALU_DEP_1) | instskip(NEXT) | instid1(VALU_DEP_1)
	v_add_f32_e32 v14, v15, v16
	v_and_b32_e32 v15, 0x7f800000, v14
	s_delay_alu instid0(VALU_DEP_1)
	v_cmp_ne_u32_e32 vcc_lo, 0x7f800000, v15
	v_mov_b32_e32 v15, 0x80
	s_and_saveexec_b32 s29, vcc_lo
	s_cbranch_execz .LBB4_1950
; %bb.1960:                             ;   in Loop: Header=BB4_1951 Depth=4
	v_mov_b32_e32 v15, 0
	s_mov_b32 s34, exec_lo
	v_cmpx_ne_u32_e32 0, v14
	s_cbranch_execz .LBB4_1949
; %bb.1961:                             ;   in Loop: Header=BB4_1951 Depth=4
	v_bfe_u32 v15, v14, 23, 8
	s_delay_alu instid0(VALU_DEP_1) | instskip(SKIP_1) | instid1(VALU_DEP_2)
	v_sub_nc_u32_e32 v17, 0x78, v15
	v_cmp_gt_u32_e32 vcc_lo, 0x79, v15
	v_dual_cndmask_b32 v17, 0, v17 :: v_dual_and_b32 v16, 0x7fffff, v14
	s_delay_alu instid0(VALU_DEP_1) | instskip(SKIP_2) | instid1(VALU_DEP_4)
	v_or_b32_e32 v18, 0x800000, v16
	v_cmp_eq_u32_e32 vcc_lo, 0, v15
	v_add_nc_u32_e32 v15, 0xffffff89, v15
	v_cndmask_b32_e64 v17, v17, 0x77, vcc_lo
	s_delay_alu instid0(VALU_DEP_4) | instskip(NEXT) | instid1(VALU_DEP_3)
	v_cndmask_b32_e32 v16, v18, v16, vcc_lo
	v_cndmask_b32_e64 v15, v15, 0xffffff8a, vcc_lo
	s_delay_alu instid0(VALU_DEP_3) | instskip(NEXT) | instid1(VALU_DEP_3)
	v_lshl_add_u32 v18, 0x100000, v17, -1
	v_lshrrev_b32_e32 v19, v17, v16
	v_lshlrev_b32_e64 v21, v17, 0x80000
	s_delay_alu instid0(VALU_DEP_4) | instskip(NEXT) | instid1(VALU_DEP_4)
	v_add_nc_u32_e32 v17, v17, v15
	v_and_b32_e32 v16, v18, v16
	s_delay_alu instid0(VALU_DEP_4) | instskip(NEXT) | instid1(VALU_DEP_2)
	v_bfe_u32 v20, v19, 20, 1
	v_cmp_eq_u32_e64 s13, v16, v21
	s_delay_alu instid0(VALU_DEP_2) | instskip(NEXT) | instid1(VALU_DEP_1)
	v_add_nc_u32_e32 v18, -1, v20
	v_cndmask_b32_e64 v16, 0, v18, s13
	v_lshrrev_b32_e32 v18, 23, v19
	s_mov_b32 s13, exec_lo
	s_delay_alu instid0(VALU_DEP_2) | instskip(NEXT) | instid1(VALU_DEP_2)
	v_add_nc_u32_e32 v16, v16, v19
	v_xor_b32_e32 v18, 1, v18
	s_delay_alu instid0(VALU_DEP_2) | instskip(NEXT) | instid1(VALU_DEP_1)
	v_and_b32_e32 v15, 0xfffff, v16
	v_add_nc_u32_e32 v16, v15, v19
                                        ; implicit-def: $vgpr15
	s_delay_alu instid0(VALU_DEP_3)
	v_cmpx_ne_u32_e64 v17, v18
	s_xor_b32 s13, exec_lo, s13
; %bb.1962:                             ;   in Loop: Header=BB4_1951 Depth=4
	s_delay_alu instid0(VALU_DEP_2) | instskip(SKIP_2) | instid1(VALU_DEP_2)
	v_cmp_lt_u32_e32 vcc_lo, 0xffffff, v16
	v_sub_nc_u32_e32 v15, v17, v18
	v_cndmask_b32_e64 v17, 0, 1, vcc_lo
	v_add_co_ci_u32_e32 v15, vcc_lo, 0, v15, vcc_lo
	s_delay_alu instid0(VALU_DEP_2)
	v_lshrrev_b32_e32 v16, v17, v16
; %bb.1963:                             ;   in Loop: Header=BB4_1951 Depth=4
	s_and_not1_saveexec_b32 s13, s13
	s_cbranch_execz .LBB4_1948
; %bb.1964:                             ;   in Loop: Header=BB4_1951 Depth=4
	s_delay_alu instid0(VALU_DEP_1)
	v_bfe_u32 v15, v16, 23, 1
	s_branch .LBB4_1948
.LBB4_1965:                             ;   in Loop: Header=BB4_1951 Depth=4
	s_mov_b32 s13, -1
	s_mov_b32 s35, exec_lo
                                        ; implicit-def: $sgpr29
	v_cmpx_eq_u16_e32 0x80, v16
; %bb.1966:                             ;   in Loop: Header=BB4_1951 Depth=4
	s_mov_b32 s29, 0x7f800001
	s_xor_b32 s13, exec_lo, -1
; %bb.1967:                             ;   in Loop: Header=BB4_1951 Depth=4
	s_or_b32 exec_lo, exec_lo, s35
	s_delay_alu instid0(SALU_CYCLE_1)
	s_and_b32 s13, s13, exec_lo
	s_or_saveexec_b32 s34, s34
	v_mov_b32_e32 v15, s29
	s_xor_b32 exec_lo, exec_lo, s34
	s_cbranch_execz .LBB4_1953
.LBB4_1968:                             ;   in Loop: Header=BB4_1951 Depth=4
	v_cmp_ne_u16_e32 vcc_lo, 0, v16
	v_mov_b32_e32 v15, 0
	s_and_not1_b32 s13, s13, exec_lo
	s_and_b32 s29, vcc_lo, exec_lo
	s_delay_alu instid0(SALU_CYCLE_1)
	s_or_b32 s13, s13, s29
	s_or_b32 exec_lo, exec_lo, s34
	s_and_saveexec_b32 s29, s13
	s_cbranch_execnz .LBB4_1954
	s_branch .LBB4_1955
.LBB4_1969:                             ;   in Loop: Header=BB4_1951 Depth=4
	s_mov_b32 s13, -1
	s_mov_b32 s35, exec_lo
                                        ; implicit-def: $sgpr29
	v_cmpx_eq_u16_e32 0x80, v17
; %bb.1970:                             ;   in Loop: Header=BB4_1951 Depth=4
	s_mov_b32 s29, 0x7f800001
	s_xor_b32 s13, exec_lo, -1
; %bb.1971:                             ;   in Loop: Header=BB4_1951 Depth=4
	s_or_b32 exec_lo, exec_lo, s35
	s_delay_alu instid0(SALU_CYCLE_1)
	s_and_b32 s13, s13, exec_lo
                                        ; implicit-def: $vgpr17
	s_or_saveexec_b32 s34, s34
	v_mov_b32_e32 v16, s29
	s_xor_b32 exec_lo, exec_lo, s34
	s_cbranch_execz .LBB4_1957
.LBB4_1972:                             ;   in Loop: Header=BB4_1951 Depth=4
	v_cmp_ne_u16_e32 vcc_lo, 0, v17
	v_mov_b32_e32 v16, 0
	s_and_not1_b32 s13, s13, exec_lo
	s_and_b32 s29, vcc_lo, exec_lo
	s_delay_alu instid0(SALU_CYCLE_1)
	s_or_b32 s13, s13, s29
	s_or_b32 exec_lo, exec_lo, s34
	s_and_saveexec_b32 s29, s13
	s_cbranch_execnz .LBB4_1958
	s_branch .LBB4_1959
.LBB4_1973:                             ;   in Loop: Header=BB4_305 Depth=3
	s_or_b32 exec_lo, exec_lo, s30
.LBB4_1974:                             ;   in Loop: Header=BB4_305 Depth=3
	s_delay_alu instid0(SALU_CYCLE_1)
	s_or_b32 exec_lo, exec_lo, s14
.LBB4_1975:                             ;   in Loop: Header=BB4_305 Depth=3
	s_and_saveexec_b32 s13, s3
	s_cbranch_execz .LBB4_1997
; %bb.1976:                             ;   in Loop: Header=BB4_305 Depth=3
	s_and_saveexec_b32 s14, s4
	s_delay_alu instid0(SALU_CYCLE_1)
	s_xor_b32 s14, exec_lo, s14
	s_cbranch_execz .LBB4_1994
; %bb.1977:                             ;   in Loop: Header=BB4_305 Depth=3
	s_and_saveexec_b32 s29, s1
	s_cbranch_execz .LBB4_1993
; %bb.1978:                             ;   in Loop: Header=BB4_305 Depth=3
	s_mov_b32 s31, exec_lo
	s_mov_b32 s30, exec_lo
	v_mbcnt_lo_u32_b32 v2, s31, 0
	s_waitcnt lgkmcnt(0)
	s_waitcnt_vscnt null, 0x0
	buffer_gl1_inv
	buffer_gl0_inv
	v_cmpx_eq_u32_e32 0, v2
	s_cbranch_execz .LBB4_1980
; %bb.1979:                             ;   in Loop: Header=BB4_305 Depth=3
	s_bcnt1_i32_b32 vcc_lo, s31
	s_delay_alu instid0(SALU_CYCLE_1)
	v_mov_b32_e32 v2, vcc_lo
	ds_add_u64 v0, v[2:3]
	s_cbranch_execz .LBB4_1980
; %bb.6771:
	s_getpc_b64 s[46:47]
.Lpost_getpc159:
	s_add_u32 s46, s46, (.LBB4_6383-.Lpost_getpc159)&4294967295
	s_addc_u32 s47, s47, (.LBB4_6383-.Lpost_getpc159)>>32
	s_setpc_b64 s[46:47]
.LBB4_1980:                             ;   in Loop: Header=BB4_305 Depth=3
	s_or_b32 exec_lo, exec_lo, s30
	s_cbranch_execz .LBB4_1981
; %bb.6773:
	s_getpc_b64 s[46:47]
.Lpost_getpc160:
	s_add_u32 s46, s46, (.LBB4_6359-.Lpost_getpc160)&4294967295
	s_addc_u32 s47, s47, (.LBB4_6359-.Lpost_getpc160)>>32
	s_setpc_b64 s[46:47]
.LBB4_1981:                             ;   in Loop: Header=BB4_305 Depth=3
	ds_load_b64 v[8:9], v0
	v_add_co_u32 v48, vcc_lo, v48, v97
	v_add_co_ci_u32_e32 v49, vcc_lo, 0, v49, vcc_lo
	s_mov_b32 s30, exec_lo
	s_waitcnt lgkmcnt(0)
	s_delay_alu instid0(VALU_DEP_1)
	v_cmpx_lt_u64_e64 v[8:9], v[48:49]
	s_cbranch_execz .LBB4_1992
; %bb.1982:                             ;   in Loop: Header=BB4_305 Depth=3
	s_mov_b32 s31, 0
	s_mov_b32 s36, 0
                                        ; implicit-def: $sgpr34
                                        ; implicit-def: $sgpr35
	s_branch .LBB4_1984
.LBB4_1983:                             ;   in Loop: Header=BB4_1984 Depth=4
	s_or_b32 exec_lo, exec_lo, s38
	s_delay_alu instid0(SALU_CYCLE_1) | instskip(NEXT) | instid1(SALU_CYCLE_1)
	s_and_b32 vcc_lo, exec_lo, vcc_lo
	s_or_b32 s31, vcc_lo, s31
	s_and_not1_b32 vcc_lo, s34, exec_lo
	s_and_b32 s34, s35, exec_lo
	s_delay_alu instid0(SALU_CYCLE_1)
	s_or_b32 s34, vcc_lo, s34
	s_and_not1_b32 exec_lo, exec_lo, s31
	s_cbranch_execz .LBB4_1990
.LBB4_1984:                             ;   Parent Loop BB4_51 Depth=1
                                        ;     Parent Loop BB4_303 Depth=2
                                        ;       Parent Loop BB4_305 Depth=3
                                        ; =>      This Inner Loop Header: Depth=4
	s_add_i32 s36, s36, 1
                                        ; implicit-def: $sgpr38
	s_delay_alu instid0(SALU_CYCLE_1) | instskip(SKIP_1) | instid1(SALU_CYCLE_1)
	s_cmpk_lg_i32 s36, 0x2710
	s_cselect_b32 s37, -1, 0
	s_and_b32 vcc_lo, exec_lo, s37
	s_cbranch_vccz .LBB4_1988
.LBB4_1985:                             ;   in Loop: Header=BB4_1984 Depth=4
	s_and_not1_b32 s35, s35, exec_lo
	s_and_b32 s38, s38, exec_lo
	s_mov_b32 vcc_lo, -1
	s_or_b32 s35, s35, s38
	s_and_saveexec_b32 s38, s37
	s_cbranch_execz .LBB4_1983
; %bb.1986:                             ;   in Loop: Header=BB4_1984 Depth=4
	s_sleep 1
	s_cbranch_execz .LBB4_1987
; %bb.6775:
	s_getpc_b64 s[46:47]
.Lpost_getpc161:
	s_add_u32 s46, s46, (.LBB4_6437-.Lpost_getpc161)&4294967295
	s_addc_u32 s47, s47, (.LBB4_6437-.Lpost_getpc161)>>32
	s_setpc_b64 s[46:47]
.LBB4_1987:                             ;   in Loop: Header=BB4_1984 Depth=4
	ds_load_b64 v[8:9], v0
	s_and_not1_b32 s35, s35, exec_lo
	s_waitcnt lgkmcnt(0)
	v_cmp_ge_u64_e32 vcc_lo, v[8:9], v[48:49]
	s_or_not1_b32 vcc_lo, vcc_lo, exec_lo
	s_branch .LBB4_1983
.LBB4_1988:                             ;   in Loop: Header=BB4_1984 Depth=4
	s_cbranch_execz .LBB4_1989
; %bb.6777:
	s_getpc_b64 s[46:47]
.Lpost_getpc162:
	s_add_u32 s46, s46, (.LBB4_6449-.Lpost_getpc162)&4294967295
	s_addc_u32 s47, s47, (.LBB4_6449-.Lpost_getpc162)>>32
	s_setpc_b64 s[46:47]
.LBB4_1989:                             ;   in Loop: Header=BB4_1984 Depth=4
	ds_load_b64 v[8:9], v0
	s_and_not1_b32 s37, s37, exec_lo
	s_mov_b32 s36, 0
	s_mov_b32 s38, -1
	s_waitcnt lgkmcnt(0)
	flat_load_b32 v2, v[8:9] glc
	s_waitcnt vmcnt(0) lgkmcnt(0)
	buffer_gl1_inv
	buffer_gl0_inv
	v_cmp_eq_u32_e32 vcc_lo, 0, v2
	s_and_b32 vcc_lo, vcc_lo, exec_lo
	s_delay_alu instid0(SALU_CYCLE_1)
	s_or_b32 s37, s37, vcc_lo
	s_branch .LBB4_1985
.LBB4_1990:                             ;   in Loop: Header=BB4_305 Depth=3
	s_or_b32 exec_lo, exec_lo, s31
	s_and_saveexec_b32 vcc_lo, s34
	s_delay_alu instid0(SALU_CYCLE_1)
	s_xor_b32 vcc_lo, exec_lo, vcc_lo
	s_cbranch_execz .LBB4_1992
; %bb.1991:                             ;   in Loop: Header=BB4_305 Depth=3
	ds_store_b32 v0, v134
	s_cbranch_execz .LBB4_1992
; %bb.6779:
	s_getpc_b64 s[46:47]
.Lpost_getpc163:
	s_add_u32 s46, s46, (.LBB4_6581-.Lpost_getpc163)&4294967295
	s_addc_u32 s47, s47, (.LBB4_6581-.Lpost_getpc163)>>32
	s_setpc_b64 s[46:47]
.LBB4_1992:                             ;   in Loop: Header=BB4_305 Depth=3
	s_or_b32 exec_lo, exec_lo, s30
	;;#ASMSTART
	s_wakeup
	;;#ASMEND
.LBB4_1993:                             ;   in Loop: Header=BB4_305 Depth=3
	s_or_b32 exec_lo, exec_lo, s29
.LBB4_1994:                             ;   in Loop: Header=BB4_305 Depth=3
	s_and_not1_saveexec_b32 s14, s14
	s_cbranch_execz .LBB4_1996
; %bb.1995:                             ;   in Loop: Header=BB4_305 Depth=3
	s_waitcnt lgkmcnt(0)
	s_waitcnt_vscnt null, 0x0
	buffer_gl1_inv
	buffer_gl0_inv
	s_barrier
.LBB4_1996:                             ;   in Loop: Header=BB4_305 Depth=3
	s_or_b32 exec_lo, exec_lo, s14
.LBB4_1997:                             ;   in Loop: Header=BB4_305 Depth=3
	s_delay_alu instid0(SALU_CYCLE_1) | instskip(SKIP_1) | instid1(SALU_CYCLE_1)
	s_or_b32 exec_lo, exec_lo, s13
                                        ; implicit-def: $vgpr2
	s_and_saveexec_b32 s13, s7
	s_xor_b32 s14, exec_lo, s13
	s_cbranch_execz .LBB4_2001
; %bb.1998:                             ;   in Loop: Header=BB4_305 Depth=3
	v_and_b32_e32 v2, 16, v30
	v_cmp_lt_i32_e32 vcc_lo, 0, v69
	s_delay_alu instid0(VALU_DEP_2) | instskip(SKIP_1) | instid1(VALU_DEP_2)
	v_cmp_ne_u32_e64 s13, 0, v2
	v_and_b32_e32 v2, 16, v30
	s_and_b32 s29, s13, vcc_lo
	s_delay_alu instid0(SALU_CYCLE_1)
	s_and_saveexec_b32 s13, s29
	s_cbranch_execz .LBB4_2000
; %bb.1999:                             ;   in Loop: Header=BB4_305 Depth=3
	v_mov_b32_e32 v2, 1
	s_waitcnt lgkmcnt(0)
	s_waitcnt_vscnt null, 0x0
	buffer_gl1_inv
	buffer_gl0_inv
.LBB4_2000:                             ;   in Loop: Header=BB4_305 Depth=3
	s_or_b32 exec_lo, exec_lo, s13
.LBB4_2001:                             ;   in Loop: Header=BB4_305 Depth=3
	s_and_not1_saveexec_b32 s13, s14
	s_cbranch_execz .LBB4_2023
; %bb.2002:                             ;   in Loop: Header=BB4_305 Depth=3
	s_and_saveexec_b32 s14, s4
	s_delay_alu instid0(SALU_CYCLE_1)
	s_xor_b32 s14, exec_lo, s14
	s_cbranch_execz .LBB4_2020
; %bb.2003:                             ;   in Loop: Header=BB4_305 Depth=3
	s_and_saveexec_b32 s29, s1
	s_cbranch_execz .LBB4_2019
; %bb.2004:                             ;   in Loop: Header=BB4_305 Depth=3
	s_mov_b32 s31, exec_lo
	s_mov_b32 s30, exec_lo
	v_mbcnt_lo_u32_b32 v2, s31, 0
	;;#ASMSTART
	s_waitcnt lgkmcnt(0) vmcnt(0)
	;;#ASMEND
	s_delay_alu instid0(VALU_DEP_1)
	v_cmpx_eq_u32_e32 0, v2
	s_cbranch_execz .LBB4_2006
; %bb.2005:                             ;   in Loop: Header=BB4_305 Depth=3
	s_bcnt1_i32_b32 vcc_lo, s31
	s_delay_alu instid0(SALU_CYCLE_1)
	v_mov_b32_e32 v2, vcc_lo
	ds_add_u64 v0, v[2:3]
	s_cbranch_execz .LBB4_2006
; %bb.6781:
	s_getpc_b64 s[46:47]
.Lpost_getpc164:
	s_add_u32 s46, s46, (.LBB4_6385-.Lpost_getpc164)&4294967295
	s_addc_u32 s47, s47, (.LBB4_6385-.Lpost_getpc164)>>32
	s_setpc_b64 s[46:47]
.LBB4_2006:                             ;   in Loop: Header=BB4_305 Depth=3
	s_or_b32 exec_lo, exec_lo, s30
	s_cbranch_execz .LBB4_2007
; %bb.6783:
	s_getpc_b64 s[46:47]
.Lpost_getpc165:
	s_add_u32 s46, s46, (.LBB4_6363-.Lpost_getpc165)&4294967295
	s_addc_u32 s47, s47, (.LBB4_6363-.Lpost_getpc165)>>32
	s_setpc_b64 s[46:47]
.LBB4_2007:                             ;   in Loop: Header=BB4_305 Depth=3
	ds_load_b64 v[8:9], v0
	v_add_co_u32 v48, vcc_lo, v48, v97
	v_add_co_ci_u32_e32 v49, vcc_lo, 0, v49, vcc_lo
	s_mov_b32 s30, exec_lo
	s_waitcnt lgkmcnt(0)
	s_delay_alu instid0(VALU_DEP_1)
	v_cmpx_lt_u64_e64 v[8:9], v[48:49]
	s_cbranch_execz .LBB4_2018
; %bb.2008:                             ;   in Loop: Header=BB4_305 Depth=3
	s_mov_b32 s31, 0
	s_mov_b32 s36, 0
                                        ; implicit-def: $sgpr34
                                        ; implicit-def: $sgpr35
	s_branch .LBB4_2010
.LBB4_2009:                             ;   in Loop: Header=BB4_2010 Depth=4
	s_or_b32 exec_lo, exec_lo, s38
	s_delay_alu instid0(SALU_CYCLE_1) | instskip(NEXT) | instid1(SALU_CYCLE_1)
	s_and_b32 vcc_lo, exec_lo, vcc_lo
	s_or_b32 s31, vcc_lo, s31
	s_and_not1_b32 vcc_lo, s34, exec_lo
	s_and_b32 s34, s35, exec_lo
	s_delay_alu instid0(SALU_CYCLE_1)
	s_or_b32 s34, vcc_lo, s34
	s_and_not1_b32 exec_lo, exec_lo, s31
	s_cbranch_execz .LBB4_2016
.LBB4_2010:                             ;   Parent Loop BB4_51 Depth=1
                                        ;     Parent Loop BB4_303 Depth=2
                                        ;       Parent Loop BB4_305 Depth=3
                                        ; =>      This Inner Loop Header: Depth=4
	s_add_i32 s36, s36, 1
                                        ; implicit-def: $sgpr38
	s_delay_alu instid0(SALU_CYCLE_1) | instskip(SKIP_1) | instid1(SALU_CYCLE_1)
	s_cmpk_lg_i32 s36, 0x2710
	s_cselect_b32 s37, -1, 0
	s_and_b32 vcc_lo, exec_lo, s37
	s_cbranch_vccz .LBB4_2014
.LBB4_2011:                             ;   in Loop: Header=BB4_2010 Depth=4
	s_and_not1_b32 s35, s35, exec_lo
	s_and_b32 s38, s38, exec_lo
	s_mov_b32 vcc_lo, -1
	s_or_b32 s35, s35, s38
	s_and_saveexec_b32 s38, s37
	s_cbranch_execz .LBB4_2009
; %bb.2012:                             ;   in Loop: Header=BB4_2010 Depth=4
	s_sleep 1
	s_cbranch_execz .LBB4_2013
; %bb.6785:
	s_getpc_b64 s[46:47]
.Lpost_getpc166:
	s_add_u32 s46, s46, (.LBB4_6439-.Lpost_getpc166)&4294967295
	s_addc_u32 s47, s47, (.LBB4_6439-.Lpost_getpc166)>>32
	s_setpc_b64 s[46:47]
.LBB4_2013:                             ;   in Loop: Header=BB4_2010 Depth=4
	ds_load_b64 v[8:9], v0
	s_and_not1_b32 s35, s35, exec_lo
	s_waitcnt lgkmcnt(0)
	v_cmp_ge_u64_e32 vcc_lo, v[8:9], v[48:49]
	s_or_not1_b32 vcc_lo, vcc_lo, exec_lo
	s_branch .LBB4_2009
.LBB4_2014:                             ;   in Loop: Header=BB4_2010 Depth=4
	s_cbranch_execz .LBB4_2015
; %bb.6787:
	s_getpc_b64 s[46:47]
.Lpost_getpc167:
	s_add_u32 s46, s46, (.LBB4_6457-.Lpost_getpc167)&4294967295
	s_addc_u32 s47, s47, (.LBB4_6457-.Lpost_getpc167)>>32
	s_setpc_b64 s[46:47]
.LBB4_2015:                             ;   in Loop: Header=BB4_2010 Depth=4
	ds_load_b64 v[8:9], v0
	s_and_not1_b32 s37, s37, exec_lo
	s_mov_b32 s36, 0
	s_mov_b32 s38, -1
	s_waitcnt lgkmcnt(0)
	s_waitcnt_vscnt null, 0x0
	flat_load_b32 v2, v[8:9] glc
	s_waitcnt vmcnt(0) lgkmcnt(0)
	buffer_gl1_inv
	buffer_gl0_inv
	v_cmp_eq_u32_e32 vcc_lo, 0, v2
	s_and_b32 vcc_lo, vcc_lo, exec_lo
	s_delay_alu instid0(SALU_CYCLE_1)
	s_or_b32 s37, s37, vcc_lo
	s_branch .LBB4_2011
.LBB4_2016:                             ;   in Loop: Header=BB4_305 Depth=3
	s_or_b32 exec_lo, exec_lo, s31
	s_and_saveexec_b32 vcc_lo, s34
	s_delay_alu instid0(SALU_CYCLE_1)
	s_xor_b32 vcc_lo, exec_lo, vcc_lo
	s_cbranch_execz .LBB4_2018
; %bb.2017:                             ;   in Loop: Header=BB4_305 Depth=3
	ds_store_b32 v0, v134
	s_cbranch_execz .LBB4_2018
; %bb.6789:
	s_getpc_b64 s[46:47]
.Lpost_getpc168:
	s_add_u32 s46, s46, (.LBB4_6583-.Lpost_getpc168)&4294967295
	s_addc_u32 s47, s47, (.LBB4_6583-.Lpost_getpc168)>>32
	s_setpc_b64 s[46:47]
.LBB4_2018:                             ;   in Loop: Header=BB4_305 Depth=3
	s_or_b32 exec_lo, exec_lo, s30
	;;#ASMSTART
	s_wakeup
	;;#ASMEND
.LBB4_2019:                             ;   in Loop: Header=BB4_305 Depth=3
	s_or_b32 exec_lo, exec_lo, s29
.LBB4_2020:                             ;   in Loop: Header=BB4_305 Depth=3
	s_and_not1_saveexec_b32 s14, s14
	s_cbranch_execz .LBB4_2022
; %bb.2021:                             ;   in Loop: Header=BB4_305 Depth=3
	;;#ASMSTART
	s_waitcnt lgkmcnt(0) vmcnt(0)
	;;#ASMEND
	s_waitcnt lgkmcnt(0)
	s_waitcnt_vscnt null, 0x0
	s_barrier
.LBB4_2022:                             ;   in Loop: Header=BB4_305 Depth=3
	s_or_b32 exec_lo, exec_lo, s14
	v_and_b32_e32 v2, 16, v30
.LBB4_2023:                             ;   in Loop: Header=BB4_305 Depth=3
	s_or_b32 exec_lo, exec_lo, s13
	s_delay_alu instid0(VALU_DEP_1) | instskip(SKIP_1) | instid1(SALU_CYCLE_1)
	v_cmp_ne_u32_e32 vcc_lo, 0, v2
	s_xor_b32 s13, s10, -1
	s_and_b32 s14, vcc_lo, s13
	s_delay_alu instid0(SALU_CYCLE_1)
	s_and_saveexec_b32 s13, s14
	s_cbranch_execz .LBB4_2025
; %bb.2024:                             ;   in Loop: Header=BB4_305 Depth=3
	s_waitcnt lgkmcnt(0)
	s_waitcnt_vscnt null, 0x0
	flat_store_b32 v[38:39], v134
.LBB4_2025:                             ;   in Loop: Header=BB4_305 Depth=3
	s_or_b32 exec_lo, exec_lo, s13
	v_and_b32_e32 v2, 48, v30
	s_mov_b32 s13, exec_lo
	s_delay_alu instid0(VALU_DEP_1)
	v_cmpx_ne_u32_e32 0, v2
	s_cbranch_execz .LBB4_2027
; %bb.2026:                             ;   in Loop: Header=BB4_305 Depth=3
	v_add_co_u32 v34, vcc_lo, v34, 2
	v_add_co_ci_u32_e32 v35, vcc_lo, 0, v35, vcc_lo
	s_waitcnt lgkmcnt(0)
	s_waitcnt_vscnt null, 0x0
	flat_store_b64 v[32:33], v[34:35]
.LBB4_2027:                             ;   in Loop: Header=BB4_305 Depth=3
	s_or_b32 exec_lo, exec_lo, s13
	v_add_nc_u32_e32 v146, v68, v146
	v_readlane_b32 s13, v56, 10
	v_readlane_b32 s31, v56, 6
	;; [unrolled: 1-line block ×4, first 2 shown]
	v_cmp_ge_i32_e32 vcc_lo, v146, v145
	s_xor_b32 s13, s13, -1
	v_readlane_b32 s35, v56, 8
	s_mov_b32 s29, 0
	s_mov_b32 s36, 2
	s_or_b32 s13, s13, vcc_lo
	s_delay_alu instid0(SALU_CYCLE_1) | instskip(SKIP_3) | instid1(VALU_DEP_2)
	s_and_b32 s14, exec_lo, s13
	v_readlane_b32 s13, v56, 11
	s_or_b32 s17, s14, s17
	v_readlane_b32 s14, v56, 5
	v_mov_b32_e32 v2, s13
	s_and_not1_b32 exec_lo, exec_lo, s17
	s_cbranch_execnz .LBB4_305
; %bb.2028:                             ;   in Loop: Header=BB4_303 Depth=2
	s_or_b32 exec_lo, exec_lo, s17
.LBB4_2029:                             ;   in Loop: Header=BB4_303 Depth=2
	s_delay_alu instid0(SALU_CYCLE_1) | instskip(NEXT) | instid1(SALU_CYCLE_1)
	s_or_b32 exec_lo, exec_lo, s16
	s_mov_b32 s16, exec_lo
	v_cmpx_gt_i32_e32 2, v2
	s_cbranch_execz .LBB4_2115
; %bb.2030:                             ;   in Loop: Header=BB4_303 Depth=2
	v_cmp_eq_u32_e64 s13, 0, v2
	s_mov_b32 s17, 0
.LBB4_2031:                             ;   Parent Loop BB4_51 Depth=1
                                        ;     Parent Loop BB4_303 Depth=2
                                        ; =>    This Loop Header: Depth=3
                                        ;         Child Loop BB4_2037 Depth 4
                                        ;         Child Loop BB4_2069 Depth 4
	;; [unrolled: 1-line block ×3, first 2 shown]
	v_and_b32_e32 v2, 12, v30
	s_mov_b32 s36, -1
	s_mov_b32 s29, exec_lo
	s_delay_alu instid0(VALU_DEP_1)
	v_cmpx_ne_u32_e32 0, v2
	s_cbranch_execz .LBB4_2045
; %bb.2032:                             ;   in Loop: Header=BB4_2031 Depth=3
	v_and_b32_e32 v2, 8, v30
	s_delay_alu instid0(VALU_DEP_1) | instskip(SKIP_3) | instid1(VALU_DEP_1)
	v_add_co_u32 v10, vcc_lo, v50, v2
	v_add_co_ci_u32_e32 v11, vcc_lo, 0, v51, vcc_lo
	v_add_co_u32 v8, vcc_lo, v34, 2
	v_add_co_ci_u32_e32 v9, vcc_lo, 0, v35, vcc_lo
	v_cmp_lt_u64_e32 vcc_lo, v[10:11], v[8:9]
	v_mov_b32_e32 v10, 1
	s_and_saveexec_b32 s36, vcc_lo
	s_cbranch_execz .LBB4_2044
; %bb.2033:                             ;   in Loop: Header=BB4_2031 Depth=3
	v_mov_b32_e32 v10, 0
	s_mov_b32 s37, 0
                                        ; implicit-def: $sgpr38
	s_branch .LBB4_2037
.LBB4_2034:                             ;   in Loop: Header=BB4_2037 Depth=4
	s_or_b32 exec_lo, exec_lo, s42
	v_mov_b32_e32 v11, 0
	s_or_not1_b32 s41, s41, exec_lo
.LBB4_2035:                             ;   in Loop: Header=BB4_2037 Depth=4
	s_or_b32 exec_lo, exec_lo, s40
	s_delay_alu instid0(VALU_DEP_1) | instskip(SKIP_2) | instid1(SALU_CYCLE_1)
	v_mov_b32_e32 v10, v11
	s_and_not1_b32 vcc_lo, s38, exec_lo
	s_and_b32 s38, s41, exec_lo
	s_or_b32 s38, vcc_lo, s38
.LBB4_2036:                             ;   in Loop: Header=BB4_2037 Depth=4
	s_or_b32 exec_lo, exec_lo, s39
	s_waitcnt vmcnt(0) lgkmcnt(0)
	v_add_co_u32 v11, vcc_lo, v50, v2
	v_add_co_ci_u32_e32 v12, vcc_lo, 0, v51, vcc_lo
	s_xor_b32 s39, s38, -1
	s_delay_alu instid0(VALU_DEP_1) | instskip(SKIP_1) | instid1(SALU_CYCLE_1)
	v_cmp_ge_u64_e32 vcc_lo, v[11:12], v[8:9]
	s_or_b32 vcc_lo, s39, vcc_lo
	s_and_b32 vcc_lo, exec_lo, vcc_lo
	s_delay_alu instid0(SALU_CYCLE_1) | instskip(NEXT) | instid1(SALU_CYCLE_1)
	s_or_b32 s37, vcc_lo, s37
	s_and_not1_b32 exec_lo, exec_lo, s37
	s_cbranch_execz .LBB4_2043
.LBB4_2037:                             ;   Parent Loop BB4_51 Depth=1
                                        ;     Parent Loop BB4_303 Depth=2
                                        ;       Parent Loop BB4_2031 Depth=3
                                        ; =>      This Inner Loop Header: Depth=4
	s_sleep 1
	flat_load_b64 v[50:51], v[32:33] glc
	v_and_b32_e32 v11, 64, v30
	s_and_not1_b32 s38, s38, exec_lo
	s_mov_b32 s39, exec_lo
	s_delay_alu instid0(VALU_DEP_1)
	v_cmpx_eq_u32_e32 0, v11
	s_cbranch_execz .LBB4_2036
; %bb.2038:                             ;   in Loop: Header=BB4_2037 Depth=4
	v_add_nc_u32_e32 v11, 1, v10
	s_mov_b32 s41, -1
	s_mov_b32 s40, exec_lo
	v_cmpx_lt_i32_e32 0x270e, v10
	s_cbranch_execz .LBB4_2035
; %bb.2039:                             ;   in Loop: Header=BB4_2037 Depth=4
	s_cbranch_execz .LBB4_2040
; %bb.6791:
	s_getpc_b64 s[46:47]
.Lpost_getpc169:
	s_add_u32 s46, s46, (.LBB4_6183-.Lpost_getpc169)&4294967295
	s_addc_u32 s47, s47, (.LBB4_6183-.Lpost_getpc169)>>32
	s_setpc_b64 s[46:47]
.LBB4_2040:                             ;   in Loop: Header=BB4_2037 Depth=4
	ds_load_b64 v[10:11], v0
	s_mov_b32 s42, exec_lo
	s_waitcnt vmcnt(0) lgkmcnt(0)
	s_waitcnt_vscnt null, 0x0
	flat_load_b32 v10, v[10:11] glc
	s_waitcnt vmcnt(0) lgkmcnt(0)
	buffer_gl1_inv
	buffer_gl0_inv
	v_cmpx_ne_u32_e32 0, v10
	s_cbranch_execz .LBB4_2034
; %bb.2041:                             ;   in Loop: Header=BB4_2037 Depth=4
	ds_store_b32 v0, v10
	s_cbranch_execz .LBB4_2042
; %bb.6793:
	s_getpc_b64 s[46:47]
.Lpost_getpc170:
	s_add_u32 s46, s46, (.LBB4_6231-.Lpost_getpc170)&4294967295
	s_addc_u32 s47, s47, (.LBB4_6231-.Lpost_getpc170)>>32
	s_setpc_b64 s[46:47]
.LBB4_2042:                             ;   in Loop: Header=BB4_2037 Depth=4
	v_or_b32_e32 v30, 64, v30
	s_xor_b32 s41, exec_lo, -1
	s_branch .LBB4_2034
.LBB4_2043:                             ;   in Loop: Header=BB4_2031 Depth=3
	s_or_b32 exec_lo, exec_lo, s37
	v_and_b32_e32 v10, 12, v30
.LBB4_2044:                             ;   in Loop: Header=BB4_2031 Depth=3
	s_or_b32 exec_lo, exec_lo, s36
	s_delay_alu instid0(VALU_DEP_1)
	v_cmp_eq_u32_e32 vcc_lo, 0, v10
	;;#ASMSTART
	s_wakeup
	;;#ASMEND
	s_or_not1_b32 s36, vcc_lo, exec_lo
.LBB4_2045:                             ;   in Loop: Header=BB4_2031 Depth=3
	s_or_b32 exec_lo, exec_lo, s29
	v_sub_nc_u32_e32 v2, v145, v146
	s_xor_b32 s13, s13, -1
	s_delay_alu instid0(SALU_CYCLE_1) | instskip(NEXT) | instid1(SALU_CYCLE_1)
	s_and_b32 s13, exec_lo, s13
	s_or_b32 s17, s13, s17
	s_delay_alu instid0(VALU_DEP_1) | instskip(SKIP_1) | instid1(SALU_CYCLE_1)
	v_min_i32_e32 v68, v68, v2
	s_xor_b32 s13, s36, -1
	s_and_saveexec_b32 s29, s13
	s_cbranch_execz .LBB4_2060
; %bb.2046:                             ;   in Loop: Header=BB4_2031 Depth=3
	v_and_b32_e32 v2, 0x108, v30
	s_mov_b32 s13, exec_lo
	s_delay_alu instid0(VALU_DEP_1)
	v_cmpx_ne_u32_e32 0x108, v2
	s_xor_b32 s13, exec_lo, s13
                                        ; implicit-def: $vgpr8_vgpr9
; %bb.2047:                             ;   in Loop: Header=BB4_2031 Depth=3
	v_and_b32_e32 v8, 7, v34
; %bb.2048:                             ;   in Loop: Header=BB4_2031 Depth=3
	s_and_not1_saveexec_b32 s13, s13
	s_cbranch_execz .LBB4_2050
; %bb.2049:                             ;   in Loop: Header=BB4_2031 Depth=3
	v_and_b32_e32 v8, 7, v34
	v_ashrrev_i32_e32 v69, 31, v68
	s_delay_alu instid0(VALU_DEP_2)
	v_mad_u64_u32 v[9:10], null, v8, 24, v[6:7]
	flat_store_b64 v[9:10], v[68:69] offset:8
.LBB4_2050:                             ;   in Loop: Header=BB4_2031 Depth=3
	s_or_b32 exec_lo, exec_lo, s13
	v_and_b32_e32 v2, 0x100, v30
	s_mov_b32 s13, -1
	s_mov_b32 s36, exec_lo
                                        ; implicit-def: $vgpr9_vgpr10
	s_delay_alu instid0(VALU_DEP_1)
	v_cmpx_ne_u32_e32 0, v2
	s_cbranch_execnz .LBB4_2053
; %bb.2051:                             ;   in Loop: Header=BB4_2031 Depth=3
	s_or_b32 exec_lo, exec_lo, s36
	s_and_saveexec_b32 vcc_lo, s13
	s_cbranch_execnz .LBB4_2056
.LBB4_2052:                             ;   in Loop: Header=BB4_2031 Depth=3
	s_or_b32 exec_lo, exec_lo, vcc_lo
	s_cbranch_execz .LBB4_2057
; %bb.6795:
	s_getpc_b64 s[46:47]
.Lpost_getpc171:
	s_add_u32 s46, s46, (.LBB4_6175-.Lpost_getpc171)&4294967295
	s_addc_u32 s47, s47, (.LBB4_6175-.Lpost_getpc171)>>32
	s_setpc_b64 s[46:47]
.LBB4_2053:                             ;   in Loop: Header=BB4_2031 Depth=3
	v_mad_u64_u32 v[11:12], null, v8, 24, v[6:7]
	s_mov_b32 s37, exec_lo
	s_delay_alu instid0(VALU_DEP_1) | instskip(NEXT) | instid1(VALU_DEP_1)
	v_mov_b32_e32 v2, v12
	v_mad_u64_u32 v[9:10], null, v3, 24, v[2:3]
	s_delay_alu instid0(VALU_DEP_1)
	v_mov_b32_e32 v12, v9
                                        ; implicit-def: $vgpr9_vgpr10
	flat_load_b32 v2, v[11:12]
	s_waitcnt vmcnt(0) lgkmcnt(0)
	v_cmp_ne_u32_e32 vcc_lo, 1, v2
	v_cmpx_eq_u32_e32 1, v2
	s_cbranch_execz .LBB4_2055
; %bb.2054:                             ;   in Loop: Header=BB4_2031 Depth=3
	flat_load_b32 v9, v[11:12] offset:4 glc
	s_waitcnt vmcnt(0) lgkmcnt(0)
	v_ashrrev_i32_e32 v10, 31, v9
.LBB4_2055:                             ;   in Loop: Header=BB4_2031 Depth=3
	s_or_b32 exec_lo, exec_lo, s37
	s_delay_alu instid0(SALU_CYCLE_1)
	s_or_not1_b32 s13, vcc_lo, exec_lo
	s_or_b32 exec_lo, exec_lo, s36
	s_and_saveexec_b32 vcc_lo, s13
	s_cbranch_execz .LBB4_2052
.LBB4_2056:                             ;   in Loop: Header=BB4_2031 Depth=3
	v_mul_lo_u32 v2, v3, v86
	v_mul_lo_u32 v11, v8, v96
	v_mad_u64_u32 v[9:10], null, v8, v86, 0
	s_delay_alu instid0(VALU_DEP_1)
	v_add3_u32 v10, v10, v11, v2
	s_or_b32 exec_lo, exec_lo, vcc_lo
	s_cbranch_execz .LBB4_2057
; %bb.6797:
	s_getpc_b64 s[46:47]
.Lpost_getpc172:
	s_add_u32 s46, s46, (.LBB4_6175-.Lpost_getpc172)&4294967295
	s_addc_u32 s47, s47, (.LBB4_6175-.Lpost_getpc172)>>32
	s_setpc_b64 s[46:47]
.LBB4_2057:                             ;   in Loop: Header=BB4_2031 Depth=3
	s_delay_alu instid0(VALU_DEP_2)
	v_add_co_u32 v8, vcc_lo, v36, v9
	v_and_b32_e32 v2, 0x2000, v30
	v_add_co_ci_u32_e32 v9, vcc_lo, v37, v10, vcc_lo
	s_mov_b32 s13, exec_lo
	ds_store_b64 v0, v[8:9]
	v_cmpx_ne_u32_e32 0, v2
	s_cbranch_execz .LBB4_2059
; %bb.2058:                             ;   in Loop: Header=BB4_2031 Depth=3
	ds_load_b64 v[8:9], v0 offset:584
	s_waitcnt lgkmcnt(0)
	v_add_co_u32 v8, vcc_lo, v8, 1
	v_add_co_ci_u32_e32 v9, vcc_lo, 0, v9, vcc_lo
	ds_store_b64 v0, v[8:9] offset:584
.LBB4_2059:                             ;   in Loop: Header=BB4_2031 Depth=3
	s_or_b32 exec_lo, exec_lo, s13
	v_add_co_u32 v34, vcc_lo, v34, 2
	v_add_co_ci_u32_e32 v35, vcc_lo, 0, v35, vcc_lo
.LBB4_2060:                             ;   in Loop: Header=BB4_2031 Depth=3
	s_or_b32 exec_lo, exec_lo, s29
	s_and_saveexec_b32 s13, s3
	s_cbranch_execz .LBB4_2082
; %bb.2061:                             ;   in Loop: Header=BB4_2031 Depth=3
	s_and_saveexec_b32 s29, s4
	s_delay_alu instid0(SALU_CYCLE_1)
	s_xor_b32 s29, exec_lo, s29
	s_cbranch_execz .LBB4_2079
; %bb.2062:                             ;   in Loop: Header=BB4_2031 Depth=3
	s_and_saveexec_b32 s36, s1
	s_cbranch_execz .LBB4_2078
; %bb.2063:                             ;   in Loop: Header=BB4_2031 Depth=3
	s_mov_b32 s38, exec_lo
	s_mov_b32 s37, exec_lo
	v_mbcnt_lo_u32_b32 v2, s38, 0
	s_waitcnt lgkmcnt(0)
	s_waitcnt_vscnt null, 0x0
	buffer_gl1_inv
	buffer_gl0_inv
	v_cmpx_eq_u32_e32 0, v2
	s_cbranch_execz .LBB4_2065
; %bb.2064:                             ;   in Loop: Header=BB4_2031 Depth=3
	s_bcnt1_i32_b32 vcc_lo, s38
	s_delay_alu instid0(SALU_CYCLE_1)
	v_mov_b32_e32 v2, vcc_lo
	ds_add_u64 v0, v[2:3]
	s_cbranch_execz .LBB4_2065
; %bb.6799:
	s_getpc_b64 s[46:47]
.Lpost_getpc173:
	s_add_u32 s46, s46, (.LBB4_6285-.Lpost_getpc173)&4294967295
	s_addc_u32 s47, s47, (.LBB4_6285-.Lpost_getpc173)>>32
	s_setpc_b64 s[46:47]
.LBB4_2065:                             ;   in Loop: Header=BB4_2031 Depth=3
	s_or_b32 exec_lo, exec_lo, s37
	s_cbranch_execz .LBB4_2066
; %bb.6801:
	s_getpc_b64 s[46:47]
.Lpost_getpc174:
	s_add_u32 s46, s46, (.LBB4_6251-.Lpost_getpc174)&4294967295
	s_addc_u32 s47, s47, (.LBB4_6251-.Lpost_getpc174)>>32
	s_setpc_b64 s[46:47]
.LBB4_2066:                             ;   in Loop: Header=BB4_2031 Depth=3
	ds_load_b64 v[8:9], v0
	v_add_co_u32 v48, vcc_lo, v48, v97
	v_add_co_ci_u32_e32 v49, vcc_lo, 0, v49, vcc_lo
	s_mov_b32 s37, exec_lo
	s_waitcnt lgkmcnt(0)
	s_delay_alu instid0(VALU_DEP_1)
	v_cmpx_lt_u64_e64 v[8:9], v[48:49]
	s_cbranch_execz .LBB4_2077
; %bb.2067:                             ;   in Loop: Header=BB4_2031 Depth=3
	s_mov_b32 s38, 0
	s_mov_b32 s41, 0
                                        ; implicit-def: $sgpr39
                                        ; implicit-def: $sgpr40
	s_branch .LBB4_2069
.LBB4_2068:                             ;   in Loop: Header=BB4_2069 Depth=4
	s_or_b32 exec_lo, exec_lo, s43
	s_delay_alu instid0(SALU_CYCLE_1) | instskip(NEXT) | instid1(SALU_CYCLE_1)
	s_and_b32 vcc_lo, exec_lo, vcc_lo
	s_or_b32 s38, vcc_lo, s38
	s_and_not1_b32 vcc_lo, s39, exec_lo
	s_and_b32 s39, s40, exec_lo
	s_delay_alu instid0(SALU_CYCLE_1)
	s_or_b32 s39, vcc_lo, s39
	s_and_not1_b32 exec_lo, exec_lo, s38
	s_cbranch_execz .LBB4_2075
.LBB4_2069:                             ;   Parent Loop BB4_51 Depth=1
                                        ;     Parent Loop BB4_303 Depth=2
                                        ;       Parent Loop BB4_2031 Depth=3
                                        ; =>      This Inner Loop Header: Depth=4
	s_add_i32 s41, s41, 1
                                        ; implicit-def: $sgpr43
	s_delay_alu instid0(SALU_CYCLE_1) | instskip(SKIP_1) | instid1(SALU_CYCLE_1)
	s_cmpk_lg_i32 s41, 0x2710
	s_cselect_b32 s42, -1, 0
	s_and_b32 vcc_lo, exec_lo, s42
	s_cbranch_vccz .LBB4_2073
.LBB4_2070:                             ;   in Loop: Header=BB4_2069 Depth=4
	s_and_not1_b32 s40, s40, exec_lo
	s_and_b32 s43, s43, exec_lo
	s_mov_b32 vcc_lo, -1
	s_or_b32 s40, s40, s43
	s_and_saveexec_b32 s43, s42
	s_cbranch_execz .LBB4_2068
; %bb.2071:                             ;   in Loop: Header=BB4_2069 Depth=4
	s_sleep 1
	s_cbranch_execz .LBB4_2072
; %bb.6803:
	s_getpc_b64 s[46:47]
.Lpost_getpc175:
	s_add_u32 s46, s46, (.LBB4_6333-.Lpost_getpc175)&4294967295
	s_addc_u32 s47, s47, (.LBB4_6333-.Lpost_getpc175)>>32
	s_setpc_b64 s[46:47]
.LBB4_2072:                             ;   in Loop: Header=BB4_2069 Depth=4
	ds_load_b64 v[8:9], v0
	s_and_not1_b32 s40, s40, exec_lo
	s_waitcnt lgkmcnt(0)
	v_cmp_ge_u64_e32 vcc_lo, v[8:9], v[48:49]
	s_or_not1_b32 vcc_lo, vcc_lo, exec_lo
	s_branch .LBB4_2068
.LBB4_2073:                             ;   in Loop: Header=BB4_2069 Depth=4
	s_cbranch_execz .LBB4_2074
; %bb.6805:
	s_getpc_b64 s[46:47]
.Lpost_getpc176:
	s_add_u32 s46, s46, (.LBB4_6343-.Lpost_getpc176)&4294967295
	s_addc_u32 s47, s47, (.LBB4_6343-.Lpost_getpc176)>>32
	s_setpc_b64 s[46:47]
.LBB4_2074:                             ;   in Loop: Header=BB4_2069 Depth=4
	ds_load_b64 v[8:9], v0
	s_and_not1_b32 s42, s42, exec_lo
	s_mov_b32 s41, 0
	s_mov_b32 s43, -1
	s_waitcnt lgkmcnt(0)
	flat_load_b32 v2, v[8:9] glc
	s_waitcnt vmcnt(0) lgkmcnt(0)
	buffer_gl1_inv
	buffer_gl0_inv
	v_cmp_eq_u32_e32 vcc_lo, 0, v2
	s_and_b32 vcc_lo, vcc_lo, exec_lo
	s_delay_alu instid0(SALU_CYCLE_1)
	s_or_b32 s42, s42, vcc_lo
	s_branch .LBB4_2070
.LBB4_2075:                             ;   in Loop: Header=BB4_2031 Depth=3
	s_or_b32 exec_lo, exec_lo, s38
	s_and_saveexec_b32 vcc_lo, s39
	s_delay_alu instid0(SALU_CYCLE_1)
	s_xor_b32 vcc_lo, exec_lo, vcc_lo
	s_cbranch_execz .LBB4_2077
; %bb.2076:                             ;   in Loop: Header=BB4_2031 Depth=3
	ds_store_b32 v0, v134
	s_cbranch_execz .LBB4_2077
; %bb.6807:
	s_getpc_b64 s[46:47]
.Lpost_getpc177:
	s_add_u32 s46, s46, (.LBB4_6543-.Lpost_getpc177)&4294967295
	s_addc_u32 s47, s47, (.LBB4_6543-.Lpost_getpc177)>>32
	s_setpc_b64 s[46:47]
.LBB4_2077:                             ;   in Loop: Header=BB4_2031 Depth=3
	s_or_b32 exec_lo, exec_lo, s37
	;;#ASMSTART
	s_wakeup
	;;#ASMEND
.LBB4_2078:                             ;   in Loop: Header=BB4_2031 Depth=3
	s_or_b32 exec_lo, exec_lo, s36
.LBB4_2079:                             ;   in Loop: Header=BB4_2031 Depth=3
	s_and_not1_saveexec_b32 s29, s29
	s_cbranch_execz .LBB4_2081
; %bb.2080:                             ;   in Loop: Header=BB4_2031 Depth=3
	s_waitcnt lgkmcnt(0)
	s_waitcnt_vscnt null, 0x0
	buffer_gl1_inv
	buffer_gl0_inv
	s_barrier
.LBB4_2081:                             ;   in Loop: Header=BB4_2031 Depth=3
	s_or_b32 exec_lo, exec_lo, s29
.LBB4_2082:                             ;   in Loop: Header=BB4_2031 Depth=3
	s_delay_alu instid0(SALU_CYCLE_1) | instskip(SKIP_1) | instid1(SALU_CYCLE_1)
	s_or_b32 exec_lo, exec_lo, s13
                                        ; implicit-def: $vgpr2
	s_and_saveexec_b32 s13, vcc_hi
	s_xor_b32 s13, exec_lo, s13
	s_cbranch_execz .LBB4_2104
; %bb.2083:                             ;   in Loop: Header=BB4_2031 Depth=3
	s_and_saveexec_b32 s29, s4
	s_delay_alu instid0(SALU_CYCLE_1)
	s_xor_b32 s29, exec_lo, s29
	s_cbranch_execz .LBB4_2101
; %bb.2084:                             ;   in Loop: Header=BB4_2031 Depth=3
	s_and_saveexec_b32 s36, s1
	s_cbranch_execz .LBB4_2100
; %bb.2085:                             ;   in Loop: Header=BB4_2031 Depth=3
	s_mov_b32 s38, exec_lo
	s_mov_b32 s37, exec_lo
	v_mbcnt_lo_u32_b32 v2, s38, 0
	;;#ASMSTART
	s_waitcnt lgkmcnt(0) vmcnt(0)
	;;#ASMEND
	s_delay_alu instid0(VALU_DEP_1)
	v_cmpx_eq_u32_e32 0, v2
	s_cbranch_execz .LBB4_2087
; %bb.2086:                             ;   in Loop: Header=BB4_2031 Depth=3
	s_bcnt1_i32_b32 vcc_lo, s38
	s_delay_alu instid0(SALU_CYCLE_1)
	v_mov_b32_e32 v2, vcc_lo
	ds_add_u64 v0, v[2:3]
	s_cbranch_execz .LBB4_2087
; %bb.6809:
	s_getpc_b64 s[46:47]
.Lpost_getpc178:
	s_add_u32 s46, s46, (.LBB4_6293-.Lpost_getpc178)&4294967295
	s_addc_u32 s47, s47, (.LBB4_6293-.Lpost_getpc178)>>32
	s_setpc_b64 s[46:47]
.LBB4_2087:                             ;   in Loop: Header=BB4_2031 Depth=3
	s_or_b32 exec_lo, exec_lo, s37
	s_cbranch_execz .LBB4_2088
; %bb.6811:
	s_getpc_b64 s[46:47]
.Lpost_getpc179:
	s_add_u32 s46, s46, (.LBB4_6261-.Lpost_getpc179)&4294967295
	s_addc_u32 s47, s47, (.LBB4_6261-.Lpost_getpc179)>>32
	s_setpc_b64 s[46:47]
.LBB4_2088:                             ;   in Loop: Header=BB4_2031 Depth=3
	ds_load_b64 v[8:9], v0
	v_add_co_u32 v48, vcc_lo, v48, v97
	v_add_co_ci_u32_e32 v49, vcc_lo, 0, v49, vcc_lo
	s_mov_b32 s37, exec_lo
	s_waitcnt lgkmcnt(0)
	s_delay_alu instid0(VALU_DEP_1)
	v_cmpx_lt_u64_e64 v[8:9], v[48:49]
	s_cbranch_execz .LBB4_2099
; %bb.2089:                             ;   in Loop: Header=BB4_2031 Depth=3
	s_mov_b32 s38, 0
	s_mov_b32 s41, 0
                                        ; implicit-def: $sgpr39
                                        ; implicit-def: $sgpr40
	s_branch .LBB4_2091
.LBB4_2090:                             ;   in Loop: Header=BB4_2091 Depth=4
	s_or_b32 exec_lo, exec_lo, s43
	s_delay_alu instid0(SALU_CYCLE_1) | instskip(NEXT) | instid1(SALU_CYCLE_1)
	s_and_b32 vcc_lo, exec_lo, vcc_lo
	s_or_b32 s38, vcc_lo, s38
	s_and_not1_b32 vcc_lo, s39, exec_lo
	s_and_b32 s39, s40, exec_lo
	s_delay_alu instid0(SALU_CYCLE_1)
	s_or_b32 s39, vcc_lo, s39
	s_and_not1_b32 exec_lo, exec_lo, s38
	s_cbranch_execz .LBB4_2097
.LBB4_2091:                             ;   Parent Loop BB4_51 Depth=1
                                        ;     Parent Loop BB4_303 Depth=2
                                        ;       Parent Loop BB4_2031 Depth=3
                                        ; =>      This Inner Loop Header: Depth=4
	s_add_i32 s41, s41, 1
                                        ; implicit-def: $sgpr43
	s_delay_alu instid0(SALU_CYCLE_1) | instskip(SKIP_1) | instid1(SALU_CYCLE_1)
	s_cmpk_lg_i32 s41, 0x2710
	s_cselect_b32 s42, -1, 0
	s_and_b32 vcc_lo, exec_lo, s42
	s_cbranch_vccz .LBB4_2095
.LBB4_2092:                             ;   in Loop: Header=BB4_2091 Depth=4
	s_and_not1_b32 s40, s40, exec_lo
	s_and_b32 s43, s43, exec_lo
	s_mov_b32 vcc_lo, -1
	s_or_b32 s40, s40, s43
	s_and_saveexec_b32 s43, s42
	s_cbranch_execz .LBB4_2090
; %bb.2093:                             ;   in Loop: Header=BB4_2091 Depth=4
	s_sleep 1
	s_cbranch_execz .LBB4_2094
; %bb.6813:
	s_getpc_b64 s[46:47]
.Lpost_getpc180:
	s_add_u32 s46, s46, (.LBB4_6337-.Lpost_getpc180)&4294967295
	s_addc_u32 s47, s47, (.LBB4_6337-.Lpost_getpc180)>>32
	s_setpc_b64 s[46:47]
.LBB4_2094:                             ;   in Loop: Header=BB4_2091 Depth=4
	ds_load_b64 v[8:9], v0
	s_and_not1_b32 s40, s40, exec_lo
	s_waitcnt lgkmcnt(0)
	v_cmp_ge_u64_e32 vcc_lo, v[8:9], v[48:49]
	s_or_not1_b32 vcc_lo, vcc_lo, exec_lo
	s_branch .LBB4_2090
.LBB4_2095:                             ;   in Loop: Header=BB4_2091 Depth=4
	s_cbranch_execz .LBB4_2096
; %bb.6815:
	s_getpc_b64 s[46:47]
.Lpost_getpc181:
	s_add_u32 s46, s46, (.LBB4_6355-.Lpost_getpc181)&4294967295
	s_addc_u32 s47, s47, (.LBB4_6355-.Lpost_getpc181)>>32
	s_setpc_b64 s[46:47]
.LBB4_2096:                             ;   in Loop: Header=BB4_2091 Depth=4
	ds_load_b64 v[8:9], v0
	s_and_not1_b32 s42, s42, exec_lo
	s_mov_b32 s41, 0
	s_mov_b32 s43, -1
	s_waitcnt lgkmcnt(0)
	s_waitcnt_vscnt null, 0x0
	flat_load_b32 v2, v[8:9] glc
	s_waitcnt vmcnt(0) lgkmcnt(0)
	buffer_gl1_inv
	buffer_gl0_inv
	v_cmp_eq_u32_e32 vcc_lo, 0, v2
	s_and_b32 vcc_lo, vcc_lo, exec_lo
	s_delay_alu instid0(SALU_CYCLE_1)
	s_or_b32 s42, s42, vcc_lo
	s_branch .LBB4_2092
.LBB4_2097:                             ;   in Loop: Header=BB4_2031 Depth=3
	s_or_b32 exec_lo, exec_lo, s38
	s_and_saveexec_b32 vcc_lo, s39
	s_delay_alu instid0(SALU_CYCLE_1)
	s_xor_b32 vcc_lo, exec_lo, vcc_lo
	s_cbranch_execz .LBB4_2099
; %bb.2098:                             ;   in Loop: Header=BB4_2031 Depth=3
	ds_store_b32 v0, v134
	s_cbranch_execz .LBB4_2099
; %bb.6817:
	s_getpc_b64 s[46:47]
.Lpost_getpc182:
	s_add_u32 s46, s46, (.LBB4_6547-.Lpost_getpc182)&4294967295
	s_addc_u32 s47, s47, (.LBB4_6547-.Lpost_getpc182)>>32
	s_setpc_b64 s[46:47]
.LBB4_2099:                             ;   in Loop: Header=BB4_2031 Depth=3
	s_or_b32 exec_lo, exec_lo, s37
	;;#ASMSTART
	s_wakeup
	;;#ASMEND
.LBB4_2100:                             ;   in Loop: Header=BB4_2031 Depth=3
	s_or_b32 exec_lo, exec_lo, s36
.LBB4_2101:                             ;   in Loop: Header=BB4_2031 Depth=3
	s_and_not1_saveexec_b32 s29, s29
	s_cbranch_execz .LBB4_2103
; %bb.2102:                             ;   in Loop: Header=BB4_2031 Depth=3
	;;#ASMSTART
	s_waitcnt lgkmcnt(0) vmcnt(0)
	;;#ASMEND
	s_waitcnt lgkmcnt(0)
	s_waitcnt_vscnt null, 0x0
	s_barrier
.LBB4_2103:                             ;   in Loop: Header=BB4_2031 Depth=3
	s_or_b32 exec_lo, exec_lo, s29
	v_and_b32_e32 v2, 16, v30
.LBB4_2104:                             ;   in Loop: Header=BB4_2031 Depth=3
	s_and_not1_saveexec_b32 s29, s13
	s_cbranch_execz .LBB4_2109
; %bb.2105:                             ;   in Loop: Header=BB4_2031 Depth=3
	s_cbranch_execz .LBB4_2106
; %bb.6819:
	s_getpc_b64 s[46:47]
.Lpost_getpc183:
	s_add_u32 s46, s46, (.LBB4_6197-.Lpost_getpc183)&4294967295
	s_addc_u32 s47, s47, (.LBB4_6197-.Lpost_getpc183)>>32
	s_setpc_b64 s[46:47]
.LBB4_2106:                             ;   in Loop: Header=BB4_2031 Depth=3
	ds_load_b32 v2, v0
	v_cmp_lt_i32_e32 vcc_lo, 0, v68
	s_waitcnt lgkmcnt(0)
	v_readfirstlane_b32 s13, v2
	v_and_b32_e32 v2, 16, v30
	s_delay_alu instid0(VALU_DEP_2) | instskip(NEXT) | instid1(VALU_DEP_1)
	s_cmp_eq_u32 s13, 0
	v_cmp_ne_u32_e64 s13, 0, v2
	s_cselect_b32 s36, -1, 0
	v_and_b32_e32 v2, 16, v30
	s_and_b32 vcc_lo, vcc_lo, s36
	s_delay_alu instid0(VALU_DEP_2) | instid1(SALU_CYCLE_1)
	s_and_b32 vcc_lo, s13, vcc_lo
	s_delay_alu instid0(SALU_CYCLE_1)
	s_and_saveexec_b32 s13, vcc_lo
	s_cbranch_execz .LBB4_2108
; %bb.2107:                             ;   in Loop: Header=BB4_2031 Depth=3
	v_mov_b32_e32 v2, 1
	s_waitcnt_vscnt null, 0x0
	buffer_gl1_inv
	buffer_gl0_inv
.LBB4_2108:                             ;   in Loop: Header=BB4_2031 Depth=3
	s_or_b32 exec_lo, exec_lo, s13
.LBB4_2109:                             ;   in Loop: Header=BB4_2031 Depth=3
	s_delay_alu instid0(SALU_CYCLE_1) | instskip(NEXT) | instid1(VALU_DEP_1)
	s_or_b32 exec_lo, exec_lo, s29
	v_cmp_ne_u32_e32 vcc_lo, 0, v2
	s_xor_b32 s13, s10, -1
	s_delay_alu instid0(SALU_CYCLE_1) | instskip(NEXT) | instid1(SALU_CYCLE_1)
	s_and_b32 s29, vcc_lo, s13
	s_and_saveexec_b32 s13, s29
	s_cbranch_execz .LBB4_2111
; %bb.2110:                             ;   in Loop: Header=BB4_2031 Depth=3
	s_waitcnt lgkmcnt(0)
	s_waitcnt_vscnt null, 0x0
	flat_store_b32 v[38:39], v134
.LBB4_2111:                             ;   in Loop: Header=BB4_2031 Depth=3
	s_or_b32 exec_lo, exec_lo, s13
	v_and_b32_e32 v2, 48, v30
	s_mov_b32 s13, exec_lo
	s_delay_alu instid0(VALU_DEP_1)
	v_cmpx_ne_u32_e32 0, v2
	s_cbranch_execz .LBB4_2113
; %bb.2112:                             ;   in Loop: Header=BB4_2031 Depth=3
	v_add_co_u32 v34, vcc_lo, v34, 2
	v_add_co_ci_u32_e32 v35, vcc_lo, 0, v35, vcc_lo
	s_waitcnt lgkmcnt(0)
	s_waitcnt_vscnt null, 0x0
	flat_store_b64 v[32:33], v[34:35]
.LBB4_2113:                             ;   in Loop: Header=BB4_2031 Depth=3
	s_or_b32 exec_lo, exec_lo, s13
	v_add_nc_u32_e32 v146, v68, v146
	s_mov_b32 s13, 0
	s_and_not1_b32 exec_lo, exec_lo, s17
	s_cbranch_execnz .LBB4_2031
; %bb.2114:                             ;   in Loop: Header=BB4_303 Depth=2
	s_or_b32 exec_lo, exec_lo, s17
.LBB4_2115:                             ;   in Loop: Header=BB4_303 Depth=2
	s_delay_alu instid0(SALU_CYCLE_1) | instskip(SKIP_1) | instid1(SALU_CYCLE_1)
	s_or_b32 exec_lo, exec_lo, s16
	s_add_i32 s15, s15, 1
	s_cmp_eq_u32 s15, s19
	s_cbranch_scc0 .LBB4_303
; %bb.2116:                             ;   in Loop: Header=BB4_51 Depth=1
	v_readlane_b32 s17, v56, 0
	s_mov_b32 s29, s2
.LBB4_2117:                             ;   in Loop: Header=BB4_51 Depth=1
	v_mul_lo_u32 v2, v65, s19
	v_mul_lo_u32 v10, v64, s21
	v_mad_u64_u32 v[8:9], null, v64, s19, 0
	s_mov_b32 s16, 0
	v_mov_b32_e32 v145, 0
	s_delay_alu instid0(VALU_DEP_2) | instskip(NEXT) | instid1(VALU_DEP_3)
	v_add3_u32 v9, v9, v10, v2
	v_sub_co_u32 v10, vcc_lo, v66, v8
	s_delay_alu instid0(VALU_DEP_2) | instskip(NEXT) | instid1(VALU_DEP_1)
	v_sub_co_ci_u32_e32 v11, vcc_lo, v67, v9, vcc_lo
	v_cmp_lt_i64_e32 vcc_lo, v[64:65], v[10:11]
	v_cndmask_b32_e32 v10, v10, v64, vcc_lo
	s_delay_alu instid0(VALU_DEP_1) | instskip(NEXT) | instid1(VALU_DEP_1)
	v_max_i32_e32 v71, 0, v10
	v_add_nc_u32_e32 v2, 31, v71
	s_delay_alu instid0(VALU_DEP_1) | instskip(NEXT) | instid1(VALU_DEP_1)
	v_lshrrev_b32_e32 v2, 1, v2
	v_and_b32_e32 v11, 0x3ffffff0, v2
	v_cmp_lt_i32_e32 vcc_lo, 0, v10
	v_mov_b32_e32 v2, 0
	s_delay_alu instid0(VALU_DEP_3) | instskip(SKIP_1) | instid1(SALU_CYCLE_1)
	v_max_i32_e32 v68, s28, v11
	s_and_b32 s13, s30, vcc_lo
	s_and_saveexec_b32 s2, s13
	s_cbranch_execnz .LBB4_2118
; %bb.6821:                             ;   in Loop: Header=BB4_51 Depth=1
	s_getpc_b64 s[46:47]
.Lpost_getpc184:
	s_add_u32 s46, s46, (.LBB4_5444-.Lpost_getpc184)&4294967295
	s_addc_u32 s47, s47, (.LBB4_5444-.Lpost_getpc184)>>32
	s_setpc_b64 s[46:47]
.LBB4_2118:                             ;   in Loop: Header=BB4_51 Depth=1
	v_add_co_u32 v146, vcc_lo, v8, v135
	v_add_co_ci_u32_e32 v147, vcc_lo, v9, v144, vcc_lo
	v_mov_b32_e32 v145, 0
	s_mov_b32 s38, 1
	s_mov_b32 s37, -1
	v_writelane_b32 v56, s2, 1
.LBB4_2119:                             ;   Parent Loop BB4_51 Depth=1
                                        ; =>  This Loop Header: Depth=2
                                        ;       Child Loop BB4_2128 Depth 3
                                        ;       Child Loop BB4_2158 Depth 3
	;; [unrolled: 1-line block ×5, first 2 shown]
                                        ;         Child Loop BB4_3238 Depth 4
                                        ;       Child Loop BB4_3380 Depth 3
                                        ;       Child Loop BB4_3767 Depth 3
                                        ;         Child Loop BB4_3784 Depth 4
                                        ;       Child Loop BB4_3808 Depth 3
                                        ;       Child Loop BB4_4582 Depth 3
	;; [unrolled: 1-line block ×6, first 2 shown]
	s_and_saveexec_b32 s2, s0
	s_cbranch_execz .LBB4_2122
; %bb.2120:                             ;   in Loop: Header=BB4_2119 Depth=2
	s_cbranch_execz .LBB4_2121
; %bb.6823:
	s_getpc_b64 s[46:47]
.Lpost_getpc185:
	s_add_u32 s46, s46, (.LBB4_6165-.Lpost_getpc185)&4294967295
	s_addc_u32 s47, s47, (.LBB4_6165-.Lpost_getpc185)>>32
	s_setpc_b64 s[46:47]
.LBB4_2121:                             ;   in Loop: Header=BB4_2119 Depth=2
	ds_load_2addr_b64 v[8:11], v0 offset1:1
	ds_load_b64 v[12:13], v0
	v_ashrrev_i32_e32 v2, 31, v145
	s_waitcnt lgkmcnt(1)
	v_add_co_u32 v8, vcc_lo, v8, v146
	v_add_co_ci_u32_e32 v9, vcc_lo, v9, v147, vcc_lo
	v_add_co_u32 v10, vcc_lo, v10, v146
	v_add_co_ci_u32_e32 v11, vcc_lo, v11, v147, vcc_lo
	s_waitcnt lgkmcnt(0)
	v_add_co_u32 v14, vcc_lo, v12, v146
	v_add_co_ci_u32_e32 v15, vcc_lo, v13, v147, vcc_lo
	v_add_co_u32 v8, vcc_lo, v8, v145
	v_add_co_ci_u32_e32 v9, vcc_lo, v9, v2, vcc_lo
	s_delay_alu instid0(VALU_DEP_4) | instskip(NEXT) | instid1(VALU_DEP_4)
	v_add_co_u32 v14, vcc_lo, v14, v145
	v_add_co_ci_u32_e32 v15, vcc_lo, v15, v2, vcc_lo
	v_cmp_ne_u64_e32 vcc_lo, 0, v[12:13]
	v_add_co_u32 v10, s13, v10, v145
	s_delay_alu instid0(VALU_DEP_1) | instskip(NEXT) | instid1(VALU_DEP_4)
	v_add_co_ci_u32_e64 v11, s13, v11, v2, s13
	v_dual_cndmask_b32 v13, 0, v15 :: v_dual_cndmask_b32 v12, 0, v14
	ds_store_b64 v0, v[8:9]
	ds_store_b64 v0, v[10:11]
	;; [unrolled: 1-line block ×3, first 2 shown]
.LBB4_2122:                             ;   in Loop: Header=BB4_2119 Depth=2
	s_or_b32 exec_lo, exec_lo, s2
	v_and_b32_e32 v2, 12, v30
	s_mov_b32 s17, -1
	s_mov_b32 s2, exec_lo
	s_delay_alu instid0(VALU_DEP_1)
	v_cmpx_ne_u32_e32 0, v2
	s_cbranch_execz .LBB4_2136
; %bb.2123:                             ;   in Loop: Header=BB4_2119 Depth=2
	v_and_b32_e32 v2, 8, v30
	s_mov_b32 s13, s38
	s_mov_b32 s15, s37
	s_delay_alu instid0(VALU_DEP_1) | instskip(SKIP_3) | instid1(VALU_DEP_1)
	v_add_co_u32 v10, vcc_lo, v50, v2
	v_add_co_ci_u32_e32 v11, vcc_lo, 0, v51, vcc_lo
	v_add_co_u32 v8, vcc_lo, v34, 2
	v_add_co_ci_u32_e32 v9, vcc_lo, 0, v35, vcc_lo
	v_cmp_lt_u64_e32 vcc_lo, v[10:11], v[8:9]
	v_mov_b32_e32 v10, 1
	s_and_saveexec_b32 s17, vcc_lo
	s_cbranch_execz .LBB4_2135
; %bb.2124:                             ;   in Loop: Header=BB4_2119 Depth=2
	v_mov_b32_e32 v10, 0
	s_mov_b32 s36, 0
                                        ; implicit-def: $sgpr37
	s_branch .LBB4_2128
.LBB4_2125:                             ;   in Loop: Header=BB4_2128 Depth=3
	s_or_b32 exec_lo, exec_lo, s41
	v_mov_b32_e32 v11, 0
	s_or_not1_b32 s40, s40, exec_lo
.LBB4_2126:                             ;   in Loop: Header=BB4_2128 Depth=3
	s_or_b32 exec_lo, exec_lo, s39
	s_delay_alu instid0(VALU_DEP_1) | instskip(SKIP_2) | instid1(SALU_CYCLE_1)
	v_mov_b32_e32 v10, v11
	s_and_not1_b32 vcc_lo, s37, exec_lo
	s_and_b32 s37, s40, exec_lo
	s_or_b32 s37, vcc_lo, s37
.LBB4_2127:                             ;   in Loop: Header=BB4_2128 Depth=3
	s_or_b32 exec_lo, exec_lo, s38
	s_waitcnt vmcnt(0) lgkmcnt(0)
	v_add_co_u32 v11, vcc_lo, v50, v2
	v_add_co_ci_u32_e32 v12, vcc_lo, 0, v51, vcc_lo
	s_xor_b32 s38, s37, -1
	s_delay_alu instid0(VALU_DEP_1) | instskip(SKIP_1) | instid1(SALU_CYCLE_1)
	v_cmp_ge_u64_e32 vcc_lo, v[11:12], v[8:9]
	s_or_b32 vcc_lo, s38, vcc_lo
	s_and_b32 vcc_lo, exec_lo, vcc_lo
	s_delay_alu instid0(SALU_CYCLE_1) | instskip(NEXT) | instid1(SALU_CYCLE_1)
	s_or_b32 s36, vcc_lo, s36
	s_and_not1_b32 exec_lo, exec_lo, s36
	s_cbranch_execz .LBB4_2134
.LBB4_2128:                             ;   Parent Loop BB4_51 Depth=1
                                        ;     Parent Loop BB4_2119 Depth=2
                                        ; =>    This Inner Loop Header: Depth=3
	s_sleep 1
	flat_load_b64 v[50:51], v[32:33] glc
	v_and_b32_e32 v11, 64, v30
	s_and_not1_b32 s37, s37, exec_lo
	s_mov_b32 s38, exec_lo
	s_delay_alu instid0(VALU_DEP_1)
	v_cmpx_eq_u32_e32 0, v11
	s_cbranch_execz .LBB4_2127
; %bb.2129:                             ;   in Loop: Header=BB4_2128 Depth=3
	v_add_nc_u32_e32 v11, 1, v10
	s_mov_b32 s40, -1
	s_mov_b32 s39, exec_lo
	v_cmpx_lt_i32_e32 0x270e, v10
	s_cbranch_execz .LBB4_2126
; %bb.2130:                             ;   in Loop: Header=BB4_2128 Depth=3
	s_cbranch_execz .LBB4_2131
; %bb.6825:
	s_getpc_b64 s[46:47]
.Lpost_getpc186:
	s_add_u32 s46, s46, (.LBB4_6191-.Lpost_getpc186)&4294967295
	s_addc_u32 s47, s47, (.LBB4_6191-.Lpost_getpc186)>>32
	s_setpc_b64 s[46:47]
.LBB4_2131:                             ;   in Loop: Header=BB4_2128 Depth=3
	ds_load_b64 v[10:11], v0
	s_mov_b32 s41, exec_lo
	s_waitcnt vmcnt(0) lgkmcnt(0)
	s_waitcnt_vscnt null, 0x0
	flat_load_b32 v10, v[10:11] glc
	s_waitcnt vmcnt(0) lgkmcnt(0)
	buffer_gl1_inv
	buffer_gl0_inv
	v_cmpx_ne_u32_e32 0, v10
	s_cbranch_execz .LBB4_2125
; %bb.2132:                             ;   in Loop: Header=BB4_2128 Depth=3
	ds_store_b32 v0, v10
	s_cbranch_execz .LBB4_2133
; %bb.6827:
	s_getpc_b64 s[46:47]
.Lpost_getpc187:
	s_add_u32 s46, s46, (.LBB4_6245-.Lpost_getpc187)&4294967295
	s_addc_u32 s47, s47, (.LBB4_6245-.Lpost_getpc187)>>32
	s_setpc_b64 s[46:47]
.LBB4_2133:                             ;   in Loop: Header=BB4_2128 Depth=3
	v_or_b32_e32 v30, 64, v30
	s_xor_b32 s40, exec_lo, -1
	s_branch .LBB4_2125
.LBB4_2134:                             ;   in Loop: Header=BB4_2119 Depth=2
	s_or_b32 exec_lo, exec_lo, s36
	v_and_b32_e32 v10, 12, v30
.LBB4_2135:                             ;   in Loop: Header=BB4_2119 Depth=2
	s_or_b32 exec_lo, exec_lo, s17
	s_delay_alu instid0(VALU_DEP_1)
	v_cmp_eq_u32_e32 vcc_lo, 0, v10
	s_mov_b32 s37, s15
	s_mov_b32 s38, s13
	;;#ASMSTART
	s_wakeup
	;;#ASMEND
	s_or_not1_b32 s17, vcc_lo, exec_lo
.LBB4_2136:                             ;   in Loop: Header=BB4_2119 Depth=2
	s_or_b32 exec_lo, exec_lo, s2
	v_sub_nc_u32_e32 v2, v71, v145
	s_xor_b32 s2, s17, -1
	s_delay_alu instid0(VALU_DEP_1)
	v_min_i32_e32 v68, v68, v2
	s_and_saveexec_b32 s15, s2
	s_cbranch_execz .LBB4_2149
; %bb.2137:                             ;   in Loop: Header=BB4_2119 Depth=2
	v_and_b32_e32 v2, 0x108, v30
	s_mov_b32 s36, s29
	s_mov_b32 s17, s11
	s_mov_b32 s29, s10
	s_mov_b32 s11, s6
	v_cmp_ne_u32_e32 vcc_lo, 0x108, v2
	v_and_b32_e32 v2, 7, v34
	s_mov_b32 s10, s5
	s_mov_b32 s5, s38
	;; [unrolled: 1-line block ×4, first 2 shown]
	s_and_saveexec_b32 s13, vcc_lo
	s_delay_alu instid0(SALU_CYCLE_1) | instskip(NEXT) | instid1(SALU_CYCLE_1)
	s_xor_b32 s13, exec_lo, s13
	s_and_not1_saveexec_b32 s13, s13
	s_cbranch_execz .LBB4_2139
; %bb.2138:                             ;   in Loop: Header=BB4_2119 Depth=2
	v_mad_u64_u32 v[8:9], null, v2, 24, v[6:7]
	v_ashrrev_i32_e32 v69, 31, v68
	flat_store_b64 v[8:9], v[68:69] offset:8
.LBB4_2139:                             ;   in Loop: Header=BB4_2119 Depth=2
	s_or_b32 exec_lo, exec_lo, s13
	v_and_b32_e32 v8, 0x100, v30
	s_mov_b32 s13, -1
	s_delay_alu instid0(VALU_DEP_1)
	v_cmp_ne_u32_e32 vcc_lo, 0, v8
                                        ; implicit-def: $vgpr8_vgpr9
	s_and_saveexec_b32 s16, vcc_lo
	s_cbranch_execnz .LBB4_2142
; %bb.2140:                             ;   in Loop: Header=BB4_2119 Depth=2
	s_or_b32 exec_lo, exec_lo, s16
	s_and_saveexec_b32 s16, s13
	s_cbranch_execnz .LBB4_2145
.LBB4_2141:                             ;   in Loop: Header=BB4_2119 Depth=2
	s_or_b32 exec_lo, exec_lo, s16
	s_cbranch_execz .LBB4_2146
; %bb.6829:
	s_getpc_b64 s[46:47]
.Lpost_getpc188:
	s_add_u32 s46, s46, (.LBB4_6185-.Lpost_getpc188)&4294967295
	s_addc_u32 s47, s47, (.LBB4_6185-.Lpost_getpc188)>>32
	s_setpc_b64 s[46:47]
.LBB4_2142:                             ;   in Loop: Header=BB4_2119 Depth=2
	v_mad_u64_u32 v[10:11], null, v2, 24, v[6:7]
	s_delay_alu instid0(VALU_DEP_1) | instskip(NEXT) | instid1(VALU_DEP_1)
	v_mov_b32_e32 v8, v11
	v_mad_u64_u32 v[11:12], null, v3, 24, v[8:9]
	flat_load_b32 v8, v[10:11]
	s_waitcnt vmcnt(0) lgkmcnt(0)
	v_cmp_ne_u32_e32 vcc_lo, 1, v8
	v_cmp_eq_u32_e64 s13, 1, v8
                                        ; implicit-def: $vgpr8_vgpr9
	s_delay_alu instid0(VALU_DEP_1)
	s_and_saveexec_b32 s37, s13
	s_cbranch_execz .LBB4_2144
; %bb.2143:                             ;   in Loop: Header=BB4_2119 Depth=2
	flat_load_b32 v8, v[10:11] offset:4 glc
	s_waitcnt vmcnt(0) lgkmcnt(0)
	v_ashrrev_i32_e32 v9, 31, v8
.LBB4_2144:                             ;   in Loop: Header=BB4_2119 Depth=2
	s_or_b32 exec_lo, exec_lo, s37
	s_delay_alu instid0(SALU_CYCLE_1)
	s_or_not1_b32 s13, vcc_lo, exec_lo
	s_or_b32 exec_lo, exec_lo, s16
	s_and_saveexec_b32 s16, s13
	s_cbranch_execz .LBB4_2141
.LBB4_2145:                             ;   in Loop: Header=BB4_2119 Depth=2
	v_mul_lo_u32 v10, v3, v86
	v_mul_lo_u32 v11, v2, v96
	v_mad_u64_u32 v[8:9], null, v2, v86, 0
	s_delay_alu instid0(VALU_DEP_1)
	v_add3_u32 v9, v9, v11, v10
	s_or_b32 exec_lo, exec_lo, s16
	s_cbranch_execz .LBB4_2146
; %bb.6831:
	s_getpc_b64 s[46:47]
.Lpost_getpc189:
	s_add_u32 s46, s46, (.LBB4_6185-.Lpost_getpc189)&4294967295
	s_addc_u32 s47, s47, (.LBB4_6185-.Lpost_getpc189)>>32
	s_setpc_b64 s[46:47]
.LBB4_2146:                             ;   in Loop: Header=BB4_2119 Depth=2
	s_delay_alu instid0(VALU_DEP_2)
	v_add_co_u32 v8, vcc_lo, v36, v8
	v_and_b32_e32 v2, 0x2000, v30
	v_add_co_ci_u32_e32 v9, vcc_lo, v37, v9, vcc_lo
	s_mov_b32 s13, exec_lo
	ds_store_b64 v0, v[8:9]
	v_cmpx_ne_u32_e32 0, v2
	s_cbranch_execz .LBB4_2148
; %bb.2147:                             ;   in Loop: Header=BB4_2119 Depth=2
	ds_load_b64 v[8:9], v0 offset:584
	s_waitcnt lgkmcnt(0)
	v_add_co_u32 v8, vcc_lo, v8, 1
	v_add_co_ci_u32_e32 v9, vcc_lo, 0, v9, vcc_lo
	ds_store_b64 v0, v[8:9] offset:584
.LBB4_2148:                             ;   in Loop: Header=BB4_2119 Depth=2
	s_or_b32 exec_lo, exec_lo, s13
	v_add_co_u32 v34, vcc_lo, v34, 2
	v_add_co_ci_u32_e32 v35, vcc_lo, 0, v35, vcc_lo
	s_mov_b32 s16, s2
	s_mov_b32 s37, s6
	;; [unrolled: 1-line block ×8, first 2 shown]
.LBB4_2149:                             ;   in Loop: Header=BB4_2119 Depth=2
	v_writelane_b32 v56, s37, 2
	v_writelane_b32 v56, s38, 3
	;; [unrolled: 1-line block ×8, first 2 shown]
	s_or_b32 exec_lo, exec_lo, s15
	s_and_saveexec_b32 s13, s3
	s_mov_b32 s2, s29
	s_cbranch_execz .LBB4_2171
; %bb.2150:                             ;   in Loop: Header=BB4_2119 Depth=2
	s_and_saveexec_b32 s14, s4
	s_delay_alu instid0(SALU_CYCLE_1)
	s_xor_b32 s14, exec_lo, s14
	s_cbranch_execz .LBB4_2168
; %bb.2151:                             ;   in Loop: Header=BB4_2119 Depth=2
	s_and_saveexec_b32 s15, s1
	s_cbranch_execz .LBB4_2167
; %bb.2152:                             ;   in Loop: Header=BB4_2119 Depth=2
	s_mov_b32 s17, exec_lo
	s_mov_b32 s16, exec_lo
	v_mbcnt_lo_u32_b32 v2, s17, 0
	s_waitcnt lgkmcnt(0)
	s_waitcnt_vscnt null, 0x0
	buffer_gl1_inv
	buffer_gl0_inv
	v_cmpx_eq_u32_e32 0, v2
	s_cbranch_execz .LBB4_2154
; %bb.2153:                             ;   in Loop: Header=BB4_2119 Depth=2
	s_bcnt1_i32_b32 s17, s17
	s_delay_alu instid0(SALU_CYCLE_1)
	v_mov_b32_e32 v2, s17
	ds_add_u64 v0, v[2:3]
	s_cbranch_execz .LBB4_2154
; %bb.6833:
	s_getpc_b64 s[46:47]
.Lpost_getpc190:
	s_add_u32 s46, s46, (.LBB4_6299-.Lpost_getpc190)&4294967295
	s_addc_u32 s47, s47, (.LBB4_6299-.Lpost_getpc190)>>32
	s_setpc_b64 s[46:47]
.LBB4_2154:                             ;   in Loop: Header=BB4_2119 Depth=2
	s_or_b32 exec_lo, exec_lo, s16
	s_cbranch_execz .LBB4_2155
; %bb.6835:
	s_getpc_b64 s[46:47]
.Lpost_getpc191:
	s_add_u32 s46, s46, (.LBB4_6273-.Lpost_getpc191)&4294967295
	s_addc_u32 s47, s47, (.LBB4_6273-.Lpost_getpc191)>>32
	s_setpc_b64 s[46:47]
.LBB4_2155:                             ;   in Loop: Header=BB4_2119 Depth=2
	ds_load_b64 v[8:9], v0
	v_add_co_u32 v48, vcc_lo, v48, v97
	v_add_co_ci_u32_e32 v49, vcc_lo, 0, v49, vcc_lo
	s_mov_b32 s16, exec_lo
	s_waitcnt lgkmcnt(0)
	s_delay_alu instid0(VALU_DEP_1)
	v_cmpx_lt_u64_e64 v[8:9], v[48:49]
	s_cbranch_execz .LBB4_2166
; %bb.2156:                             ;   in Loop: Header=BB4_2119 Depth=2
	s_mov_b32 s17, 0
	s_mov_b32 s31, 0
                                        ; implicit-def: $sgpr29
                                        ; implicit-def: $sgpr30
	s_branch .LBB4_2158
.LBB4_2157:                             ;   in Loop: Header=BB4_2158 Depth=3
	s_or_b32 exec_lo, exec_lo, s35
	s_delay_alu instid0(SALU_CYCLE_1) | instskip(NEXT) | instid1(SALU_CYCLE_1)
	s_and_b32 vcc_lo, exec_lo, vcc_lo
	s_or_b32 s17, vcc_lo, s17
	s_and_not1_b32 s29, s29, exec_lo
	s_and_b32 vcc_lo, s30, exec_lo
	s_delay_alu instid0(SALU_CYCLE_1)
	s_or_b32 s29, s29, vcc_lo
	s_and_not1_b32 exec_lo, exec_lo, s17
	s_cbranch_execz .LBB4_2164
.LBB4_2158:                             ;   Parent Loop BB4_51 Depth=1
                                        ;     Parent Loop BB4_2119 Depth=2
                                        ; =>    This Inner Loop Header: Depth=3
	s_add_i32 s31, s31, 1
                                        ; implicit-def: $sgpr35
	s_delay_alu instid0(SALU_CYCLE_1) | instskip(SKIP_1) | instid1(SALU_CYCLE_1)
	s_cmpk_lg_i32 s31, 0x2710
	s_cselect_b32 s34, -1, 0
	s_and_b32 vcc_lo, exec_lo, s34
	s_cbranch_vccz .LBB4_2162
.LBB4_2159:                             ;   in Loop: Header=BB4_2158 Depth=3
	s_and_not1_b32 s30, s30, exec_lo
	s_and_b32 s35, s35, exec_lo
	s_mov_b32 vcc_lo, -1
	s_or_b32 s30, s30, s35
	s_and_saveexec_b32 s35, s34
	s_cbranch_execz .LBB4_2157
; %bb.2160:                             ;   in Loop: Header=BB4_2158 Depth=3
	s_sleep 1
	s_cbranch_execz .LBB4_2161
; %bb.6837:
	s_getpc_b64 s[46:47]
.Lpost_getpc192:
	s_add_u32 s46, s46, (.LBB4_6347-.Lpost_getpc192)&4294967295
	s_addc_u32 s47, s47, (.LBB4_6347-.Lpost_getpc192)>>32
	s_setpc_b64 s[46:47]
.LBB4_2161:                             ;   in Loop: Header=BB4_2158 Depth=3
	ds_load_b64 v[8:9], v0
	s_and_not1_b32 s30, s30, exec_lo
	s_waitcnt lgkmcnt(0)
	v_cmp_ge_u64_e32 vcc_lo, v[8:9], v[48:49]
	s_or_not1_b32 vcc_lo, vcc_lo, exec_lo
	s_branch .LBB4_2157
.LBB4_2162:                             ;   in Loop: Header=BB4_2158 Depth=3
	s_cbranch_execz .LBB4_2163
; %bb.6839:
	s_getpc_b64 s[46:47]
.Lpost_getpc193:
	s_add_u32 s46, s46, (.LBB4_6361-.Lpost_getpc193)&4294967295
	s_addc_u32 s47, s47, (.LBB4_6361-.Lpost_getpc193)>>32
	s_setpc_b64 s[46:47]
.LBB4_2163:                             ;   in Loop: Header=BB4_2158 Depth=3
	ds_load_b64 v[8:9], v0
	s_and_not1_b32 s34, s34, exec_lo
	s_mov_b32 s31, 0
	s_mov_b32 s35, -1
	s_waitcnt lgkmcnt(0)
	flat_load_b32 v2, v[8:9] glc
	s_waitcnt vmcnt(0) lgkmcnt(0)
	buffer_gl1_inv
	buffer_gl0_inv
	v_cmp_eq_u32_e32 vcc_lo, 0, v2
	s_and_b32 vcc_lo, vcc_lo, exec_lo
	s_delay_alu instid0(SALU_CYCLE_1)
	s_or_b32 s34, s34, vcc_lo
	s_branch .LBB4_2159
.LBB4_2164:                             ;   in Loop: Header=BB4_2119 Depth=2
	s_or_b32 exec_lo, exec_lo, s17
	s_and_saveexec_b32 s17, s29
	s_delay_alu instid0(SALU_CYCLE_1)
	s_xor_b32 s17, exec_lo, s17
	s_cbranch_execz .LBB4_2166
; %bb.2165:                             ;   in Loop: Header=BB4_2119 Depth=2
	ds_store_b32 v0, v134
	s_cbranch_execz .LBB4_2166
; %bb.6841:
	s_getpc_b64 s[46:47]
.Lpost_getpc194:
	s_add_u32 s46, s46, (.LBB4_6553-.Lpost_getpc194)&4294967295
	s_addc_u32 s47, s47, (.LBB4_6553-.Lpost_getpc194)>>32
	s_setpc_b64 s[46:47]
.LBB4_2166:                             ;   in Loop: Header=BB4_2119 Depth=2
	s_or_b32 exec_lo, exec_lo, s16
	;;#ASMSTART
	s_wakeup
	;;#ASMEND
.LBB4_2167:                             ;   in Loop: Header=BB4_2119 Depth=2
	s_or_b32 exec_lo, exec_lo, s15
.LBB4_2168:                             ;   in Loop: Header=BB4_2119 Depth=2
	s_and_not1_saveexec_b32 s14, s14
	s_cbranch_execz .LBB4_2170
; %bb.2169:                             ;   in Loop: Header=BB4_2119 Depth=2
	s_waitcnt lgkmcnt(0)
	s_waitcnt_vscnt null, 0x0
	buffer_gl1_inv
	buffer_gl0_inv
	s_barrier
.LBB4_2170:                             ;   in Loop: Header=BB4_2119 Depth=2
	s_or_b32 exec_lo, exec_lo, s14
.LBB4_2171:                             ;   in Loop: Header=BB4_2119 Depth=2
	s_delay_alu instid0(SALU_CYCLE_1)
	s_or_b32 exec_lo, exec_lo, s13
	s_cbranch_execz .LBB4_2172
; %bb.6843:
	s_getpc_b64 s[46:47]
.Lpost_getpc195:
	s_add_u32 s46, s46, (.LBB4_6171-.Lpost_getpc195)&4294967295
	s_addc_u32 s47, s47, (.LBB4_6171-.Lpost_getpc195)>>32
	s_setpc_b64 s[46:47]
.LBB4_2172:                             ;   in Loop: Header=BB4_2119 Depth=2
	ds_load_b32 v8, v0
	v_and_b32_e32 v2, 0x4000, v30
	s_xor_b32 s13, s2, -1
	s_delay_alu instid0(VALU_DEP_1) | instskip(SKIP_1) | instid1(SALU_CYCLE_1)
	v_cmp_ne_u32_e32 vcc_lo, 0, v2
	s_and_b32 s14, s13, vcc_lo
	s_and_saveexec_b32 s13, s14
	s_cbranch_execz .LBB4_2194
; %bb.2173:                             ;   in Loop: Header=BB4_2119 Depth=2
	s_and_saveexec_b32 s14, s4
	s_delay_alu instid0(SALU_CYCLE_1)
	s_xor_b32 s14, exec_lo, s14
	s_cbranch_execz .LBB4_2191
; %bb.2174:                             ;   in Loop: Header=BB4_2119 Depth=2
	s_and_saveexec_b32 s15, s1
	s_cbranch_execz .LBB4_2190
; %bb.2175:                             ;   in Loop: Header=BB4_2119 Depth=2
	s_mov_b32 s17, exec_lo
	s_mov_b32 s16, exec_lo
	v_mbcnt_lo_u32_b32 v2, s17, 0
	s_waitcnt lgkmcnt(0)
	s_waitcnt_vscnt null, 0x0
	buffer_gl1_inv
	buffer_gl0_inv
	v_cmpx_eq_u32_e32 0, v2
	s_cbranch_execz .LBB4_2177
; %bb.2176:                             ;   in Loop: Header=BB4_2119 Depth=2
	s_bcnt1_i32_b32 s17, s17
	s_delay_alu instid0(SALU_CYCLE_1)
	v_mov_b32_e32 v2, s17
	ds_add_u64 v0, v[2:3]
	s_cbranch_execz .LBB4_2177
; %bb.6845:
	s_getpc_b64 s[46:47]
.Lpost_getpc196:
	s_add_u32 s46, s46, (.LBB4_6339-.Lpost_getpc196)&4294967295
	s_addc_u32 s47, s47, (.LBB4_6339-.Lpost_getpc196)>>32
	s_setpc_b64 s[46:47]
.LBB4_2177:                             ;   in Loop: Header=BB4_2119 Depth=2
	s_or_b32 exec_lo, exec_lo, s16
	s_cbranch_execz .LBB4_2178
; %bb.6847:
	s_getpc_b64 s[46:47]
.Lpost_getpc197:
	s_add_u32 s46, s46, (.LBB4_6309-.Lpost_getpc197)&4294967295
	s_addc_u32 s47, s47, (.LBB4_6309-.Lpost_getpc197)>>32
	s_setpc_b64 s[46:47]
.LBB4_2178:                             ;   in Loop: Header=BB4_2119 Depth=2
	ds_load_b64 v[9:10], v0
	v_add_co_u32 v48, vcc_lo, v48, v97
	v_add_co_ci_u32_e32 v49, vcc_lo, 0, v49, vcc_lo
	s_mov_b32 s16, exec_lo
	s_waitcnt lgkmcnt(0)
	s_delay_alu instid0(VALU_DEP_1)
	v_cmpx_lt_u64_e64 v[9:10], v[48:49]
	s_cbranch_execz .LBB4_2189
; %bb.2179:                             ;   in Loop: Header=BB4_2119 Depth=2
	s_mov_b32 s17, 0
	s_mov_b32 s31, 0
                                        ; implicit-def: $sgpr29
                                        ; implicit-def: $sgpr30
	s_branch .LBB4_2181
.LBB4_2180:                             ;   in Loop: Header=BB4_2181 Depth=3
	s_or_b32 exec_lo, exec_lo, s35
	s_delay_alu instid0(SALU_CYCLE_1) | instskip(NEXT) | instid1(SALU_CYCLE_1)
	s_and_b32 vcc_lo, exec_lo, vcc_lo
	s_or_b32 s17, vcc_lo, s17
	s_and_not1_b32 s29, s29, exec_lo
	s_and_b32 vcc_lo, s30, exec_lo
	s_delay_alu instid0(SALU_CYCLE_1)
	s_or_b32 s29, s29, vcc_lo
	s_and_not1_b32 exec_lo, exec_lo, s17
	s_cbranch_execz .LBB4_2187
.LBB4_2181:                             ;   Parent Loop BB4_51 Depth=1
                                        ;     Parent Loop BB4_2119 Depth=2
                                        ; =>    This Inner Loop Header: Depth=3
	s_add_i32 s31, s31, 1
                                        ; implicit-def: $sgpr35
	s_delay_alu instid0(SALU_CYCLE_1) | instskip(SKIP_1) | instid1(SALU_CYCLE_1)
	s_cmpk_lg_i32 s31, 0x2710
	s_cselect_b32 s34, -1, 0
	s_and_b32 vcc_lo, exec_lo, s34
	s_cbranch_vccz .LBB4_2185
.LBB4_2182:                             ;   in Loop: Header=BB4_2181 Depth=3
	s_and_not1_b32 s30, s30, exec_lo
	s_and_b32 s35, s35, exec_lo
	s_mov_b32 vcc_lo, -1
	s_or_b32 s30, s30, s35
	s_and_saveexec_b32 s35, s34
	s_cbranch_execz .LBB4_2180
; %bb.2183:                             ;   in Loop: Header=BB4_2181 Depth=3
	s_sleep 1
	s_cbranch_execz .LBB4_2184
; %bb.6849:
	s_getpc_b64 s[46:47]
.Lpost_getpc198:
	s_add_u32 s46, s46, (.LBB4_6399-.Lpost_getpc198)&4294967295
	s_addc_u32 s47, s47, (.LBB4_6399-.Lpost_getpc198)>>32
	s_setpc_b64 s[46:47]
.LBB4_2184:                             ;   in Loop: Header=BB4_2181 Depth=3
	ds_load_b64 v[9:10], v0
	s_and_not1_b32 s30, s30, exec_lo
	s_waitcnt lgkmcnt(0)
	v_cmp_ge_u64_e32 vcc_lo, v[9:10], v[48:49]
	s_or_not1_b32 vcc_lo, vcc_lo, exec_lo
	s_branch .LBB4_2180
.LBB4_2185:                             ;   in Loop: Header=BB4_2181 Depth=3
	s_cbranch_execz .LBB4_2186
; %bb.6851:
	s_getpc_b64 s[46:47]
.Lpost_getpc199:
	s_add_u32 s46, s46, (.LBB4_6415-.Lpost_getpc199)&4294967295
	s_addc_u32 s47, s47, (.LBB4_6415-.Lpost_getpc199)>>32
	s_setpc_b64 s[46:47]
.LBB4_2186:                             ;   in Loop: Header=BB4_2181 Depth=3
	ds_load_b64 v[9:10], v0
	s_and_not1_b32 s34, s34, exec_lo
	s_mov_b32 s31, 0
	s_mov_b32 s35, -1
	s_waitcnt lgkmcnt(0)
	flat_load_b32 v2, v[9:10] glc
	s_waitcnt vmcnt(0) lgkmcnt(0)
	buffer_gl1_inv
	buffer_gl0_inv
	v_cmp_eq_u32_e32 vcc_lo, 0, v2
	s_and_b32 vcc_lo, vcc_lo, exec_lo
	s_delay_alu instid0(SALU_CYCLE_1)
	s_or_b32 s34, s34, vcc_lo
	s_branch .LBB4_2182
.LBB4_2187:                             ;   in Loop: Header=BB4_2119 Depth=2
	s_or_b32 exec_lo, exec_lo, s17
	s_and_saveexec_b32 s17, s29
	s_delay_alu instid0(SALU_CYCLE_1)
	s_xor_b32 s17, exec_lo, s17
	s_cbranch_execz .LBB4_2189
; %bb.2188:                             ;   in Loop: Header=BB4_2119 Depth=2
	ds_store_b32 v0, v134
	s_cbranch_execz .LBB4_2189
; %bb.6853:
	s_getpc_b64 s[46:47]
.Lpost_getpc200:
	s_add_u32 s46, s46, (.LBB4_6577-.Lpost_getpc200)&4294967295
	s_addc_u32 s47, s47, (.LBB4_6577-.Lpost_getpc200)>>32
	s_setpc_b64 s[46:47]
.LBB4_2189:                             ;   in Loop: Header=BB4_2119 Depth=2
	s_or_b32 exec_lo, exec_lo, s16
	;;#ASMSTART
	s_wakeup
	;;#ASMEND
.LBB4_2190:                             ;   in Loop: Header=BB4_2119 Depth=2
	s_or_b32 exec_lo, exec_lo, s15
.LBB4_2191:                             ;   in Loop: Header=BB4_2119 Depth=2
	s_and_not1_saveexec_b32 s14, s14
	s_cbranch_execz .LBB4_2193
; %bb.2192:                             ;   in Loop: Header=BB4_2119 Depth=2
	s_waitcnt lgkmcnt(0)
	s_waitcnt_vscnt null, 0x0
	buffer_gl1_inv
	buffer_gl0_inv
	s_barrier
.LBB4_2193:                             ;   in Loop: Header=BB4_2119 Depth=2
	s_or_b32 exec_lo, exec_lo, s14
.LBB4_2194:                             ;   in Loop: Header=BB4_2119 Depth=2
	s_delay_alu instid0(SALU_CYCLE_1)
	s_or_b32 exec_lo, exec_lo, s13
	s_cbranch_execz .LBB4_2195
; %bb.6855:
	s_getpc_b64 s[46:47]
.Lpost_getpc201:
	s_add_u32 s46, s46, (.LBB4_6205-.Lpost_getpc201)&4294967295
	s_addc_u32 s47, s47, (.LBB4_6205-.Lpost_getpc201)>>32
	s_setpc_b64 s[46:47]
.LBB4_2195:                             ;   in Loop: Header=BB4_2119 Depth=2
	ds_load_b64 v[9:10], v0
	v_mov_b32_e32 v148, 0
	s_waitcnt lgkmcnt(0)
	v_cmp_eq_u64_e32 vcc_lo, 0, v[9:10]
	s_or_b32 s13, vcc_lo, vcc_lo
	s_delay_alu instid0(SALU_CYCLE_1)
	s_and_b32 vcc_lo, exec_lo, s13
	s_cbranch_vccz .LBB4_2196
; %bb.6857:                             ;   in Loop: Header=BB4_2119 Depth=2
	s_getpc_b64 s[46:47]
.Lpost_getpc202:
	s_add_u32 s46, s46, (.LBB4_5390-.Lpost_getpc202)&4294967295
	s_addc_u32 s47, s47, (.LBB4_5390-.Lpost_getpc202)>>32
	s_setpc_b64 s[46:47]
.LBB4_2196:                             ;   in Loop: Header=BB4_2119 Depth=2
	v_cmp_eq_u32_e32 vcc_lo, 0, v8
	s_cbranch_execz .LBB4_2197
; %bb.6859:
	s_getpc_b64 s[46:47]
.Lpost_getpc203:
	s_add_u32 s46, s46, (.LBB4_6265-.Lpost_getpc203)&4294967295
	s_addc_u32 s47, s47, (.LBB4_6265-.Lpost_getpc203)>>32
	s_setpc_b64 s[46:47]
.LBB4_2197:                             ;   in Loop: Header=BB4_2119 Depth=2
	ds_load_b64 v[8:9], v0
	v_cndmask_b32_e32 v148, 0, v68, vcc_lo
	s_waitcnt lgkmcnt(0)
	v_cmp_ne_u64_e64 s13, 0, v[8:9]
	s_delay_alu instid0(VALU_DEP_1)
	s_and_b32 vcc_lo, exec_lo, s13
	s_cbranch_vccz .LBB4_2975
; %bb.2198:                             ;   in Loop: Header=BB4_2119 Depth=2
	s_mov_b32 s13, -1
	s_and_saveexec_b32 s14, s12
	s_cbranch_execz .LBB4_2200
; %bb.2199:                             ;   in Loop: Header=BB4_2119 Depth=2
	ds_load_b32 v2, v0 offset:720
	s_waitcnt lgkmcnt(0)
	v_and_b32_e32 v2, 15, v2
	s_delay_alu instid0(VALU_DEP_1)
	v_cmp_eq_u32_e32 vcc_lo, 0, v2
	s_or_not1_b32 s13, vcc_lo, exec_lo
.LBB4_2200:                             ;   in Loop: Header=BB4_2119 Depth=2
	s_or_b32 exec_lo, exec_lo, s14
	s_and_saveexec_b32 s14, s12
	s_cbranch_execz .LBB4_2202
; %bb.2201:                             ;   in Loop: Header=BB4_2119 Depth=2
	ds_load_b32 v2, v0 offset:784
	s_waitcnt lgkmcnt(0)
	v_and_b32_e32 v2, 15, v2
	s_delay_alu instid0(VALU_DEP_1) | instskip(SKIP_3) | instid1(SALU_CYCLE_1)
	v_cmp_eq_u32_e32 vcc_lo, 0, v2
	s_and_b32 s15, s13, vcc_lo
	s_and_not1_b32 s13, s13, exec_lo
	s_and_b32 s15, s15, exec_lo
	s_or_b32 s13, s13, s15
.LBB4_2202:                             ;   in Loop: Header=BB4_2119 Depth=2
	s_or_b32 exec_lo, exec_lo, s14
	s_xor_b32 s13, s13, -1
	v_dual_mov_b32 v16, 0 :: v_dual_mov_b32 v17, v148
	v_cndmask_b32_e64 v2, 0, 1, s13
	;;#ASMSTART
	;;#ASMEND
	s_delay_alu instid0(VALU_DEP_1)
	v_cmp_ne_u32_e32 vcc_lo, 0, v2
	v_mov_b32_e32 v18, v0
	v_mov_b32_e32 v8, v99
	s_mov_b32 s13, -1
	s_cbranch_vccnz .LBB4_3373
; %bb.2203:                             ;   in Loop: Header=BB4_2119 Depth=2
	v_ashrrev_i32_e32 v2, 31, v148
	s_mov_b32 s14, exec_lo
	s_delay_alu instid0(VALU_DEP_1) | instskip(NEXT) | instid1(VALU_DEP_1)
	v_lshrrev_b32_e32 v2, 22, v2
	v_add_nc_u32_e32 v2, v148, v2
	s_delay_alu instid0(VALU_DEP_1) | instskip(NEXT) | instid1(VALU_DEP_1)
	v_ashrrev_i32_e32 v149, 10, v2
	v_sub_nc_u32_e32 v2, v149, v99
	s_delay_alu instid0(VALU_DEP_1)
	v_cmpx_lt_i32_e32 0, v2
	s_cbranch_execz .LBB4_2977
; %bb.2204:                             ;   in Loop: Header=BB4_2119 Depth=2
	s_cbranch_execz .LBB4_2205
; %bb.6861:
	s_getpc_b64 s[46:47]
.Lpost_getpc204:
	s_add_u32 s46, s46, (.LBB4_6435-.Lpost_getpc204)&4294967295
	s_addc_u32 s47, s47, (.LBB4_6435-.Lpost_getpc204)>>32
	s_setpc_b64 s[46:47]
.LBB4_2205:                             ;   in Loop: Header=BB4_2119 Depth=2
	ds_load_b128 v[8:11], v0
	s_mov_b32 s15, 0
	s_waitcnt lgkmcnt(0)
	v_add_co_u32 v69, vcc_lo, v8, v130
	v_add_co_ci_u32_e32 v70, vcc_lo, v9, v131, vcc_lo
	v_add_co_u32 v80, vcc_lo, v10, v130
	v_add_co_ci_u32_e32 v81, vcc_lo, v11, v131, vcc_lo
	s_delay_alu instid0(VALU_DEP_3) | instskip(NEXT) | instid1(VALU_DEP_2)
	v_dual_mov_b32 v83, v70 :: v_dual_mov_b32 v82, v69
	v_dual_mov_b32 v85, v81 :: v_dual_mov_b32 v84, v80
	s_branch .LBB4_2209
.LBB4_2206:                             ;   in Loop: Header=BB4_2209 Depth=3
	s_or_b32 exec_lo, exec_lo, s13
	s_delay_alu instid0(VALU_DEP_1) | instskip(NEXT) | instid1(VALU_DEP_2)
	v_lshrrev_b32_e32 v183, 20, v183
	v_cmp_gt_i32_e32 vcc_lo, 16, v15
	v_min_i32_e32 v40, 15, v15
	v_lshrrev_b32_e32 v11, 24, v11
	s_delay_alu instid0(VALU_DEP_2) | instskip(NEXT) | instid1(VALU_DEP_2)
	v_dual_cndmask_b32 v183, 7, v183 :: v_dual_lshlrev_b32 v40, 3, v40
	v_and_b32_e32 v11, 0x80, v11
	s_delay_alu instid0(VALU_DEP_2) | instskip(SKIP_1) | instid1(VALU_DEP_2)
	v_or_b32_e32 v15, v15, v183
	v_and_b32_e32 v41, 7, v183
	v_cmp_ne_u32_e32 vcc_lo, 0, v15
	v_and_b32_e32 v40, 0xf8, v40
	s_delay_alu instid0(VALU_DEP_1) | instskip(NEXT) | instid1(VALU_DEP_1)
	v_or3_b32 v11, v11, v40, v41
	v_lshlrev_b32_e32 v11, 8, v11
	s_delay_alu instid0(VALU_DEP_1)
	v_cndmask_b32_e32 v15, 0, v11, vcc_lo
.LBB4_2207:                             ;   in Loop: Header=BB4_2209 Depth=3
	s_or_b32 exec_lo, exec_lo, s17
.LBB4_2208:                             ;   in Loop: Header=BB4_2209 Depth=3
	s_delay_alu instid0(SALU_CYCLE_1)
	s_or_b32 exec_lo, exec_lo, s16
	v_or_b32_e32 v11, v17, v162
	v_and_b32_e32 v17, 0xff, v20
	v_and_b32_e32 v20, 0xff, v160
	v_lshlrev_b32_e32 v151, 8, v151
	v_and_b32_e32 v160, 0xff, v164
	v_lshlrev_b32_e32 v162, 8, v163
	v_lshlrev_b32_e32 v11, 16, v11
	;; [unrolled: 1-line block ×4, first 2 shown]
	v_perm_b32 v150, v151, v150, 0xc0c0500
	v_lshlrev_b32_e32 v18, 24, v18
	v_lshlrev_b32_e32 v151, 16, v160
	v_perm_b32 v21, v162, v21, 0xc0c0500
	v_or3_b32 v17, v161, v17, v11
	v_or_b32_e32 v11, v19, v166
	v_or3_b32 v16, v16, v20, v150
	v_or_b32_e32 v9, v9, v178
	v_or3_b32 v18, v18, v151, v21
	v_and_b32_e32 v19, 0xff, v22
	v_and_b32_e32 v20, 0xff, v176
	v_lshlrev_b32_e32 v21, 8, v167
	v_and_b32_e32 v22, 0xff, v180
	v_lshlrev_b32_e32 v150, 8, v179
	v_or_b32_e32 v15, v15, v182
	v_lshlrev_b32_e32 v11, 16, v11
	v_and_b32_e32 v12, 0xff, v12
	v_lshlrev_b32_e32 v9, 16, v9
	v_lshlrev_b32_e32 v8, 24, v8
	;; [unrolled: 1-line block ×3, first 2 shown]
	v_perm_b32 v21, v21, v23, 0xc0c0500
	v_lshlrev_b32_e32 v10, 24, v10
	v_lshlrev_b32_e32 v22, 16, v22
	v_perm_b32 v13, v150, v13, 0xc0c0500
	v_and_b32_e32 v14, 0xff, v14
	v_lshlrev_b32_e32 v15, 16, v15
	v_add_co_u32 v69, vcc_lo, v69, v132
	v_or3_b32 v19, v165, v19, v11
	v_or3_b32 v9, v177, v12, v9
	;; [unrolled: 1-line block ×5, first 2 shown]
	v_add_co_ci_u32_e32 v70, vcc_lo, v70, v133, vcc_lo
	v_add_co_u32 v80, vcc_lo, v80, v132
	v_sub_nc_u32_e32 v2, v2, v97
	v_add_co_ci_u32_e32 v81, vcc_lo, v81, v133, vcc_lo
	s_clause 0x1
	global_store_b128 v[82:83], v[16:19], off glc slc dlc
	global_store_b128 v[82:83], v[8:11], off offset:512 glc slc dlc
	s_clause 0x1
	global_store_b128 v[84:85], v[16:19], off glc slc dlc
	global_store_b128 v[84:85], v[8:11], off offset:512 glc slc dlc
	v_add_co_u32 v82, vcc_lo, v82, v132
	v_add_co_ci_u32_e32 v83, vcc_lo, v83, v133, vcc_lo
	v_cmp_gt_i32_e32 vcc_lo, 1, v2
	v_add_co_u32 v84, s13, v84, v132
	s_delay_alu instid0(VALU_DEP_1) | instskip(SKIP_1) | instid1(SALU_CYCLE_1)
	v_add_co_ci_u32_e64 v85, s13, v85, v133, s13
	s_or_b32 s15, vcc_lo, s15
	s_and_not1_b32 exec_lo, exec_lo, s15
	s_cbranch_execz .LBB4_2976
.LBB4_2209:                             ;   Parent Loop BB4_51 Depth=1
                                        ;     Parent Loop BB4_2119 Depth=2
                                        ; =>    This Inner Loop Header: Depth=3
	s_clause 0x1
	global_load_b128 v[20:23], v[69:70], off slc dlc
	global_load_b128 v[12:15], v[69:70], off offset:512 slc dlc
	s_clause 0x1
	global_load_b128 v[16:19], v[80:81], off slc dlc
	global_load_b128 v[8:11], v[80:81], off offset:512 slc dlc
	s_mov_b32 s13, 0
	s_mov_b32 s17, exec_lo
                                        ; implicit-def: $sgpr16
	s_waitcnt vmcnt(3)
	v_and_b32_e32 v151, 0xff, v20
	s_delay_alu instid0(VALU_DEP_1)
	v_cmpx_lt_i16_e64 0x7f, v151
	s_xor_b32 s17, exec_lo, s17
	s_cbranch_execnz .LBB4_2719
; %bb.2210:                             ;   in Loop: Header=BB4_2209 Depth=3
	s_or_saveexec_b32 s17, s17
	v_mov_b32_e32 v150, s16
	s_xor_b32 exec_lo, exec_lo, s17
	s_cbranch_execnz .LBB4_2722
.LBB4_2211:                             ;   in Loop: Header=BB4_2209 Depth=3
	s_or_b32 exec_lo, exec_lo, s17
	s_and_saveexec_b32 s16, s13
	s_cbranch_execz .LBB4_2213
.LBB4_2212:                             ;   in Loop: Header=BB4_2209 Depth=3
	v_bfe_u32 v161, v20, 3, 4
	v_lshlrev_b32_e32 v162, 24, v20
	s_delay_alu instid0(VALU_DEP_2) | instskip(SKIP_1) | instid1(VALU_DEP_1)
	v_cmp_eq_u32_e32 vcc_lo, 0, v161
	v_and_b32_e32 v150, 7, v20
	v_clz_i32_u32_e32 v151, v150
	s_delay_alu instid0(VALU_DEP_1) | instskip(NEXT) | instid1(VALU_DEP_1)
	v_min_u32_e32 v151, 32, v151
	v_subrev_nc_u32_e32 v160, 28, v151
	v_sub_nc_u32_e32 v151, 29, v151
	s_delay_alu instid0(VALU_DEP_1) | instskip(NEXT) | instid1(VALU_DEP_1)
	v_dual_cndmask_b32 v151, v161, v151 :: v_dual_lshlrev_b32 v160, v160, v20
	v_and_b32_e32 v160, 7, v160
	s_delay_alu instid0(VALU_DEP_2) | instskip(NEXT) | instid1(VALU_DEP_2)
	v_lshl_add_u32 v151, v151, 23, 0x3b800000
	v_cndmask_b32_e32 v150, v150, v160, vcc_lo
	v_and_b32_e32 v160, 0x80000000, v162
	s_delay_alu instid0(VALU_DEP_2) | instskip(NEXT) | instid1(VALU_DEP_1)
	v_lshlrev_b32_e32 v150, 20, v150
	v_or3_b32 v150, v160, v151, v150
.LBB4_2213:                             ;   in Loop: Header=BB4_2209 Depth=3
	s_or_b32 exec_lo, exec_lo, s16
	s_waitcnt vmcnt(1)
	v_and_b32_e32 v160, 0xff, v16
	s_mov_b32 s13, 0
	s_mov_b32 s17, exec_lo
                                        ; implicit-def: $sgpr16
	s_delay_alu instid0(VALU_DEP_1)
	v_cmpx_lt_i16_e64 0x7f, v160
	s_xor_b32 s17, exec_lo, s17
	s_cbranch_execnz .LBB4_2723
; %bb.2214:                             ;   in Loop: Header=BB4_2209 Depth=3
	s_or_saveexec_b32 s17, s17
	v_mov_b32_e32 v151, s16
	s_xor_b32 exec_lo, exec_lo, s17
	s_cbranch_execnz .LBB4_2726
.LBB4_2215:                             ;   in Loop: Header=BB4_2209 Depth=3
	s_or_b32 exec_lo, exec_lo, s17
	s_and_saveexec_b32 s16, s13
	s_cbranch_execz .LBB4_2217
.LBB4_2216:                             ;   in Loop: Header=BB4_2209 Depth=3
	v_and_b32_e32 v151, 7, v16
	v_bfe_u32 v162, v16, 3, 4
	v_lshlrev_b32_e32 v163, 24, v16
	s_delay_alu instid0(VALU_DEP_3) | instskip(NEXT) | instid1(VALU_DEP_3)
	v_clz_i32_u32_e32 v160, v151
	v_cmp_eq_u32_e32 vcc_lo, 0, v162
	s_delay_alu instid0(VALU_DEP_2) | instskip(NEXT) | instid1(VALU_DEP_1)
	v_min_u32_e32 v160, 32, v160
	v_subrev_nc_u32_e32 v161, 28, v160
	v_sub_nc_u32_e32 v160, 29, v160
	s_delay_alu instid0(VALU_DEP_2) | instskip(NEXT) | instid1(VALU_DEP_1)
	v_lshlrev_b32_e32 v161, v161, v16
	v_dual_cndmask_b32 v160, v162, v160 :: v_dual_and_b32 v161, 7, v161
	s_delay_alu instid0(VALU_DEP_1) | instskip(NEXT) | instid1(VALU_DEP_2)
	v_lshl_add_u32 v160, v160, 23, 0x3b800000
	v_cndmask_b32_e32 v151, v151, v161, vcc_lo
	v_and_b32_e32 v161, 0x80000000, v163
	s_delay_alu instid0(VALU_DEP_2) | instskip(NEXT) | instid1(VALU_DEP_1)
	v_lshlrev_b32_e32 v151, 20, v151
	v_or3_b32 v151, v161, v160, v151
.LBB4_2217:                             ;   in Loop: Header=BB4_2209 Depth=3
	s_or_b32 exec_lo, exec_lo, s16
	s_delay_alu instid0(VALU_DEP_1) | instskip(NEXT) | instid1(VALU_DEP_1)
	v_add_f32_e32 v151, v150, v151
	v_and_b32_e32 v150, 0x7f800000, v151
	s_delay_alu instid0(VALU_DEP_1)
	v_cmp_ne_u32_e32 vcc_lo, 0x7f800000, v150
	v_mov_b32_e32 v150, 0x80
	s_and_saveexec_b32 s16, vcc_lo
	s_cbranch_execz .LBB4_2225
; %bb.2218:                             ;   in Loop: Header=BB4_2209 Depth=3
	v_mov_b32_e32 v150, 0
	s_mov_b32 s17, exec_lo
	v_cmpx_ne_u32_e32 0, v151
	s_cbranch_execz .LBB4_2224
; %bb.2219:                             ;   in Loop: Header=BB4_2209 Depth=3
	v_bfe_u32 v150, v151, 23, 8
	s_delay_alu instid0(VALU_DEP_1) | instskip(SKIP_1) | instid1(VALU_DEP_2)
	v_sub_nc_u32_e32 v161, 0x78, v150
	v_cmp_gt_u32_e32 vcc_lo, 0x79, v150
	v_dual_cndmask_b32 v161, 0, v161 :: v_dual_and_b32 v160, 0x7fffff, v151
	s_delay_alu instid0(VALU_DEP_1) | instskip(SKIP_2) | instid1(VALU_DEP_4)
	v_or_b32_e32 v162, 0x800000, v160
	v_cmp_eq_u32_e32 vcc_lo, 0, v150
	v_add_nc_u32_e32 v150, 0xffffff89, v150
	v_cndmask_b32_e64 v161, v161, 0x77, vcc_lo
	s_delay_alu instid0(VALU_DEP_2) | instskip(SKIP_1) | instid1(VALU_DEP_3)
	v_cndmask_b32_e64 v150, v150, 0xffffff8a, vcc_lo
	v_cndmask_b32_e32 v160, v162, v160, vcc_lo
	v_lshl_add_u32 v162, 0x100000, v161, -1
	v_lshlrev_b32_e64 v165, v161, 0x80000
	s_delay_alu instid0(VALU_DEP_3) | instskip(SKIP_1) | instid1(VALU_DEP_4)
	v_lshrrev_b32_e32 v163, v161, v160
	v_add_nc_u32_e32 v161, v161, v150
	v_and_b32_e32 v160, v162, v160
	s_delay_alu instid0(VALU_DEP_3) | instskip(NEXT) | instid1(VALU_DEP_2)
	v_bfe_u32 v164, v163, 20, 1
	v_cmp_eq_u32_e64 s13, v160, v165
	s_delay_alu instid0(VALU_DEP_2) | instskip(NEXT) | instid1(VALU_DEP_1)
	v_add_nc_u32_e32 v162, -1, v164
	v_cndmask_b32_e64 v160, 0, v162, s13
	v_lshrrev_b32_e32 v162, 23, v163
	s_mov_b32 s13, exec_lo
	s_delay_alu instid0(VALU_DEP_2) | instskip(NEXT) | instid1(VALU_DEP_2)
	v_add_nc_u32_e32 v160, v160, v163
	v_xor_b32_e32 v162, 1, v162
	s_delay_alu instid0(VALU_DEP_2) | instskip(NEXT) | instid1(VALU_DEP_1)
	v_and_b32_e32 v150, 0xfffff, v160
	v_add_nc_u32_e32 v160, v150, v163
                                        ; implicit-def: $vgpr150
	s_delay_alu instid0(VALU_DEP_3)
	v_cmpx_ne_u32_e64 v161, v162
	s_xor_b32 s13, exec_lo, s13
; %bb.2220:                             ;   in Loop: Header=BB4_2209 Depth=3
	s_delay_alu instid0(VALU_DEP_2) | instskip(SKIP_2) | instid1(VALU_DEP_2)
	v_cmp_lt_u32_e32 vcc_lo, 0xffffff, v160
	v_sub_nc_u32_e32 v150, v161, v162
	v_cndmask_b32_e64 v161, 0, 1, vcc_lo
	v_add_co_ci_u32_e32 v150, vcc_lo, 0, v150, vcc_lo
	s_delay_alu instid0(VALU_DEP_2)
	v_lshrrev_b32_e32 v160, v161, v160
; %bb.2221:                             ;   in Loop: Header=BB4_2209 Depth=3
	s_and_not1_saveexec_b32 s13, s13
; %bb.2222:                             ;   in Loop: Header=BB4_2209 Depth=3
	s_delay_alu instid0(VALU_DEP_1)
	v_bfe_u32 v150, v160, 23, 1
; %bb.2223:                             ;   in Loop: Header=BB4_2209 Depth=3
	s_or_b32 exec_lo, exec_lo, s13
	v_lshrrev_b32_e32 v160, 20, v160
	s_delay_alu instid0(VALU_DEP_2) | instskip(SKIP_2) | instid1(VALU_DEP_2)
	v_cmp_gt_i32_e32 vcc_lo, 16, v150
	v_lshrrev_b32_e32 v151, 24, v151
	v_min_i32_e32 v161, 15, v150
	v_dual_cndmask_b32 v160, 7, v160 :: v_dual_and_b32 v151, 0x80, v151
	s_delay_alu instid0(VALU_DEP_1) | instskip(SKIP_1) | instid1(VALU_DEP_2)
	v_or_b32_e32 v150, v150, v160
	v_and_b32_e32 v162, 7, v160
	v_cmp_ne_u32_e32 vcc_lo, 0, v150
	v_lshlrev_b32_e32 v161, 3, v161
	s_delay_alu instid0(VALU_DEP_1) | instskip(NEXT) | instid1(VALU_DEP_1)
	v_or3_b32 v151, v161, v151, v162
	v_cndmask_b32_e32 v150, 0, v151, vcc_lo
.LBB4_2224:                             ;   in Loop: Header=BB4_2209 Depth=3
	s_or_b32 exec_lo, exec_lo, s17
.LBB4_2225:                             ;   in Loop: Header=BB4_2209 Depth=3
	s_delay_alu instid0(SALU_CYCLE_1) | instskip(SKIP_3) | instid1(VALU_DEP_1)
	s_or_b32 exec_lo, exec_lo, s16
	v_lshrrev_b16 v160, 8, v20
	s_mov_b32 s13, 0
	s_mov_b32 s17, exec_lo
                                        ; implicit-def: $sgpr16
	v_cmpx_lt_i16_e64 0x7f, v160
	s_xor_b32 s17, exec_lo, s17
	s_cbranch_execnz .LBB4_2727
; %bb.2226:                             ;   in Loop: Header=BB4_2209 Depth=3
	s_or_saveexec_b32 s17, s17
	v_mov_b32_e32 v151, s16
	s_xor_b32 exec_lo, exec_lo, s17
	s_cbranch_execnz .LBB4_2730
.LBB4_2227:                             ;   in Loop: Header=BB4_2209 Depth=3
	s_or_b32 exec_lo, exec_lo, s17
	s_and_saveexec_b32 s16, s13
	s_cbranch_execz .LBB4_2229
.LBB4_2228:                             ;   in Loop: Header=BB4_2209 Depth=3
	v_and_b32_e32 v151, 0xffff, v160
	s_delay_alu instid0(VALU_DEP_1) | instskip(NEXT) | instid1(VALU_DEP_1)
	v_and_b32_e32 v161, 7, v151
	v_clz_i32_u32_e32 v162, v161
	s_delay_alu instid0(VALU_DEP_1) | instskip(NEXT) | instid1(VALU_DEP_1)
	v_min_u32_e32 v162, 32, v162
	v_subrev_nc_u32_e32 v163, 28, v162
	v_sub_nc_u32_e32 v162, 29, v162
	s_delay_alu instid0(VALU_DEP_2) | instskip(SKIP_1) | instid1(VALU_DEP_2)
	v_lshlrev_b32_e32 v163, v163, v151
	v_bfe_u32 v151, v151, 3, 4
	v_and_b32_e32 v163, 7, v163
	s_delay_alu instid0(VALU_DEP_2) | instskip(SKIP_1) | instid1(VALU_DEP_1)
	v_cmp_eq_u32_e32 vcc_lo, 0, v151
	v_dual_cndmask_b32 v151, v151, v162 :: v_dual_lshlrev_b32 v160, 24, v160
	v_dual_cndmask_b32 v161, v161, v163 :: v_dual_and_b32 v160, 0x80000000, v160
	s_delay_alu instid0(VALU_DEP_2) | instskip(NEXT) | instid1(VALU_DEP_2)
	v_lshl_add_u32 v151, v151, 23, 0x3b800000
	v_lshlrev_b32_e32 v161, 20, v161
	s_delay_alu instid0(VALU_DEP_1)
	v_or3_b32 v151, v160, v151, v161
.LBB4_2229:                             ;   in Loop: Header=BB4_2209 Depth=3
	s_or_b32 exec_lo, exec_lo, s16
	v_lshrrev_b16 v160, 8, v16
	s_mov_b32 s13, 0
	s_mov_b32 s17, exec_lo
                                        ; implicit-def: $sgpr16
	s_delay_alu instid0(VALU_DEP_1)
	v_cmpx_lt_i16_e64 0x7f, v160
	s_xor_b32 s17, exec_lo, s17
	s_cbranch_execnz .LBB4_2731
; %bb.2230:                             ;   in Loop: Header=BB4_2209 Depth=3
	s_or_saveexec_b32 s17, s17
	v_mov_b32_e32 v161, s16
	s_xor_b32 exec_lo, exec_lo, s17
	s_cbranch_execnz .LBB4_2734
.LBB4_2231:                             ;   in Loop: Header=BB4_2209 Depth=3
	s_or_b32 exec_lo, exec_lo, s17
	s_and_saveexec_b32 s16, s13
	s_cbranch_execz .LBB4_2233
.LBB4_2232:                             ;   in Loop: Header=BB4_2209 Depth=3
	v_and_b32_e32 v161, 0xffff, v160
	v_lshlrev_b32_e32 v160, 24, v160
	s_delay_alu instid0(VALU_DEP_2) | instskip(NEXT) | instid1(VALU_DEP_2)
	v_and_b32_e32 v162, 7, v161
	v_and_b32_e32 v160, 0x80000000, v160
	s_delay_alu instid0(VALU_DEP_2) | instskip(NEXT) | instid1(VALU_DEP_1)
	v_clz_i32_u32_e32 v163, v162
	v_min_u32_e32 v163, 32, v163
	s_delay_alu instid0(VALU_DEP_1) | instskip(SKIP_1) | instid1(VALU_DEP_2)
	v_subrev_nc_u32_e32 v164, 28, v163
	v_sub_nc_u32_e32 v163, 29, v163
	v_lshlrev_b32_e32 v164, v164, v161
	v_bfe_u32 v161, v161, 3, 4
	s_delay_alu instid0(VALU_DEP_2) | instskip(NEXT) | instid1(VALU_DEP_2)
	v_and_b32_e32 v164, 7, v164
	v_cmp_eq_u32_e32 vcc_lo, 0, v161
	s_delay_alu instid0(VALU_DEP_2) | instskip(NEXT) | instid1(VALU_DEP_1)
	v_dual_cndmask_b32 v161, v161, v163 :: v_dual_cndmask_b32 v162, v162, v164
	v_lshl_add_u32 v161, v161, 23, 0x3b800000
	s_delay_alu instid0(VALU_DEP_2) | instskip(NEXT) | instid1(VALU_DEP_1)
	v_lshlrev_b32_e32 v162, 20, v162
	v_or3_b32 v161, v160, v161, v162
.LBB4_2233:                             ;   in Loop: Header=BB4_2209 Depth=3
	s_or_b32 exec_lo, exec_lo, s16
	s_delay_alu instid0(VALU_DEP_1) | instskip(NEXT) | instid1(VALU_DEP_1)
	v_add_f32_e32 v160, v151, v161
	v_and_b32_e32 v151, 0x7f800000, v160
	s_delay_alu instid0(VALU_DEP_1)
	v_cmp_ne_u32_e32 vcc_lo, 0x7f800000, v151
	v_mov_b32_e32 v151, 0x80
	s_and_saveexec_b32 s16, vcc_lo
	s_cbranch_execz .LBB4_2241
; %bb.2234:                             ;   in Loop: Header=BB4_2209 Depth=3
	v_mov_b32_e32 v151, 0
	s_mov_b32 s17, exec_lo
	v_cmpx_ne_u32_e32 0, v160
	s_cbranch_execz .LBB4_2240
; %bb.2235:                             ;   in Loop: Header=BB4_2209 Depth=3
	v_bfe_u32 v151, v160, 23, 8
	s_delay_alu instid0(VALU_DEP_1) | instskip(SKIP_1) | instid1(VALU_DEP_2)
	v_sub_nc_u32_e32 v162, 0x78, v151
	v_cmp_gt_u32_e32 vcc_lo, 0x79, v151
	v_dual_cndmask_b32 v162, 0, v162 :: v_dual_and_b32 v161, 0x7fffff, v160
	s_delay_alu instid0(VALU_DEP_1) | instskip(SKIP_2) | instid1(VALU_DEP_4)
	v_or_b32_e32 v163, 0x800000, v161
	v_cmp_eq_u32_e32 vcc_lo, 0, v151
	v_add_nc_u32_e32 v151, 0xffffff89, v151
	v_cndmask_b32_e64 v162, v162, 0x77, vcc_lo
	s_delay_alu instid0(VALU_DEP_2) | instskip(SKIP_1) | instid1(VALU_DEP_3)
	v_cndmask_b32_e64 v151, v151, 0xffffff8a, vcc_lo
	v_cndmask_b32_e32 v161, v163, v161, vcc_lo
	v_lshl_add_u32 v163, 0x100000, v162, -1
	v_lshlrev_b32_e64 v166, v162, 0x80000
	s_delay_alu instid0(VALU_DEP_3) | instskip(SKIP_1) | instid1(VALU_DEP_4)
	v_lshrrev_b32_e32 v164, v162, v161
	v_add_nc_u32_e32 v162, v162, v151
	v_and_b32_e32 v161, v163, v161
	s_delay_alu instid0(VALU_DEP_3) | instskip(NEXT) | instid1(VALU_DEP_2)
	v_bfe_u32 v165, v164, 20, 1
	v_cmp_eq_u32_e64 s13, v161, v166
	s_delay_alu instid0(VALU_DEP_2) | instskip(NEXT) | instid1(VALU_DEP_1)
	v_add_nc_u32_e32 v163, -1, v165
	v_cndmask_b32_e64 v161, 0, v163, s13
	v_lshrrev_b32_e32 v163, 23, v164
	s_mov_b32 s13, exec_lo
	s_delay_alu instid0(VALU_DEP_2) | instskip(NEXT) | instid1(VALU_DEP_2)
	v_add_nc_u32_e32 v161, v161, v164
	v_xor_b32_e32 v163, 1, v163
	s_delay_alu instid0(VALU_DEP_2) | instskip(NEXT) | instid1(VALU_DEP_1)
	v_and_b32_e32 v151, 0xfffff, v161
	v_add_nc_u32_e32 v161, v151, v164
                                        ; implicit-def: $vgpr151
	s_delay_alu instid0(VALU_DEP_3)
	v_cmpx_ne_u32_e64 v162, v163
	s_xor_b32 s13, exec_lo, s13
; %bb.2236:                             ;   in Loop: Header=BB4_2209 Depth=3
	s_delay_alu instid0(VALU_DEP_2) | instskip(SKIP_2) | instid1(VALU_DEP_2)
	v_cmp_lt_u32_e32 vcc_lo, 0xffffff, v161
	v_sub_nc_u32_e32 v151, v162, v163
	v_cndmask_b32_e64 v162, 0, 1, vcc_lo
	v_add_co_ci_u32_e32 v151, vcc_lo, 0, v151, vcc_lo
	s_delay_alu instid0(VALU_DEP_2)
	v_lshrrev_b32_e32 v161, v162, v161
; %bb.2237:                             ;   in Loop: Header=BB4_2209 Depth=3
	s_and_not1_saveexec_b32 s13, s13
; %bb.2238:                             ;   in Loop: Header=BB4_2209 Depth=3
	s_delay_alu instid0(VALU_DEP_1)
	v_bfe_u32 v151, v161, 23, 1
; %bb.2239:                             ;   in Loop: Header=BB4_2209 Depth=3
	s_or_b32 exec_lo, exec_lo, s13
	v_lshrrev_b32_e32 v161, 20, v161
	s_delay_alu instid0(VALU_DEP_2) | instskip(SKIP_2) | instid1(VALU_DEP_2)
	v_cmp_gt_i32_e32 vcc_lo, 16, v151
	v_lshrrev_b32_e32 v160, 24, v160
	v_min_i32_e32 v162, 15, v151
	v_dual_cndmask_b32 v161, 7, v161 :: v_dual_and_b32 v160, 0x80, v160
	s_delay_alu instid0(VALU_DEP_1) | instskip(SKIP_1) | instid1(VALU_DEP_2)
	v_or_b32_e32 v151, v151, v161
	v_and_b32_e32 v163, 7, v161
	v_cmp_ne_u32_e32 vcc_lo, 0, v151
	v_lshlrev_b32_e32 v162, 3, v162
	s_delay_alu instid0(VALU_DEP_1) | instskip(NEXT) | instid1(VALU_DEP_1)
	v_or3_b32 v160, v162, v160, v163
	v_cndmask_b32_e32 v151, 0, v160, vcc_lo
.LBB4_2240:                             ;   in Loop: Header=BB4_2209 Depth=3
	s_or_b32 exec_lo, exec_lo, s17
.LBB4_2241:                             ;   in Loop: Header=BB4_2209 Depth=3
	s_delay_alu instid0(SALU_CYCLE_1) | instskip(SKIP_3) | instid1(VALU_DEP_1)
	s_or_b32 exec_lo, exec_lo, s16
	v_lshrrev_b32_e32 v161, 16, v20
	s_mov_b32 s13, 0
	s_mov_b32 s17, exec_lo
                                        ; implicit-def: $sgpr16
	v_and_b32_e32 v162, 0xff, v161
	s_delay_alu instid0(VALU_DEP_1)
	v_cmpx_lt_i16_e64 0x7f, v162
	s_xor_b32 s17, exec_lo, s17
	s_cbranch_execnz .LBB4_2735
; %bb.2242:                             ;   in Loop: Header=BB4_2209 Depth=3
	s_or_saveexec_b32 s17, s17
	v_mov_b32_e32 v160, s16
	s_xor_b32 exec_lo, exec_lo, s17
	s_cbranch_execnz .LBB4_2738
.LBB4_2243:                             ;   in Loop: Header=BB4_2209 Depth=3
	s_or_b32 exec_lo, exec_lo, s17
	s_and_saveexec_b32 s16, s13
	s_cbranch_execz .LBB4_2245
.LBB4_2244:                             ;   in Loop: Header=BB4_2209 Depth=3
	v_bfe_u32 v160, v20, 16, 3
	v_lshlrev_b32_e32 v164, 8, v20
	s_delay_alu instid0(VALU_DEP_2) | instskip(NEXT) | instid1(VALU_DEP_1)
	v_clz_i32_u32_e32 v162, v160
	v_min_u32_e32 v162, 32, v162
	s_delay_alu instid0(VALU_DEP_1) | instskip(SKIP_1) | instid1(VALU_DEP_2)
	v_subrev_nc_u32_e32 v163, 28, v162
	v_sub_nc_u32_e32 v162, 29, v162
	v_lshlrev_b32_e32 v161, v163, v161
	v_bfe_u32 v163, v20, 19, 4
	s_delay_alu instid0(VALU_DEP_1) | instskip(NEXT) | instid1(VALU_DEP_3)
	v_cmp_eq_u32_e32 vcc_lo, 0, v163
	v_dual_cndmask_b32 v162, v163, v162 :: v_dual_and_b32 v161, 7, v161
	s_delay_alu instid0(VALU_DEP_1) | instskip(NEXT) | instid1(VALU_DEP_2)
	v_dual_cndmask_b32 v160, v160, v161 :: v_dual_and_b32 v161, 0x80000000, v164
	v_lshl_add_u32 v162, v162, 23, 0x3b800000
	s_delay_alu instid0(VALU_DEP_2) | instskip(NEXT) | instid1(VALU_DEP_1)
	v_lshlrev_b32_e32 v160, 20, v160
	v_or3_b32 v160, v161, v162, v160
.LBB4_2245:                             ;   in Loop: Header=BB4_2209 Depth=3
	s_or_b32 exec_lo, exec_lo, s16
	v_lshrrev_b32_e32 v161, 16, v16
	s_mov_b32 s13, 0
	s_mov_b32 s17, exec_lo
                                        ; implicit-def: $sgpr16
	s_delay_alu instid0(VALU_DEP_1) | instskip(NEXT) | instid1(VALU_DEP_1)
	v_and_b32_e32 v163, 0xff, v161
	v_cmpx_lt_i16_e64 0x7f, v163
	s_xor_b32 s17, exec_lo, s17
	s_cbranch_execnz .LBB4_2739
; %bb.2246:                             ;   in Loop: Header=BB4_2209 Depth=3
	s_or_saveexec_b32 s17, s17
	v_mov_b32_e32 v162, s16
	s_xor_b32 exec_lo, exec_lo, s17
	s_cbranch_execnz .LBB4_2742
.LBB4_2247:                             ;   in Loop: Header=BB4_2209 Depth=3
	s_or_b32 exec_lo, exec_lo, s17
	s_and_saveexec_b32 s16, s13
	s_cbranch_execz .LBB4_2249
.LBB4_2248:                             ;   in Loop: Header=BB4_2209 Depth=3
	v_bfe_u32 v162, v16, 16, 3
	v_lshlrev_b32_e32 v165, 8, v16
	s_delay_alu instid0(VALU_DEP_2) | instskip(NEXT) | instid1(VALU_DEP_1)
	v_clz_i32_u32_e32 v163, v162
	v_min_u32_e32 v163, 32, v163
	s_delay_alu instid0(VALU_DEP_1) | instskip(SKIP_1) | instid1(VALU_DEP_2)
	v_subrev_nc_u32_e32 v164, 28, v163
	v_sub_nc_u32_e32 v163, 29, v163
	v_lshlrev_b32_e32 v161, v164, v161
	v_bfe_u32 v164, v16, 19, 4
	s_delay_alu instid0(VALU_DEP_2) | instskip(NEXT) | instid1(VALU_DEP_2)
	v_and_b32_e32 v161, 7, v161
	v_cmp_eq_u32_e32 vcc_lo, 0, v164
	v_cndmask_b32_e32 v163, v164, v163, vcc_lo
	s_delay_alu instid0(VALU_DEP_3) | instskip(SKIP_1) | instid1(VALU_DEP_3)
	v_cndmask_b32_e32 v161, v162, v161, vcc_lo
	v_and_b32_e32 v162, 0x80000000, v165
	v_lshl_add_u32 v163, v163, 23, 0x3b800000
	s_delay_alu instid0(VALU_DEP_3) | instskip(NEXT) | instid1(VALU_DEP_1)
	v_lshlrev_b32_e32 v161, 20, v161
	v_or3_b32 v162, v162, v163, v161
.LBB4_2249:                             ;   in Loop: Header=BB4_2209 Depth=3
	s_or_b32 exec_lo, exec_lo, s16
	s_delay_alu instid0(VALU_DEP_1) | instskip(NEXT) | instid1(VALU_DEP_1)
	v_add_f32_e32 v161, v160, v162
	v_and_b32_e32 v160, 0x7f800000, v161
	s_delay_alu instid0(VALU_DEP_1)
	v_cmp_ne_u32_e32 vcc_lo, 0x7f800000, v160
	v_mov_b32_e32 v160, 0x80
	s_and_saveexec_b32 s16, vcc_lo
	s_cbranch_execz .LBB4_2257
; %bb.2250:                             ;   in Loop: Header=BB4_2209 Depth=3
	v_mov_b32_e32 v160, 0
	s_mov_b32 s17, exec_lo
	v_cmpx_ne_u32_e32 0, v161
	s_cbranch_execz .LBB4_2256
; %bb.2251:                             ;   in Loop: Header=BB4_2209 Depth=3
	v_bfe_u32 v160, v161, 23, 8
	s_delay_alu instid0(VALU_DEP_1) | instskip(SKIP_1) | instid1(VALU_DEP_2)
	v_sub_nc_u32_e32 v163, 0x78, v160
	v_cmp_gt_u32_e32 vcc_lo, 0x79, v160
	v_dual_cndmask_b32 v163, 0, v163 :: v_dual_and_b32 v162, 0x7fffff, v161
	s_delay_alu instid0(VALU_DEP_1) | instskip(SKIP_2) | instid1(VALU_DEP_4)
	v_or_b32_e32 v164, 0x800000, v162
	v_cmp_eq_u32_e32 vcc_lo, 0, v160
	v_add_nc_u32_e32 v160, 0xffffff89, v160
	v_cndmask_b32_e64 v163, v163, 0x77, vcc_lo
	s_delay_alu instid0(VALU_DEP_2) | instskip(SKIP_1) | instid1(VALU_DEP_3)
	v_cndmask_b32_e64 v160, v160, 0xffffff8a, vcc_lo
	v_cndmask_b32_e32 v162, v164, v162, vcc_lo
	v_lshl_add_u32 v164, 0x100000, v163, -1
	v_lshlrev_b32_e64 v167, v163, 0x80000
	s_delay_alu instid0(VALU_DEP_3) | instskip(SKIP_1) | instid1(VALU_DEP_4)
	v_lshrrev_b32_e32 v165, v163, v162
	v_add_nc_u32_e32 v163, v163, v160
	v_and_b32_e32 v162, v164, v162
	s_delay_alu instid0(VALU_DEP_3) | instskip(NEXT) | instid1(VALU_DEP_2)
	v_bfe_u32 v166, v165, 20, 1
	v_cmp_eq_u32_e64 s13, v162, v167
	s_delay_alu instid0(VALU_DEP_2) | instskip(NEXT) | instid1(VALU_DEP_1)
	v_add_nc_u32_e32 v164, -1, v166
	v_cndmask_b32_e64 v162, 0, v164, s13
	v_lshrrev_b32_e32 v164, 23, v165
	s_mov_b32 s13, exec_lo
	s_delay_alu instid0(VALU_DEP_2) | instskip(NEXT) | instid1(VALU_DEP_2)
	v_add_nc_u32_e32 v162, v162, v165
	v_xor_b32_e32 v164, 1, v164
	s_delay_alu instid0(VALU_DEP_2) | instskip(NEXT) | instid1(VALU_DEP_1)
	v_and_b32_e32 v160, 0xfffff, v162
	v_add_nc_u32_e32 v162, v160, v165
                                        ; implicit-def: $vgpr160
	s_delay_alu instid0(VALU_DEP_3)
	v_cmpx_ne_u32_e64 v163, v164
	s_xor_b32 s13, exec_lo, s13
; %bb.2252:                             ;   in Loop: Header=BB4_2209 Depth=3
	s_delay_alu instid0(VALU_DEP_2) | instskip(SKIP_2) | instid1(VALU_DEP_2)
	v_cmp_lt_u32_e32 vcc_lo, 0xffffff, v162
	v_sub_nc_u32_e32 v160, v163, v164
	v_cndmask_b32_e64 v163, 0, 1, vcc_lo
	v_add_co_ci_u32_e32 v160, vcc_lo, 0, v160, vcc_lo
	s_delay_alu instid0(VALU_DEP_2)
	v_lshrrev_b32_e32 v162, v163, v162
; %bb.2253:                             ;   in Loop: Header=BB4_2209 Depth=3
	s_and_not1_saveexec_b32 s13, s13
; %bb.2254:                             ;   in Loop: Header=BB4_2209 Depth=3
	s_delay_alu instid0(VALU_DEP_1)
	v_bfe_u32 v160, v162, 23, 1
; %bb.2255:                             ;   in Loop: Header=BB4_2209 Depth=3
	s_or_b32 exec_lo, exec_lo, s13
	v_lshrrev_b32_e32 v162, 20, v162
	s_delay_alu instid0(VALU_DEP_2) | instskip(SKIP_2) | instid1(VALU_DEP_2)
	v_cmp_gt_i32_e32 vcc_lo, 16, v160
	v_lshrrev_b32_e32 v161, 24, v161
	v_min_i32_e32 v163, 15, v160
	v_dual_cndmask_b32 v162, 7, v162 :: v_dual_and_b32 v161, 0x80, v161
	s_delay_alu instid0(VALU_DEP_1) | instskip(SKIP_1) | instid1(VALU_DEP_2)
	v_or_b32_e32 v160, v160, v162
	v_and_b32_e32 v164, 7, v162
	v_cmp_ne_u32_e32 vcc_lo, 0, v160
	v_lshlrev_b32_e32 v163, 3, v163
	s_delay_alu instid0(VALU_DEP_1) | instskip(NEXT) | instid1(VALU_DEP_1)
	v_or3_b32 v161, v163, v161, v164
	v_cndmask_b32_e32 v160, 0, v161, vcc_lo
.LBB4_2256:                             ;   in Loop: Header=BB4_2209 Depth=3
	s_or_b32 exec_lo, exec_lo, s17
.LBB4_2257:                             ;   in Loop: Header=BB4_2209 Depth=3
	s_delay_alu instid0(SALU_CYCLE_1) | instskip(SKIP_3) | instid1(VALU_DEP_1)
	s_or_b32 exec_lo, exec_lo, s16
	v_lshrrev_b32_e32 v162, 24, v20
	s_mov_b32 s13, 0
	s_mov_b32 s17, exec_lo
                                        ; implicit-def: $sgpr16
	v_cmpx_lt_i16_e64 0x7f, v162
	s_xor_b32 s17, exec_lo, s17
	s_cbranch_execnz .LBB4_2743
; %bb.2258:                             ;   in Loop: Header=BB4_2209 Depth=3
	s_or_saveexec_b32 s17, s17
	v_mov_b32_e32 v161, s16
	s_xor_b32 exec_lo, exec_lo, s17
	s_cbranch_execnz .LBB4_2746
.LBB4_2259:                             ;   in Loop: Header=BB4_2209 Depth=3
	s_or_b32 exec_lo, exec_lo, s17
	s_and_saveexec_b32 s16, s13
	s_cbranch_execz .LBB4_2261
.LBB4_2260:                             ;   in Loop: Header=BB4_2209 Depth=3
	v_bfe_u32 v161, v20, 24, 3
	s_delay_alu instid0(VALU_DEP_1) | instskip(NEXT) | instid1(VALU_DEP_1)
	v_clz_i32_u32_e32 v163, v161
	v_min_u32_e32 v163, 32, v163
	s_delay_alu instid0(VALU_DEP_1) | instskip(SKIP_1) | instid1(VALU_DEP_2)
	v_subrev_nc_u32_e32 v164, 28, v163
	v_sub_nc_u32_e32 v163, 29, v163
	v_lshlrev_b32_e32 v162, v164, v162
	v_bfe_u32 v164, v20, 27, 4
	v_and_b32_e32 v20, 0x80000000, v20
	s_delay_alu instid0(VALU_DEP_2) | instskip(NEXT) | instid1(VALU_DEP_4)
	v_cmp_eq_u32_e32 vcc_lo, 0, v164
	v_dual_cndmask_b32 v163, v164, v163 :: v_dual_and_b32 v162, 7, v162
	s_delay_alu instid0(VALU_DEP_1) | instskip(NEXT) | instid1(VALU_DEP_2)
	v_cndmask_b32_e32 v161, v161, v162, vcc_lo
	v_lshl_add_u32 v162, v163, 23, 0x3b800000
	s_delay_alu instid0(VALU_DEP_2) | instskip(NEXT) | instid1(VALU_DEP_1)
	v_lshlrev_b32_e32 v161, 20, v161
	v_or3_b32 v161, v20, v162, v161
.LBB4_2261:                             ;   in Loop: Header=BB4_2209 Depth=3
	s_or_b32 exec_lo, exec_lo, s16
	v_lshrrev_b32_e32 v20, 24, v16
	s_mov_b32 s13, 0
	s_mov_b32 s17, exec_lo
                                        ; implicit-def: $sgpr16
	s_delay_alu instid0(VALU_DEP_1)
	v_cmpx_lt_i16_e32 0x7f, v20
	s_xor_b32 s17, exec_lo, s17
	s_cbranch_execnz .LBB4_2747
; %bb.2262:                             ;   in Loop: Header=BB4_2209 Depth=3
	s_or_saveexec_b32 s17, s17
	v_mov_b32_e32 v162, s16
	s_xor_b32 exec_lo, exec_lo, s17
	s_cbranch_execnz .LBB4_2750
.LBB4_2263:                             ;   in Loop: Header=BB4_2209 Depth=3
	s_or_b32 exec_lo, exec_lo, s17
	s_and_saveexec_b32 s16, s13
	s_cbranch_execz .LBB4_2265
.LBB4_2264:                             ;   in Loop: Header=BB4_2209 Depth=3
	v_bfe_u32 v162, v16, 24, 3
	s_delay_alu instid0(VALU_DEP_1) | instskip(NEXT) | instid1(VALU_DEP_1)
	v_clz_i32_u32_e32 v163, v162
	v_min_u32_e32 v163, 32, v163
	s_delay_alu instid0(VALU_DEP_1) | instskip(SKIP_1) | instid1(VALU_DEP_2)
	v_subrev_nc_u32_e32 v164, 28, v163
	v_sub_nc_u32_e32 v163, 29, v163
	v_lshlrev_b32_e32 v20, v164, v20
	v_bfe_u32 v164, v16, 27, 4
	v_and_b32_e32 v16, 0x80000000, v16
	s_delay_alu instid0(VALU_DEP_2) | instskip(NEXT) | instid1(VALU_DEP_4)
	v_cmp_eq_u32_e32 vcc_lo, 0, v164
	v_dual_cndmask_b32 v163, v164, v163 :: v_dual_and_b32 v20, 7, v20
	s_delay_alu instid0(VALU_DEP_1) | instskip(NEXT) | instid1(VALU_DEP_2)
	v_cndmask_b32_e32 v20, v162, v20, vcc_lo
	v_lshl_add_u32 v162, v163, 23, 0x3b800000
	s_delay_alu instid0(VALU_DEP_2) | instskip(NEXT) | instid1(VALU_DEP_1)
	v_lshlrev_b32_e32 v20, 20, v20
	v_or3_b32 v162, v16, v162, v20
.LBB4_2265:                             ;   in Loop: Header=BB4_2209 Depth=3
	s_or_b32 exec_lo, exec_lo, s16
	s_delay_alu instid0(VALU_DEP_1) | instskip(NEXT) | instid1(VALU_DEP_1)
	v_add_f32_e32 v20, v161, v162
	v_and_b32_e32 v16, 0x7f800000, v20
	s_delay_alu instid0(VALU_DEP_1)
	v_cmp_ne_u32_e32 vcc_lo, 0x7f800000, v16
	v_mov_b32_e32 v16, 0x80
	s_and_saveexec_b32 s16, vcc_lo
	s_cbranch_execz .LBB4_2273
; %bb.2266:                             ;   in Loop: Header=BB4_2209 Depth=3
	v_mov_b32_e32 v16, 0
	s_mov_b32 s17, exec_lo
	v_cmpx_ne_u32_e32 0, v20
	s_cbranch_execz .LBB4_2272
; %bb.2267:                             ;   in Loop: Header=BB4_2209 Depth=3
	v_bfe_u32 v16, v20, 23, 8
	s_delay_alu instid0(VALU_DEP_1) | instskip(SKIP_1) | instid1(VALU_DEP_2)
	v_sub_nc_u32_e32 v162, 0x78, v16
	v_cmp_gt_u32_e32 vcc_lo, 0x79, v16
	v_dual_cndmask_b32 v162, 0, v162 :: v_dual_and_b32 v161, 0x7fffff, v20
	s_delay_alu instid0(VALU_DEP_1) | instskip(SKIP_2) | instid1(VALU_DEP_4)
	v_or_b32_e32 v163, 0x800000, v161
	v_cmp_eq_u32_e32 vcc_lo, 0, v16
	v_add_nc_u32_e32 v16, 0xffffff89, v16
	v_cndmask_b32_e64 v162, v162, 0x77, vcc_lo
	s_delay_alu instid0(VALU_DEP_4) | instskip(NEXT) | instid1(VALU_DEP_3)
	v_cndmask_b32_e32 v161, v163, v161, vcc_lo
	v_cndmask_b32_e64 v16, v16, 0xffffff8a, vcc_lo
	s_delay_alu instid0(VALU_DEP_3) | instskip(NEXT) | instid1(VALU_DEP_3)
	v_lshl_add_u32 v163, 0x100000, v162, -1
	v_lshrrev_b32_e32 v164, v162, v161
	v_lshlrev_b32_e64 v166, v162, 0x80000
	s_delay_alu instid0(VALU_DEP_4) | instskip(NEXT) | instid1(VALU_DEP_4)
	v_add_nc_u32_e32 v162, v162, v16
	v_and_b32_e32 v161, v163, v161
	s_delay_alu instid0(VALU_DEP_4) | instskip(NEXT) | instid1(VALU_DEP_2)
	v_bfe_u32 v165, v164, 20, 1
	v_cmp_eq_u32_e64 s13, v161, v166
	s_delay_alu instid0(VALU_DEP_2) | instskip(NEXT) | instid1(VALU_DEP_1)
	v_add_nc_u32_e32 v163, -1, v165
	v_cndmask_b32_e64 v161, 0, v163, s13
	v_lshrrev_b32_e32 v163, 23, v164
	s_mov_b32 s13, exec_lo
	s_delay_alu instid0(VALU_DEP_2) | instskip(NEXT) | instid1(VALU_DEP_2)
	v_add_nc_u32_e32 v161, v161, v164
	v_xor_b32_e32 v163, 1, v163
	s_delay_alu instid0(VALU_DEP_2) | instskip(NEXT) | instid1(VALU_DEP_1)
	v_and_b32_e32 v16, 0xfffff, v161
	v_add_nc_u32_e32 v161, v16, v164
                                        ; implicit-def: $vgpr16
	s_delay_alu instid0(VALU_DEP_3)
	v_cmpx_ne_u32_e64 v162, v163
	s_xor_b32 s13, exec_lo, s13
; %bb.2268:                             ;   in Loop: Header=BB4_2209 Depth=3
	s_delay_alu instid0(VALU_DEP_2) | instskip(SKIP_2) | instid1(VALU_DEP_2)
	v_cmp_lt_u32_e32 vcc_lo, 0xffffff, v161
	v_sub_nc_u32_e32 v16, v162, v163
	v_cndmask_b32_e64 v162, 0, 1, vcc_lo
	v_add_co_ci_u32_e32 v16, vcc_lo, 0, v16, vcc_lo
	s_delay_alu instid0(VALU_DEP_2)
	v_lshrrev_b32_e32 v161, v162, v161
; %bb.2269:                             ;   in Loop: Header=BB4_2209 Depth=3
	s_and_not1_saveexec_b32 s13, s13
; %bb.2270:                             ;   in Loop: Header=BB4_2209 Depth=3
	s_delay_alu instid0(VALU_DEP_1)
	v_bfe_u32 v16, v161, 23, 1
; %bb.2271:                             ;   in Loop: Header=BB4_2209 Depth=3
	s_or_b32 exec_lo, exec_lo, s13
	v_lshrrev_b32_e32 v161, 20, v161
	s_delay_alu instid0(VALU_DEP_2) | instskip(SKIP_2) | instid1(VALU_DEP_2)
	v_cmp_gt_i32_e32 vcc_lo, 16, v16
	v_lshrrev_b32_e32 v20, 24, v20
	v_min_i32_e32 v162, 15, v16
	v_dual_cndmask_b32 v161, 7, v161 :: v_dual_and_b32 v20, 0x80, v20
	s_delay_alu instid0(VALU_DEP_2) | instskip(NEXT) | instid1(VALU_DEP_2)
	v_lshlrev_b32_e32 v162, 3, v162
	v_or_b32_e32 v16, v16, v161
	s_delay_alu instid0(VALU_DEP_1) | instskip(SKIP_1) | instid1(VALU_DEP_1)
	v_cmp_ne_u32_e32 vcc_lo, 0, v16
	v_and_b32_e32 v163, 7, v161
	v_or3_b32 v20, v162, v20, v163
	s_delay_alu instid0(VALU_DEP_1)
	v_cndmask_b32_e32 v16, 0, v20, vcc_lo
.LBB4_2272:                             ;   in Loop: Header=BB4_2209 Depth=3
	s_or_b32 exec_lo, exec_lo, s17
.LBB4_2273:                             ;   in Loop: Header=BB4_2209 Depth=3
	s_delay_alu instid0(SALU_CYCLE_1) | instskip(SKIP_3) | instid1(VALU_DEP_1)
	s_or_b32 exec_lo, exec_lo, s16
	v_and_b32_e32 v161, 0xff, v21
	s_mov_b32 s13, 0
	s_mov_b32 s17, exec_lo
                                        ; implicit-def: $sgpr16
	v_cmpx_lt_i16_e64 0x7f, v161
	s_xor_b32 s17, exec_lo, s17
	s_cbranch_execnz .LBB4_2751
; %bb.2274:                             ;   in Loop: Header=BB4_2209 Depth=3
	s_or_saveexec_b32 s17, s17
	v_mov_b32_e32 v20, s16
	s_xor_b32 exec_lo, exec_lo, s17
	s_cbranch_execnz .LBB4_2754
.LBB4_2275:                             ;   in Loop: Header=BB4_2209 Depth=3
	s_or_b32 exec_lo, exec_lo, s17
	s_and_saveexec_b32 s16, s13
	s_cbranch_execz .LBB4_2277
.LBB4_2276:                             ;   in Loop: Header=BB4_2209 Depth=3
	v_and_b32_e32 v20, 7, v21
	v_bfe_u32 v163, v21, 3, 4
	v_lshlrev_b32_e32 v164, 24, v21
	s_delay_alu instid0(VALU_DEP_3) | instskip(NEXT) | instid1(VALU_DEP_3)
	v_clz_i32_u32_e32 v161, v20
	v_cmp_eq_u32_e32 vcc_lo, 0, v163
	s_delay_alu instid0(VALU_DEP_2) | instskip(NEXT) | instid1(VALU_DEP_1)
	v_min_u32_e32 v161, 32, v161
	v_subrev_nc_u32_e32 v162, 28, v161
	v_sub_nc_u32_e32 v161, 29, v161
	s_delay_alu instid0(VALU_DEP_2) | instskip(NEXT) | instid1(VALU_DEP_1)
	v_lshlrev_b32_e32 v162, v162, v21
	v_dual_cndmask_b32 v161, v163, v161 :: v_dual_and_b32 v162, 7, v162
	s_delay_alu instid0(VALU_DEP_1) | instskip(NEXT) | instid1(VALU_DEP_2)
	v_lshl_add_u32 v161, v161, 23, 0x3b800000
	v_cndmask_b32_e32 v20, v20, v162, vcc_lo
	v_and_b32_e32 v162, 0x80000000, v164
	s_delay_alu instid0(VALU_DEP_2) | instskip(NEXT) | instid1(VALU_DEP_1)
	v_lshlrev_b32_e32 v20, 20, v20
	v_or3_b32 v20, v162, v161, v20
.LBB4_2277:                             ;   in Loop: Header=BB4_2209 Depth=3
	s_or_b32 exec_lo, exec_lo, s16
	v_and_b32_e32 v162, 0xff, v17
	s_mov_b32 s13, 0
	s_mov_b32 s17, exec_lo
                                        ; implicit-def: $sgpr16
	s_delay_alu instid0(VALU_DEP_1)
	v_cmpx_lt_i16_e64 0x7f, v162
	s_xor_b32 s17, exec_lo, s17
	s_cbranch_execnz .LBB4_2755
; %bb.2278:                             ;   in Loop: Header=BB4_2209 Depth=3
	s_or_saveexec_b32 s17, s17
	v_mov_b32_e32 v161, s16
	s_xor_b32 exec_lo, exec_lo, s17
	s_cbranch_execnz .LBB4_2758
.LBB4_2279:                             ;   in Loop: Header=BB4_2209 Depth=3
	s_or_b32 exec_lo, exec_lo, s17
	s_and_saveexec_b32 s16, s13
	s_cbranch_execz .LBB4_2281
.LBB4_2280:                             ;   in Loop: Header=BB4_2209 Depth=3
	v_bfe_u32 v164, v17, 3, 4
	v_lshlrev_b32_e32 v165, 24, v17
	s_delay_alu instid0(VALU_DEP_2) | instskip(SKIP_1) | instid1(VALU_DEP_1)
	v_cmp_eq_u32_e32 vcc_lo, 0, v164
	v_and_b32_e32 v161, 7, v17
	v_clz_i32_u32_e32 v162, v161
	s_delay_alu instid0(VALU_DEP_1) | instskip(NEXT) | instid1(VALU_DEP_1)
	v_min_u32_e32 v162, 32, v162
	v_subrev_nc_u32_e32 v163, 28, v162
	v_sub_nc_u32_e32 v162, 29, v162
	s_delay_alu instid0(VALU_DEP_1) | instskip(NEXT) | instid1(VALU_DEP_1)
	v_dual_cndmask_b32 v162, v164, v162 :: v_dual_lshlrev_b32 v163, v163, v17
	v_and_b32_e32 v163, 7, v163
	s_delay_alu instid0(VALU_DEP_2) | instskip(NEXT) | instid1(VALU_DEP_2)
	v_lshl_add_u32 v162, v162, 23, 0x3b800000
	v_cndmask_b32_e32 v161, v161, v163, vcc_lo
	v_and_b32_e32 v163, 0x80000000, v165
	s_delay_alu instid0(VALU_DEP_2) | instskip(NEXT) | instid1(VALU_DEP_1)
	v_lshlrev_b32_e32 v161, 20, v161
	v_or3_b32 v161, v163, v162, v161
.LBB4_2281:                             ;   in Loop: Header=BB4_2209 Depth=3
	s_or_b32 exec_lo, exec_lo, s16
	s_delay_alu instid0(VALU_DEP_1) | instskip(NEXT) | instid1(VALU_DEP_1)
	v_add_f32_e32 v161, v20, v161
	v_and_b32_e32 v20, 0x7f800000, v161
	s_delay_alu instid0(VALU_DEP_1)
	v_cmp_ne_u32_e32 vcc_lo, 0x7f800000, v20
	v_mov_b32_e32 v20, 0x80
	s_and_saveexec_b32 s16, vcc_lo
	s_cbranch_execz .LBB4_2289
; %bb.2282:                             ;   in Loop: Header=BB4_2209 Depth=3
	v_mov_b32_e32 v20, 0
	s_mov_b32 s17, exec_lo
	v_cmpx_ne_u32_e32 0, v161
	s_cbranch_execz .LBB4_2288
; %bb.2283:                             ;   in Loop: Header=BB4_2209 Depth=3
	v_bfe_u32 v20, v161, 23, 8
	s_delay_alu instid0(VALU_DEP_1) | instskip(SKIP_1) | instid1(VALU_DEP_2)
	v_sub_nc_u32_e32 v163, 0x78, v20
	v_cmp_gt_u32_e32 vcc_lo, 0x79, v20
	v_dual_cndmask_b32 v163, 0, v163 :: v_dual_and_b32 v162, 0x7fffff, v161
	s_delay_alu instid0(VALU_DEP_1) | instskip(SKIP_2) | instid1(VALU_DEP_4)
	v_or_b32_e32 v164, 0x800000, v162
	v_cmp_eq_u32_e32 vcc_lo, 0, v20
	v_add_nc_u32_e32 v20, 0xffffff89, v20
	v_cndmask_b32_e64 v163, v163, 0x77, vcc_lo
	s_delay_alu instid0(VALU_DEP_2) | instskip(SKIP_1) | instid1(VALU_DEP_3)
	v_cndmask_b32_e64 v20, v20, 0xffffff8a, vcc_lo
	v_cndmask_b32_e32 v162, v164, v162, vcc_lo
	v_lshl_add_u32 v164, 0x100000, v163, -1
	v_lshlrev_b32_e64 v167, v163, 0x80000
	s_delay_alu instid0(VALU_DEP_3) | instskip(SKIP_1) | instid1(VALU_DEP_4)
	v_lshrrev_b32_e32 v165, v163, v162
	v_add_nc_u32_e32 v163, v163, v20
	v_and_b32_e32 v162, v164, v162
	s_delay_alu instid0(VALU_DEP_3) | instskip(NEXT) | instid1(VALU_DEP_2)
	v_bfe_u32 v166, v165, 20, 1
	v_cmp_eq_u32_e64 s13, v162, v167
	s_delay_alu instid0(VALU_DEP_2) | instskip(NEXT) | instid1(VALU_DEP_1)
	v_add_nc_u32_e32 v164, -1, v166
	v_cndmask_b32_e64 v162, 0, v164, s13
	v_lshrrev_b32_e32 v164, 23, v165
	s_mov_b32 s13, exec_lo
	s_delay_alu instid0(VALU_DEP_2) | instskip(NEXT) | instid1(VALU_DEP_2)
	v_add_nc_u32_e32 v162, v162, v165
	v_xor_b32_e32 v164, 1, v164
	s_delay_alu instid0(VALU_DEP_2) | instskip(NEXT) | instid1(VALU_DEP_1)
	v_and_b32_e32 v20, 0xfffff, v162
	v_add_nc_u32_e32 v162, v20, v165
                                        ; implicit-def: $vgpr20
	s_delay_alu instid0(VALU_DEP_3)
	v_cmpx_ne_u32_e64 v163, v164
	s_xor_b32 s13, exec_lo, s13
; %bb.2284:                             ;   in Loop: Header=BB4_2209 Depth=3
	s_delay_alu instid0(VALU_DEP_2) | instskip(SKIP_2) | instid1(VALU_DEP_2)
	v_cmp_lt_u32_e32 vcc_lo, 0xffffff, v162
	v_sub_nc_u32_e32 v20, v163, v164
	v_cndmask_b32_e64 v163, 0, 1, vcc_lo
	v_add_co_ci_u32_e32 v20, vcc_lo, 0, v20, vcc_lo
	s_delay_alu instid0(VALU_DEP_2)
	v_lshrrev_b32_e32 v162, v163, v162
; %bb.2285:                             ;   in Loop: Header=BB4_2209 Depth=3
	s_and_not1_saveexec_b32 s13, s13
; %bb.2286:                             ;   in Loop: Header=BB4_2209 Depth=3
	s_delay_alu instid0(VALU_DEP_1)
	v_bfe_u32 v20, v162, 23, 1
; %bb.2287:                             ;   in Loop: Header=BB4_2209 Depth=3
	s_or_b32 exec_lo, exec_lo, s13
	v_lshrrev_b32_e32 v162, 20, v162
	s_delay_alu instid0(VALU_DEP_2) | instskip(SKIP_2) | instid1(VALU_DEP_2)
	v_cmp_gt_i32_e32 vcc_lo, 16, v20
	v_lshrrev_b32_e32 v161, 24, v161
	v_min_i32_e32 v163, 15, v20
	v_dual_cndmask_b32 v162, 7, v162 :: v_dual_and_b32 v161, 0x80, v161
	s_delay_alu instid0(VALU_DEP_1) | instskip(SKIP_1) | instid1(VALU_DEP_2)
	v_or_b32_e32 v20, v20, v162
	v_and_b32_e32 v164, 7, v162
	v_cmp_ne_u32_e32 vcc_lo, 0, v20
	v_lshlrev_b32_e32 v163, 3, v163
	s_delay_alu instid0(VALU_DEP_1) | instskip(NEXT) | instid1(VALU_DEP_1)
	v_or3_b32 v161, v163, v161, v164
	v_cndmask_b32_e32 v20, 0, v161, vcc_lo
.LBB4_2288:                             ;   in Loop: Header=BB4_2209 Depth=3
	s_or_b32 exec_lo, exec_lo, s17
.LBB4_2289:                             ;   in Loop: Header=BB4_2209 Depth=3
	s_delay_alu instid0(SALU_CYCLE_1) | instskip(SKIP_3) | instid1(VALU_DEP_1)
	s_or_b32 exec_lo, exec_lo, s16
	v_lshrrev_b16 v162, 8, v21
	s_mov_b32 s13, 0
	s_mov_b32 s17, exec_lo
                                        ; implicit-def: $sgpr16
	v_cmpx_lt_i16_e64 0x7f, v162
	s_xor_b32 s17, exec_lo, s17
	s_cbranch_execnz .LBB4_2759
; %bb.2290:                             ;   in Loop: Header=BB4_2209 Depth=3
	s_or_saveexec_b32 s17, s17
	v_mov_b32_e32 v161, s16
	s_xor_b32 exec_lo, exec_lo, s17
	s_cbranch_execnz .LBB4_2762
.LBB4_2291:                             ;   in Loop: Header=BB4_2209 Depth=3
	s_or_b32 exec_lo, exec_lo, s17
	s_and_saveexec_b32 s16, s13
	s_cbranch_execz .LBB4_2293
.LBB4_2292:                             ;   in Loop: Header=BB4_2209 Depth=3
	v_and_b32_e32 v161, 0xffff, v162
	s_delay_alu instid0(VALU_DEP_1) | instskip(NEXT) | instid1(VALU_DEP_1)
	v_and_b32_e32 v163, 7, v161
	v_clz_i32_u32_e32 v164, v163
	s_delay_alu instid0(VALU_DEP_1) | instskip(NEXT) | instid1(VALU_DEP_1)
	v_min_u32_e32 v164, 32, v164
	v_subrev_nc_u32_e32 v165, 28, v164
	v_sub_nc_u32_e32 v164, 29, v164
	s_delay_alu instid0(VALU_DEP_2) | instskip(SKIP_1) | instid1(VALU_DEP_2)
	v_lshlrev_b32_e32 v165, v165, v161
	v_bfe_u32 v161, v161, 3, 4
	v_and_b32_e32 v165, 7, v165
	s_delay_alu instid0(VALU_DEP_2) | instskip(SKIP_1) | instid1(VALU_DEP_1)
	v_cmp_eq_u32_e32 vcc_lo, 0, v161
	v_dual_cndmask_b32 v161, v161, v164 :: v_dual_lshlrev_b32 v162, 24, v162
	v_dual_cndmask_b32 v163, v163, v165 :: v_dual_and_b32 v162, 0x80000000, v162
	s_delay_alu instid0(VALU_DEP_2) | instskip(NEXT) | instid1(VALU_DEP_2)
	v_lshl_add_u32 v161, v161, 23, 0x3b800000
	v_lshlrev_b32_e32 v163, 20, v163
	s_delay_alu instid0(VALU_DEP_1)
	v_or3_b32 v161, v162, v161, v163
.LBB4_2293:                             ;   in Loop: Header=BB4_2209 Depth=3
	s_or_b32 exec_lo, exec_lo, s16
	v_lshrrev_b16 v162, 8, v17
	s_mov_b32 s13, 0
	s_mov_b32 s17, exec_lo
                                        ; implicit-def: $sgpr16
	s_delay_alu instid0(VALU_DEP_1)
	v_cmpx_lt_i16_e64 0x7f, v162
	s_xor_b32 s17, exec_lo, s17
	s_cbranch_execnz .LBB4_2763
; %bb.2294:                             ;   in Loop: Header=BB4_2209 Depth=3
	s_or_saveexec_b32 s17, s17
	v_mov_b32_e32 v163, s16
	s_xor_b32 exec_lo, exec_lo, s17
	s_cbranch_execnz .LBB4_2766
.LBB4_2295:                             ;   in Loop: Header=BB4_2209 Depth=3
	s_or_b32 exec_lo, exec_lo, s17
	s_and_saveexec_b32 s16, s13
	s_cbranch_execz .LBB4_2297
.LBB4_2296:                             ;   in Loop: Header=BB4_2209 Depth=3
	v_and_b32_e32 v163, 0xffff, v162
	v_lshlrev_b32_e32 v162, 24, v162
	s_delay_alu instid0(VALU_DEP_2) | instskip(NEXT) | instid1(VALU_DEP_2)
	v_and_b32_e32 v164, 7, v163
	v_and_b32_e32 v162, 0x80000000, v162
	s_delay_alu instid0(VALU_DEP_2) | instskip(NEXT) | instid1(VALU_DEP_1)
	v_clz_i32_u32_e32 v165, v164
	v_min_u32_e32 v165, 32, v165
	s_delay_alu instid0(VALU_DEP_1) | instskip(SKIP_1) | instid1(VALU_DEP_2)
	v_subrev_nc_u32_e32 v166, 28, v165
	v_sub_nc_u32_e32 v165, 29, v165
	v_lshlrev_b32_e32 v166, v166, v163
	v_bfe_u32 v163, v163, 3, 4
	s_delay_alu instid0(VALU_DEP_2) | instskip(NEXT) | instid1(VALU_DEP_2)
	v_and_b32_e32 v166, 7, v166
	v_cmp_eq_u32_e32 vcc_lo, 0, v163
	s_delay_alu instid0(VALU_DEP_2) | instskip(NEXT) | instid1(VALU_DEP_1)
	v_dual_cndmask_b32 v163, v163, v165 :: v_dual_cndmask_b32 v164, v164, v166
	v_lshl_add_u32 v163, v163, 23, 0x3b800000
	s_delay_alu instid0(VALU_DEP_2) | instskip(NEXT) | instid1(VALU_DEP_1)
	v_lshlrev_b32_e32 v164, 20, v164
	v_or3_b32 v163, v162, v163, v164
.LBB4_2297:                             ;   in Loop: Header=BB4_2209 Depth=3
	s_or_b32 exec_lo, exec_lo, s16
	s_delay_alu instid0(VALU_DEP_1) | instskip(NEXT) | instid1(VALU_DEP_1)
	v_add_f32_e32 v162, v161, v163
	v_and_b32_e32 v161, 0x7f800000, v162
	s_delay_alu instid0(VALU_DEP_1)
	v_cmp_ne_u32_e32 vcc_lo, 0x7f800000, v161
	v_mov_b32_e32 v161, 0x8000
	s_and_saveexec_b32 s16, vcc_lo
	s_cbranch_execz .LBB4_2305
; %bb.2298:                             ;   in Loop: Header=BB4_2209 Depth=3
	v_mov_b32_e32 v161, 0
	s_mov_b32 s17, exec_lo
	v_cmpx_ne_u32_e32 0, v162
	s_cbranch_execz .LBB4_2304
; %bb.2299:                             ;   in Loop: Header=BB4_2209 Depth=3
	v_bfe_u32 v161, v162, 23, 8
	s_delay_alu instid0(VALU_DEP_1) | instskip(SKIP_1) | instid1(VALU_DEP_2)
	v_sub_nc_u32_e32 v164, 0x78, v161
	v_cmp_gt_u32_e32 vcc_lo, 0x79, v161
	v_dual_cndmask_b32 v164, 0, v164 :: v_dual_and_b32 v163, 0x7fffff, v162
	s_delay_alu instid0(VALU_DEP_1) | instskip(SKIP_2) | instid1(VALU_DEP_4)
	v_or_b32_e32 v165, 0x800000, v163
	v_cmp_eq_u32_e32 vcc_lo, 0, v161
	v_add_nc_u32_e32 v161, 0xffffff89, v161
	v_cndmask_b32_e64 v164, v164, 0x77, vcc_lo
	s_delay_alu instid0(VALU_DEP_2) | instskip(SKIP_1) | instid1(VALU_DEP_3)
	v_cndmask_b32_e64 v161, v161, 0xffffff8a, vcc_lo
	v_cndmask_b32_e32 v163, v165, v163, vcc_lo
	v_lshl_add_u32 v165, 0x100000, v164, -1
	v_lshlrev_b32_e64 v176, v164, 0x80000
	s_delay_alu instid0(VALU_DEP_3) | instskip(SKIP_1) | instid1(VALU_DEP_4)
	v_lshrrev_b32_e32 v166, v164, v163
	v_add_nc_u32_e32 v164, v164, v161
	v_and_b32_e32 v163, v165, v163
	s_delay_alu instid0(VALU_DEP_3) | instskip(NEXT) | instid1(VALU_DEP_2)
	v_bfe_u32 v167, v166, 20, 1
	v_cmp_eq_u32_e64 s13, v163, v176
	s_delay_alu instid0(VALU_DEP_2) | instskip(NEXT) | instid1(VALU_DEP_1)
	v_add_nc_u32_e32 v165, -1, v167
	v_cndmask_b32_e64 v163, 0, v165, s13
	v_lshrrev_b32_e32 v165, 23, v166
	s_mov_b32 s13, exec_lo
	s_delay_alu instid0(VALU_DEP_2) | instskip(NEXT) | instid1(VALU_DEP_2)
	v_add_nc_u32_e32 v163, v163, v166
	v_xor_b32_e32 v165, 1, v165
	s_delay_alu instid0(VALU_DEP_2) | instskip(NEXT) | instid1(VALU_DEP_1)
	v_and_b32_e32 v161, 0xfffff, v163
	v_add_nc_u32_e32 v163, v161, v166
                                        ; implicit-def: $vgpr161
	s_delay_alu instid0(VALU_DEP_3)
	v_cmpx_ne_u32_e64 v164, v165
	s_xor_b32 s13, exec_lo, s13
; %bb.2300:                             ;   in Loop: Header=BB4_2209 Depth=3
	s_delay_alu instid0(VALU_DEP_2) | instskip(SKIP_2) | instid1(VALU_DEP_2)
	v_cmp_lt_u32_e32 vcc_lo, 0xffffff, v163
	v_sub_nc_u32_e32 v161, v164, v165
	v_cndmask_b32_e64 v164, 0, 1, vcc_lo
	v_add_co_ci_u32_e32 v161, vcc_lo, 0, v161, vcc_lo
	s_delay_alu instid0(VALU_DEP_2)
	v_lshrrev_b32_e32 v163, v164, v163
; %bb.2301:                             ;   in Loop: Header=BB4_2209 Depth=3
	s_and_not1_saveexec_b32 s13, s13
; %bb.2302:                             ;   in Loop: Header=BB4_2209 Depth=3
	s_delay_alu instid0(VALU_DEP_1)
	v_bfe_u32 v161, v163, 23, 1
; %bb.2303:                             ;   in Loop: Header=BB4_2209 Depth=3
	s_or_b32 exec_lo, exec_lo, s13
	v_lshrrev_b32_e32 v163, 20, v163
	s_delay_alu instid0(VALU_DEP_2) | instskip(SKIP_2) | instid1(VALU_DEP_2)
	v_cmp_gt_i32_e32 vcc_lo, 16, v161
	v_min_i32_e32 v164, 15, v161
	v_lshrrev_b32_e32 v162, 24, v162
	v_dual_cndmask_b32 v163, 7, v163 :: v_dual_lshlrev_b32 v164, 3, v164
	s_delay_alu instid0(VALU_DEP_2) | instskip(NEXT) | instid1(VALU_DEP_2)
	v_and_b32_e32 v162, 0x80, v162
	v_or_b32_e32 v161, v161, v163
	v_and_b32_e32 v165, 7, v163
	s_delay_alu instid0(VALU_DEP_2) | instskip(SKIP_1) | instid1(VALU_DEP_1)
	v_cmp_ne_u32_e32 vcc_lo, 0, v161
	v_and_b32_e32 v164, 0xf8, v164
	v_or3_b32 v162, v162, v164, v165
	s_delay_alu instid0(VALU_DEP_1) | instskip(NEXT) | instid1(VALU_DEP_1)
	v_lshlrev_b32_e32 v162, 8, v162
	v_cndmask_b32_e32 v161, 0, v162, vcc_lo
.LBB4_2304:                             ;   in Loop: Header=BB4_2209 Depth=3
	s_or_b32 exec_lo, exec_lo, s17
.LBB4_2305:                             ;   in Loop: Header=BB4_2209 Depth=3
	s_delay_alu instid0(SALU_CYCLE_1) | instskip(SKIP_3) | instid1(VALU_DEP_1)
	s_or_b32 exec_lo, exec_lo, s16
	v_lshrrev_b32_e32 v163, 16, v21
	s_mov_b32 s13, 0
	s_mov_b32 s17, exec_lo
                                        ; implicit-def: $sgpr16
	v_and_b32_e32 v164, 0xff, v163
	s_delay_alu instid0(VALU_DEP_1)
	v_cmpx_lt_i16_e64 0x7f, v164
	s_xor_b32 s17, exec_lo, s17
	s_cbranch_execnz .LBB4_2767
; %bb.2306:                             ;   in Loop: Header=BB4_2209 Depth=3
	s_or_saveexec_b32 s17, s17
	v_mov_b32_e32 v162, s16
	s_xor_b32 exec_lo, exec_lo, s17
	s_cbranch_execnz .LBB4_2770
.LBB4_2307:                             ;   in Loop: Header=BB4_2209 Depth=3
	s_or_b32 exec_lo, exec_lo, s17
	s_and_saveexec_b32 s16, s13
	s_cbranch_execz .LBB4_2309
.LBB4_2308:                             ;   in Loop: Header=BB4_2209 Depth=3
	v_bfe_u32 v162, v21, 16, 3
	v_lshlrev_b32_e32 v166, 8, v21
	s_delay_alu instid0(VALU_DEP_2) | instskip(NEXT) | instid1(VALU_DEP_1)
	v_clz_i32_u32_e32 v164, v162
	v_min_u32_e32 v164, 32, v164
	s_delay_alu instid0(VALU_DEP_1) | instskip(SKIP_1) | instid1(VALU_DEP_2)
	v_subrev_nc_u32_e32 v165, 28, v164
	v_sub_nc_u32_e32 v164, 29, v164
	v_lshlrev_b32_e32 v163, v165, v163
	v_bfe_u32 v165, v21, 19, 4
	s_delay_alu instid0(VALU_DEP_1) | instskip(NEXT) | instid1(VALU_DEP_3)
	v_cmp_eq_u32_e32 vcc_lo, 0, v165
	v_dual_cndmask_b32 v164, v165, v164 :: v_dual_and_b32 v163, 7, v163
	s_delay_alu instid0(VALU_DEP_1) | instskip(NEXT) | instid1(VALU_DEP_2)
	v_dual_cndmask_b32 v162, v162, v163 :: v_dual_and_b32 v163, 0x80000000, v166
	v_lshl_add_u32 v164, v164, 23, 0x3b800000
	s_delay_alu instid0(VALU_DEP_2) | instskip(NEXT) | instid1(VALU_DEP_1)
	v_lshlrev_b32_e32 v162, 20, v162
	v_or3_b32 v162, v163, v164, v162
.LBB4_2309:                             ;   in Loop: Header=BB4_2209 Depth=3
	s_or_b32 exec_lo, exec_lo, s16
	v_lshrrev_b32_e32 v163, 16, v17
	s_mov_b32 s13, 0
	s_mov_b32 s17, exec_lo
                                        ; implicit-def: $sgpr16
	s_delay_alu instid0(VALU_DEP_1) | instskip(NEXT) | instid1(VALU_DEP_1)
	v_and_b32_e32 v165, 0xff, v163
	v_cmpx_lt_i16_e64 0x7f, v165
	s_xor_b32 s17, exec_lo, s17
	s_cbranch_execnz .LBB4_2771
; %bb.2310:                             ;   in Loop: Header=BB4_2209 Depth=3
	s_or_saveexec_b32 s17, s17
	v_mov_b32_e32 v164, s16
	s_xor_b32 exec_lo, exec_lo, s17
	s_cbranch_execnz .LBB4_2774
.LBB4_2311:                             ;   in Loop: Header=BB4_2209 Depth=3
	s_or_b32 exec_lo, exec_lo, s17
	s_and_saveexec_b32 s16, s13
	s_cbranch_execz .LBB4_2313
.LBB4_2312:                             ;   in Loop: Header=BB4_2209 Depth=3
	v_bfe_u32 v164, v17, 16, 3
	v_lshlrev_b32_e32 v167, 8, v17
	s_delay_alu instid0(VALU_DEP_2) | instskip(NEXT) | instid1(VALU_DEP_1)
	v_clz_i32_u32_e32 v165, v164
	v_min_u32_e32 v165, 32, v165
	s_delay_alu instid0(VALU_DEP_1) | instskip(SKIP_1) | instid1(VALU_DEP_2)
	v_subrev_nc_u32_e32 v166, 28, v165
	v_sub_nc_u32_e32 v165, 29, v165
	v_lshlrev_b32_e32 v163, v166, v163
	v_bfe_u32 v166, v17, 19, 4
	s_delay_alu instid0(VALU_DEP_2) | instskip(NEXT) | instid1(VALU_DEP_2)
	v_and_b32_e32 v163, 7, v163
	v_cmp_eq_u32_e32 vcc_lo, 0, v166
	v_cndmask_b32_e32 v165, v166, v165, vcc_lo
	s_delay_alu instid0(VALU_DEP_3) | instskip(SKIP_1) | instid1(VALU_DEP_3)
	v_cndmask_b32_e32 v163, v164, v163, vcc_lo
	v_and_b32_e32 v164, 0x80000000, v167
	v_lshl_add_u32 v165, v165, 23, 0x3b800000
	s_delay_alu instid0(VALU_DEP_3) | instskip(NEXT) | instid1(VALU_DEP_1)
	v_lshlrev_b32_e32 v163, 20, v163
	v_or3_b32 v164, v164, v165, v163
.LBB4_2313:                             ;   in Loop: Header=BB4_2209 Depth=3
	s_or_b32 exec_lo, exec_lo, s16
	s_delay_alu instid0(VALU_DEP_1) | instskip(NEXT) | instid1(VALU_DEP_1)
	v_add_f32_e32 v163, v162, v164
	v_and_b32_e32 v162, 0x7f800000, v163
	s_delay_alu instid0(VALU_DEP_1)
	v_cmp_ne_u32_e32 vcc_lo, 0x7f800000, v162
	v_mov_b32_e32 v162, 0x80
	s_and_saveexec_b32 s16, vcc_lo
	s_cbranch_execz .LBB4_2321
; %bb.2314:                             ;   in Loop: Header=BB4_2209 Depth=3
	v_mov_b32_e32 v162, 0
	s_mov_b32 s17, exec_lo
	v_cmpx_ne_u32_e32 0, v163
	s_cbranch_execz .LBB4_2320
; %bb.2315:                             ;   in Loop: Header=BB4_2209 Depth=3
	v_bfe_u32 v162, v163, 23, 8
	s_delay_alu instid0(VALU_DEP_1) | instskip(SKIP_1) | instid1(VALU_DEP_2)
	v_sub_nc_u32_e32 v165, 0x78, v162
	v_cmp_gt_u32_e32 vcc_lo, 0x79, v162
	v_dual_cndmask_b32 v165, 0, v165 :: v_dual_and_b32 v164, 0x7fffff, v163
	s_delay_alu instid0(VALU_DEP_1) | instskip(SKIP_2) | instid1(VALU_DEP_4)
	v_or_b32_e32 v166, 0x800000, v164
	v_cmp_eq_u32_e32 vcc_lo, 0, v162
	v_add_nc_u32_e32 v162, 0xffffff89, v162
	v_cndmask_b32_e64 v165, v165, 0x77, vcc_lo
	s_delay_alu instid0(VALU_DEP_2) | instskip(SKIP_1) | instid1(VALU_DEP_3)
	v_cndmask_b32_e64 v162, v162, 0xffffff8a, vcc_lo
	v_cndmask_b32_e32 v164, v166, v164, vcc_lo
	v_lshl_add_u32 v166, 0x100000, v165, -1
	v_lshlrev_b32_e64 v177, v165, 0x80000
	s_delay_alu instid0(VALU_DEP_3) | instskip(SKIP_1) | instid1(VALU_DEP_4)
	v_lshrrev_b32_e32 v167, v165, v164
	v_add_nc_u32_e32 v165, v165, v162
	v_and_b32_e32 v164, v166, v164
	s_delay_alu instid0(VALU_DEP_3) | instskip(NEXT) | instid1(VALU_DEP_2)
	v_bfe_u32 v176, v167, 20, 1
	v_cmp_eq_u32_e64 s13, v164, v177
	s_delay_alu instid0(VALU_DEP_2) | instskip(NEXT) | instid1(VALU_DEP_1)
	v_add_nc_u32_e32 v166, -1, v176
	v_cndmask_b32_e64 v164, 0, v166, s13
	v_lshrrev_b32_e32 v166, 23, v167
	s_mov_b32 s13, exec_lo
	s_delay_alu instid0(VALU_DEP_2) | instskip(NEXT) | instid1(VALU_DEP_2)
	v_add_nc_u32_e32 v164, v164, v167
	v_xor_b32_e32 v166, 1, v166
	s_delay_alu instid0(VALU_DEP_2) | instskip(NEXT) | instid1(VALU_DEP_1)
	v_and_b32_e32 v162, 0xfffff, v164
	v_add_nc_u32_e32 v164, v162, v167
                                        ; implicit-def: $vgpr162
	s_delay_alu instid0(VALU_DEP_3)
	v_cmpx_ne_u32_e64 v165, v166
	s_xor_b32 s13, exec_lo, s13
; %bb.2316:                             ;   in Loop: Header=BB4_2209 Depth=3
	s_delay_alu instid0(VALU_DEP_2) | instskip(SKIP_2) | instid1(VALU_DEP_2)
	v_cmp_lt_u32_e32 vcc_lo, 0xffffff, v164
	v_sub_nc_u32_e32 v162, v165, v166
	v_cndmask_b32_e64 v165, 0, 1, vcc_lo
	v_add_co_ci_u32_e32 v162, vcc_lo, 0, v162, vcc_lo
	s_delay_alu instid0(VALU_DEP_2)
	v_lshrrev_b32_e32 v164, v165, v164
; %bb.2317:                             ;   in Loop: Header=BB4_2209 Depth=3
	s_and_not1_saveexec_b32 s13, s13
; %bb.2318:                             ;   in Loop: Header=BB4_2209 Depth=3
	s_delay_alu instid0(VALU_DEP_1)
	v_bfe_u32 v162, v164, 23, 1
; %bb.2319:                             ;   in Loop: Header=BB4_2209 Depth=3
	s_or_b32 exec_lo, exec_lo, s13
	v_lshrrev_b32_e32 v164, 20, v164
	s_delay_alu instid0(VALU_DEP_2) | instskip(SKIP_2) | instid1(VALU_DEP_2)
	v_cmp_gt_i32_e32 vcc_lo, 16, v162
	v_min_i32_e32 v165, 15, v162
	v_lshrrev_b32_e32 v163, 24, v163
	v_dual_cndmask_b32 v164, 7, v164 :: v_dual_lshlrev_b32 v165, 3, v165
	s_delay_alu instid0(VALU_DEP_2) | instskip(NEXT) | instid1(VALU_DEP_2)
	v_and_b32_e32 v163, 0x80, v163
	v_or_b32_e32 v162, v162, v164
	v_and_b32_e32 v166, 7, v164
	s_delay_alu instid0(VALU_DEP_2) | instskip(SKIP_1) | instid1(VALU_DEP_1)
	v_cmp_ne_u32_e32 vcc_lo, 0, v162
	v_and_b32_e32 v165, 0xf8, v165
	v_or3_b32 v163, v165, v163, v166
	s_delay_alu instid0(VALU_DEP_1)
	v_cndmask_b32_e32 v162, 0, v163, vcc_lo
.LBB4_2320:                             ;   in Loop: Header=BB4_2209 Depth=3
	s_or_b32 exec_lo, exec_lo, s17
.LBB4_2321:                             ;   in Loop: Header=BB4_2209 Depth=3
	s_delay_alu instid0(SALU_CYCLE_1) | instskip(SKIP_3) | instid1(VALU_DEP_1)
	s_or_b32 exec_lo, exec_lo, s16
	v_lshrrev_b32_e32 v164, 24, v21
	s_mov_b32 s13, 0
	s_mov_b32 s17, exec_lo
                                        ; implicit-def: $sgpr16
	v_cmpx_lt_i16_e64 0x7f, v164
	s_xor_b32 s17, exec_lo, s17
	s_cbranch_execnz .LBB4_2775
; %bb.2322:                             ;   in Loop: Header=BB4_2209 Depth=3
	s_or_saveexec_b32 s17, s17
	v_mov_b32_e32 v163, s16
	s_xor_b32 exec_lo, exec_lo, s17
	s_cbranch_execnz .LBB4_2778
.LBB4_2323:                             ;   in Loop: Header=BB4_2209 Depth=3
	s_or_b32 exec_lo, exec_lo, s17
	s_and_saveexec_b32 s16, s13
	s_cbranch_execz .LBB4_2325
.LBB4_2324:                             ;   in Loop: Header=BB4_2209 Depth=3
	v_bfe_u32 v163, v21, 24, 3
	s_delay_alu instid0(VALU_DEP_1) | instskip(NEXT) | instid1(VALU_DEP_1)
	v_clz_i32_u32_e32 v165, v163
	v_min_u32_e32 v165, 32, v165
	s_delay_alu instid0(VALU_DEP_1) | instskip(SKIP_1) | instid1(VALU_DEP_2)
	v_subrev_nc_u32_e32 v166, 28, v165
	v_sub_nc_u32_e32 v165, 29, v165
	v_lshlrev_b32_e32 v164, v166, v164
	v_bfe_u32 v166, v21, 27, 4
	v_and_b32_e32 v21, 0x80000000, v21
	s_delay_alu instid0(VALU_DEP_2) | instskip(NEXT) | instid1(VALU_DEP_4)
	v_cmp_eq_u32_e32 vcc_lo, 0, v166
	v_dual_cndmask_b32 v165, v166, v165 :: v_dual_and_b32 v164, 7, v164
	s_delay_alu instid0(VALU_DEP_1) | instskip(NEXT) | instid1(VALU_DEP_2)
	v_cndmask_b32_e32 v163, v163, v164, vcc_lo
	v_lshl_add_u32 v164, v165, 23, 0x3b800000
	s_delay_alu instid0(VALU_DEP_2) | instskip(NEXT) | instid1(VALU_DEP_1)
	v_lshlrev_b32_e32 v163, 20, v163
	v_or3_b32 v163, v21, v164, v163
.LBB4_2325:                             ;   in Loop: Header=BB4_2209 Depth=3
	s_or_b32 exec_lo, exec_lo, s16
	v_lshrrev_b32_e32 v21, 24, v17
	s_mov_b32 s13, 0
	s_mov_b32 s17, exec_lo
                                        ; implicit-def: $sgpr16
	s_delay_alu instid0(VALU_DEP_1)
	v_cmpx_lt_i16_e32 0x7f, v21
	s_xor_b32 s17, exec_lo, s17
	s_cbranch_execnz .LBB4_2779
; %bb.2326:                             ;   in Loop: Header=BB4_2209 Depth=3
	s_or_saveexec_b32 s17, s17
	v_mov_b32_e32 v164, s16
	s_xor_b32 exec_lo, exec_lo, s17
	s_cbranch_execnz .LBB4_2782
.LBB4_2327:                             ;   in Loop: Header=BB4_2209 Depth=3
	s_or_b32 exec_lo, exec_lo, s17
	s_and_saveexec_b32 s16, s13
	s_cbranch_execz .LBB4_2329
.LBB4_2328:                             ;   in Loop: Header=BB4_2209 Depth=3
	v_bfe_u32 v164, v17, 24, 3
	s_delay_alu instid0(VALU_DEP_1) | instskip(NEXT) | instid1(VALU_DEP_1)
	v_clz_i32_u32_e32 v165, v164
	v_min_u32_e32 v165, 32, v165
	s_delay_alu instid0(VALU_DEP_1) | instskip(SKIP_1) | instid1(VALU_DEP_2)
	v_subrev_nc_u32_e32 v166, 28, v165
	v_sub_nc_u32_e32 v165, 29, v165
	v_lshlrev_b32_e32 v21, v166, v21
	v_bfe_u32 v166, v17, 27, 4
	v_and_b32_e32 v17, 0x80000000, v17
	s_delay_alu instid0(VALU_DEP_3) | instskip(NEXT) | instid1(VALU_DEP_3)
	v_and_b32_e32 v21, 7, v21
	v_cmp_eq_u32_e32 vcc_lo, 0, v166
	v_cndmask_b32_e32 v165, v166, v165, vcc_lo
	s_delay_alu instid0(VALU_DEP_3) | instskip(NEXT) | instid1(VALU_DEP_2)
	v_cndmask_b32_e32 v21, v164, v21, vcc_lo
	v_lshl_add_u32 v164, v165, 23, 0x3b800000
	s_delay_alu instid0(VALU_DEP_2) | instskip(NEXT) | instid1(VALU_DEP_1)
	v_lshlrev_b32_e32 v21, 20, v21
	v_or3_b32 v164, v17, v164, v21
.LBB4_2329:                             ;   in Loop: Header=BB4_2209 Depth=3
	s_or_b32 exec_lo, exec_lo, s16
	s_delay_alu instid0(VALU_DEP_1) | instskip(NEXT) | instid1(VALU_DEP_1)
	v_add_f32_e32 v21, v163, v164
	v_and_b32_e32 v17, 0x7f800000, v21
	s_delay_alu instid0(VALU_DEP_1)
	v_cmp_ne_u32_e32 vcc_lo, 0x7f800000, v17
	v_mov_b32_e32 v17, 0x8000
	s_and_saveexec_b32 s16, vcc_lo
	s_cbranch_execz .LBB4_2337
; %bb.2330:                             ;   in Loop: Header=BB4_2209 Depth=3
	v_mov_b32_e32 v17, 0
	s_mov_b32 s17, exec_lo
	v_cmpx_ne_u32_e32 0, v21
	s_cbranch_execz .LBB4_2336
; %bb.2331:                             ;   in Loop: Header=BB4_2209 Depth=3
	v_bfe_u32 v17, v21, 23, 8
	s_delay_alu instid0(VALU_DEP_1) | instskip(SKIP_1) | instid1(VALU_DEP_2)
	v_sub_nc_u32_e32 v164, 0x78, v17
	v_cmp_gt_u32_e32 vcc_lo, 0x79, v17
	v_dual_cndmask_b32 v164, 0, v164 :: v_dual_and_b32 v163, 0x7fffff, v21
	s_delay_alu instid0(VALU_DEP_1) | instskip(SKIP_2) | instid1(VALU_DEP_4)
	v_or_b32_e32 v165, 0x800000, v163
	v_cmp_eq_u32_e32 vcc_lo, 0, v17
	v_add_nc_u32_e32 v17, 0xffffff89, v17
	v_cndmask_b32_e64 v164, v164, 0x77, vcc_lo
	s_delay_alu instid0(VALU_DEP_2) | instskip(SKIP_1) | instid1(VALU_DEP_3)
	v_cndmask_b32_e64 v17, v17, 0xffffff8a, vcc_lo
	v_cndmask_b32_e32 v163, v165, v163, vcc_lo
	v_lshl_add_u32 v165, 0x100000, v164, -1
	v_lshlrev_b32_e64 v176, v164, 0x80000
	s_delay_alu instid0(VALU_DEP_3) | instskip(SKIP_1) | instid1(VALU_DEP_4)
	v_lshrrev_b32_e32 v166, v164, v163
	v_add_nc_u32_e32 v164, v164, v17
	v_and_b32_e32 v163, v165, v163
	s_delay_alu instid0(VALU_DEP_3) | instskip(NEXT) | instid1(VALU_DEP_2)
	v_bfe_u32 v167, v166, 20, 1
	v_cmp_eq_u32_e64 s13, v163, v176
	s_delay_alu instid0(VALU_DEP_2) | instskip(NEXT) | instid1(VALU_DEP_1)
	v_add_nc_u32_e32 v165, -1, v167
	v_cndmask_b32_e64 v163, 0, v165, s13
	v_lshrrev_b32_e32 v165, 23, v166
	s_mov_b32 s13, exec_lo
	s_delay_alu instid0(VALU_DEP_2) | instskip(NEXT) | instid1(VALU_DEP_2)
	v_add_nc_u32_e32 v163, v163, v166
	v_xor_b32_e32 v165, 1, v165
	s_delay_alu instid0(VALU_DEP_2) | instskip(NEXT) | instid1(VALU_DEP_1)
	v_and_b32_e32 v17, 0xfffff, v163
	v_add_nc_u32_e32 v163, v17, v166
                                        ; implicit-def: $vgpr17
	s_delay_alu instid0(VALU_DEP_3)
	v_cmpx_ne_u32_e64 v164, v165
	s_xor_b32 s13, exec_lo, s13
; %bb.2332:                             ;   in Loop: Header=BB4_2209 Depth=3
	s_delay_alu instid0(VALU_DEP_2) | instskip(SKIP_2) | instid1(VALU_DEP_2)
	v_cmp_lt_u32_e32 vcc_lo, 0xffffff, v163
	v_sub_nc_u32_e32 v17, v164, v165
	v_cndmask_b32_e64 v164, 0, 1, vcc_lo
	v_add_co_ci_u32_e32 v17, vcc_lo, 0, v17, vcc_lo
	s_delay_alu instid0(VALU_DEP_2)
	v_lshrrev_b32_e32 v163, v164, v163
; %bb.2333:                             ;   in Loop: Header=BB4_2209 Depth=3
	s_and_not1_saveexec_b32 s13, s13
; %bb.2334:                             ;   in Loop: Header=BB4_2209 Depth=3
	s_delay_alu instid0(VALU_DEP_1)
	v_bfe_u32 v17, v163, 23, 1
; %bb.2335:                             ;   in Loop: Header=BB4_2209 Depth=3
	s_or_b32 exec_lo, exec_lo, s13
	v_lshrrev_b32_e32 v163, 20, v163
	s_delay_alu instid0(VALU_DEP_2) | instskip(SKIP_2) | instid1(VALU_DEP_2)
	v_cmp_gt_i32_e32 vcc_lo, 16, v17
	v_min_i32_e32 v164, 15, v17
	v_lshrrev_b32_e32 v21, 24, v21
	v_dual_cndmask_b32 v163, 7, v163 :: v_dual_lshlrev_b32 v164, 3, v164
	s_delay_alu instid0(VALU_DEP_2) | instskip(NEXT) | instid1(VALU_DEP_2)
	v_and_b32_e32 v21, 0x80, v21
	v_or_b32_e32 v17, v17, v163
	v_and_b32_e32 v165, 7, v163
	s_delay_alu instid0(VALU_DEP_2) | instskip(SKIP_1) | instid1(VALU_DEP_1)
	v_cmp_ne_u32_e32 vcc_lo, 0, v17
	v_and_b32_e32 v164, 0xf8, v164
	v_or3_b32 v21, v21, v164, v165
	s_delay_alu instid0(VALU_DEP_1) | instskip(NEXT) | instid1(VALU_DEP_1)
	v_lshlrev_b32_e32 v21, 8, v21
	v_cndmask_b32_e32 v17, 0, v21, vcc_lo
.LBB4_2336:                             ;   in Loop: Header=BB4_2209 Depth=3
	s_or_b32 exec_lo, exec_lo, s17
.LBB4_2337:                             ;   in Loop: Header=BB4_2209 Depth=3
	s_delay_alu instid0(SALU_CYCLE_1) | instskip(SKIP_3) | instid1(VALU_DEP_1)
	s_or_b32 exec_lo, exec_lo, s16
	v_and_b32_e32 v163, 0xff, v22
	s_mov_b32 s13, 0
	s_mov_b32 s17, exec_lo
                                        ; implicit-def: $sgpr16
	v_cmpx_lt_i16_e64 0x7f, v163
	s_xor_b32 s17, exec_lo, s17
	s_cbranch_execnz .LBB4_2783
; %bb.2338:                             ;   in Loop: Header=BB4_2209 Depth=3
	s_or_saveexec_b32 s17, s17
	v_mov_b32_e32 v21, s16
	s_xor_b32 exec_lo, exec_lo, s17
	s_cbranch_execnz .LBB4_2786
.LBB4_2339:                             ;   in Loop: Header=BB4_2209 Depth=3
	s_or_b32 exec_lo, exec_lo, s17
	s_and_saveexec_b32 s16, s13
	s_cbranch_execz .LBB4_2341
.LBB4_2340:                             ;   in Loop: Header=BB4_2209 Depth=3
	v_and_b32_e32 v21, 7, v22
	v_bfe_u32 v165, v22, 3, 4
	s_delay_alu instid0(VALU_DEP_2) | instskip(NEXT) | instid1(VALU_DEP_2)
	v_clz_i32_u32_e32 v163, v21
	v_cmp_eq_u32_e32 vcc_lo, 0, v165
	s_delay_alu instid0(VALU_DEP_2) | instskip(NEXT) | instid1(VALU_DEP_1)
	v_min_u32_e32 v163, 32, v163
	v_subrev_nc_u32_e32 v164, 28, v163
	v_sub_nc_u32_e32 v163, 29, v163
	s_delay_alu instid0(VALU_DEP_1) | instskip(NEXT) | instid1(VALU_DEP_1)
	v_dual_cndmask_b32 v163, v165, v163 :: v_dual_lshlrev_b32 v164, v164, v22
	v_and_b32_e32 v164, 7, v164
	v_lshlrev_b32_e32 v166, 24, v22
	s_delay_alu instid0(VALU_DEP_3) | instskip(NEXT) | instid1(VALU_DEP_2)
	v_lshl_add_u32 v163, v163, 23, 0x3b800000
	v_dual_cndmask_b32 v21, v21, v164 :: v_dual_and_b32 v164, 0x80000000, v166
	s_delay_alu instid0(VALU_DEP_1) | instskip(NEXT) | instid1(VALU_DEP_1)
	v_lshlrev_b32_e32 v21, 20, v21
	v_or3_b32 v21, v164, v163, v21
.LBB4_2341:                             ;   in Loop: Header=BB4_2209 Depth=3
	s_or_b32 exec_lo, exec_lo, s16
	v_and_b32_e32 v164, 0xff, v18
	s_mov_b32 s13, 0
	s_mov_b32 s17, exec_lo
                                        ; implicit-def: $sgpr16
	s_delay_alu instid0(VALU_DEP_1)
	v_cmpx_lt_i16_e64 0x7f, v164
	s_xor_b32 s17, exec_lo, s17
	s_cbranch_execnz .LBB4_2787
; %bb.2342:                             ;   in Loop: Header=BB4_2209 Depth=3
	s_or_saveexec_b32 s17, s17
	v_mov_b32_e32 v163, s16
	s_xor_b32 exec_lo, exec_lo, s17
	s_cbranch_execnz .LBB4_2790
.LBB4_2343:                             ;   in Loop: Header=BB4_2209 Depth=3
	s_or_b32 exec_lo, exec_lo, s17
	s_and_saveexec_b32 s16, s13
	s_cbranch_execz .LBB4_2345
.LBB4_2344:                             ;   in Loop: Header=BB4_2209 Depth=3
	v_bfe_u32 v166, v18, 3, 4
	v_lshlrev_b32_e32 v167, 24, v18
	s_delay_alu instid0(VALU_DEP_2) | instskip(SKIP_1) | instid1(VALU_DEP_1)
	v_cmp_eq_u32_e32 vcc_lo, 0, v166
	v_and_b32_e32 v163, 7, v18
	v_clz_i32_u32_e32 v164, v163
	s_delay_alu instid0(VALU_DEP_1) | instskip(NEXT) | instid1(VALU_DEP_1)
	v_min_u32_e32 v164, 32, v164
	v_subrev_nc_u32_e32 v165, 28, v164
	v_sub_nc_u32_e32 v164, 29, v164
	s_delay_alu instid0(VALU_DEP_1) | instskip(NEXT) | instid1(VALU_DEP_1)
	v_dual_cndmask_b32 v164, v166, v164 :: v_dual_lshlrev_b32 v165, v165, v18
	v_and_b32_e32 v165, 7, v165
	s_delay_alu instid0(VALU_DEP_2) | instskip(NEXT) | instid1(VALU_DEP_2)
	v_lshl_add_u32 v164, v164, 23, 0x3b800000
	v_cndmask_b32_e32 v163, v163, v165, vcc_lo
	v_and_b32_e32 v165, 0x80000000, v167
	s_delay_alu instid0(VALU_DEP_2) | instskip(NEXT) | instid1(VALU_DEP_1)
	v_lshlrev_b32_e32 v163, 20, v163
	v_or3_b32 v163, v165, v164, v163
.LBB4_2345:                             ;   in Loop: Header=BB4_2209 Depth=3
	s_or_b32 exec_lo, exec_lo, s16
	s_delay_alu instid0(VALU_DEP_1) | instskip(NEXT) | instid1(VALU_DEP_1)
	v_add_f32_e32 v163, v21, v163
	v_and_b32_e32 v21, 0x7f800000, v163
	s_delay_alu instid0(VALU_DEP_1)
	v_cmp_ne_u32_e32 vcc_lo, 0x7f800000, v21
	v_mov_b32_e32 v21, 0x80
	s_and_saveexec_b32 s16, vcc_lo
	s_cbranch_execz .LBB4_2353
; %bb.2346:                             ;   in Loop: Header=BB4_2209 Depth=3
	v_mov_b32_e32 v21, 0
	s_mov_b32 s17, exec_lo
	v_cmpx_ne_u32_e32 0, v163
	s_cbranch_execz .LBB4_2352
; %bb.2347:                             ;   in Loop: Header=BB4_2209 Depth=3
	v_bfe_u32 v21, v163, 23, 8
	s_delay_alu instid0(VALU_DEP_1) | instskip(SKIP_1) | instid1(VALU_DEP_2)
	v_sub_nc_u32_e32 v165, 0x78, v21
	v_cmp_gt_u32_e32 vcc_lo, 0x79, v21
	v_dual_cndmask_b32 v165, 0, v165 :: v_dual_and_b32 v164, 0x7fffff, v163
	s_delay_alu instid0(VALU_DEP_1) | instskip(SKIP_2) | instid1(VALU_DEP_4)
	v_or_b32_e32 v166, 0x800000, v164
	v_cmp_eq_u32_e32 vcc_lo, 0, v21
	v_add_nc_u32_e32 v21, 0xffffff89, v21
	v_cndmask_b32_e64 v165, v165, 0x77, vcc_lo
	s_delay_alu instid0(VALU_DEP_4) | instskip(NEXT) | instid1(VALU_DEP_3)
	v_cndmask_b32_e32 v164, v166, v164, vcc_lo
	v_cndmask_b32_e64 v21, v21, 0xffffff8a, vcc_lo
	s_delay_alu instid0(VALU_DEP_3) | instskip(NEXT) | instid1(VALU_DEP_3)
	v_lshl_add_u32 v166, 0x100000, v165, -1
	v_lshrrev_b32_e32 v167, v165, v164
	v_lshlrev_b32_e64 v177, v165, 0x80000
	s_delay_alu instid0(VALU_DEP_4) | instskip(NEXT) | instid1(VALU_DEP_4)
	v_add_nc_u32_e32 v165, v165, v21
	v_and_b32_e32 v164, v166, v164
	s_delay_alu instid0(VALU_DEP_4) | instskip(NEXT) | instid1(VALU_DEP_2)
	v_bfe_u32 v176, v167, 20, 1
	v_cmp_eq_u32_e64 s13, v164, v177
	s_delay_alu instid0(VALU_DEP_2) | instskip(NEXT) | instid1(VALU_DEP_1)
	v_add_nc_u32_e32 v166, -1, v176
	v_cndmask_b32_e64 v164, 0, v166, s13
	v_lshrrev_b32_e32 v166, 23, v167
	s_mov_b32 s13, exec_lo
	s_delay_alu instid0(VALU_DEP_2) | instskip(NEXT) | instid1(VALU_DEP_2)
	v_add_nc_u32_e32 v164, v164, v167
	v_xor_b32_e32 v166, 1, v166
	s_delay_alu instid0(VALU_DEP_2) | instskip(NEXT) | instid1(VALU_DEP_1)
	v_and_b32_e32 v21, 0xfffff, v164
	v_add_nc_u32_e32 v164, v21, v167
                                        ; implicit-def: $vgpr21
	s_delay_alu instid0(VALU_DEP_3)
	v_cmpx_ne_u32_e64 v165, v166
	s_xor_b32 s13, exec_lo, s13
; %bb.2348:                             ;   in Loop: Header=BB4_2209 Depth=3
	s_delay_alu instid0(VALU_DEP_2) | instskip(SKIP_2) | instid1(VALU_DEP_2)
	v_cmp_lt_u32_e32 vcc_lo, 0xffffff, v164
	v_sub_nc_u32_e32 v21, v165, v166
	v_cndmask_b32_e64 v165, 0, 1, vcc_lo
	v_add_co_ci_u32_e32 v21, vcc_lo, 0, v21, vcc_lo
	s_delay_alu instid0(VALU_DEP_2)
	v_lshrrev_b32_e32 v164, v165, v164
; %bb.2349:                             ;   in Loop: Header=BB4_2209 Depth=3
	s_and_not1_saveexec_b32 s13, s13
; %bb.2350:                             ;   in Loop: Header=BB4_2209 Depth=3
	s_delay_alu instid0(VALU_DEP_1)
	v_bfe_u32 v21, v164, 23, 1
; %bb.2351:                             ;   in Loop: Header=BB4_2209 Depth=3
	s_or_b32 exec_lo, exec_lo, s13
	v_lshrrev_b32_e32 v164, 20, v164
	s_delay_alu instid0(VALU_DEP_2) | instskip(SKIP_2) | instid1(VALU_DEP_2)
	v_cmp_gt_i32_e32 vcc_lo, 16, v21
	v_lshrrev_b32_e32 v163, 24, v163
	v_min_i32_e32 v165, 15, v21
	v_dual_cndmask_b32 v164, 7, v164 :: v_dual_and_b32 v163, 0x80, v163
	s_delay_alu instid0(VALU_DEP_2) | instskip(NEXT) | instid1(VALU_DEP_2)
	v_lshlrev_b32_e32 v165, 3, v165
	v_or_b32_e32 v21, v21, v164
	s_delay_alu instid0(VALU_DEP_1) | instskip(SKIP_1) | instid1(VALU_DEP_1)
	v_cmp_ne_u32_e32 vcc_lo, 0, v21
	v_and_b32_e32 v166, 7, v164
	v_or3_b32 v163, v165, v163, v166
	s_delay_alu instid0(VALU_DEP_1)
	v_cndmask_b32_e32 v21, 0, v163, vcc_lo
.LBB4_2352:                             ;   in Loop: Header=BB4_2209 Depth=3
	s_or_b32 exec_lo, exec_lo, s17
.LBB4_2353:                             ;   in Loop: Header=BB4_2209 Depth=3
	s_delay_alu instid0(SALU_CYCLE_1) | instskip(SKIP_3) | instid1(VALU_DEP_1)
	s_or_b32 exec_lo, exec_lo, s16
	v_lshrrev_b16 v164, 8, v22
	s_mov_b32 s13, 0
	s_mov_b32 s17, exec_lo
                                        ; implicit-def: $sgpr16
	v_cmpx_lt_i16_e64 0x7f, v164
	s_xor_b32 s17, exec_lo, s17
	s_cbranch_execnz .LBB4_2791
; %bb.2354:                             ;   in Loop: Header=BB4_2209 Depth=3
	s_or_saveexec_b32 s17, s17
	v_mov_b32_e32 v163, s16
	s_xor_b32 exec_lo, exec_lo, s17
	s_cbranch_execnz .LBB4_2794
.LBB4_2355:                             ;   in Loop: Header=BB4_2209 Depth=3
	s_or_b32 exec_lo, exec_lo, s17
	s_and_saveexec_b32 s16, s13
	s_cbranch_execz .LBB4_2357
.LBB4_2356:                             ;   in Loop: Header=BB4_2209 Depth=3
	v_and_b32_e32 v163, 0xffff, v164
	s_delay_alu instid0(VALU_DEP_1) | instskip(NEXT) | instid1(VALU_DEP_1)
	v_and_b32_e32 v165, 7, v163
	v_clz_i32_u32_e32 v166, v165
	s_delay_alu instid0(VALU_DEP_1) | instskip(NEXT) | instid1(VALU_DEP_1)
	v_min_u32_e32 v166, 32, v166
	v_subrev_nc_u32_e32 v167, 28, v166
	v_sub_nc_u32_e32 v166, 29, v166
	s_delay_alu instid0(VALU_DEP_2) | instskip(SKIP_1) | instid1(VALU_DEP_2)
	v_lshlrev_b32_e32 v167, v167, v163
	v_bfe_u32 v163, v163, 3, 4
	v_and_b32_e32 v167, 7, v167
	s_delay_alu instid0(VALU_DEP_2) | instskip(SKIP_1) | instid1(VALU_DEP_1)
	v_cmp_eq_u32_e32 vcc_lo, 0, v163
	v_dual_cndmask_b32 v163, v163, v166 :: v_dual_lshlrev_b32 v164, 24, v164
	v_dual_cndmask_b32 v165, v165, v167 :: v_dual_and_b32 v164, 0x80000000, v164
	s_delay_alu instid0(VALU_DEP_2) | instskip(NEXT) | instid1(VALU_DEP_2)
	v_lshl_add_u32 v163, v163, 23, 0x3b800000
	v_lshlrev_b32_e32 v165, 20, v165
	s_delay_alu instid0(VALU_DEP_1)
	v_or3_b32 v163, v164, v163, v165
.LBB4_2357:                             ;   in Loop: Header=BB4_2209 Depth=3
	s_or_b32 exec_lo, exec_lo, s16
	v_lshrrev_b16 v164, 8, v18
	s_mov_b32 s13, 0
	s_mov_b32 s17, exec_lo
                                        ; implicit-def: $sgpr16
	s_delay_alu instid0(VALU_DEP_1)
	v_cmpx_lt_i16_e64 0x7f, v164
	s_xor_b32 s17, exec_lo, s17
	s_cbranch_execnz .LBB4_2795
; %bb.2358:                             ;   in Loop: Header=BB4_2209 Depth=3
	s_or_saveexec_b32 s17, s17
	v_mov_b32_e32 v165, s16
	s_xor_b32 exec_lo, exec_lo, s17
	s_cbranch_execnz .LBB4_2798
.LBB4_2359:                             ;   in Loop: Header=BB4_2209 Depth=3
	s_or_b32 exec_lo, exec_lo, s17
	s_and_saveexec_b32 s16, s13
	s_cbranch_execz .LBB4_2361
.LBB4_2360:                             ;   in Loop: Header=BB4_2209 Depth=3
	v_and_b32_e32 v165, 0xffff, v164
	v_lshlrev_b32_e32 v164, 24, v164
	s_delay_alu instid0(VALU_DEP_2) | instskip(NEXT) | instid1(VALU_DEP_2)
	v_and_b32_e32 v166, 7, v165
	v_and_b32_e32 v164, 0x80000000, v164
	s_delay_alu instid0(VALU_DEP_2) | instskip(NEXT) | instid1(VALU_DEP_1)
	v_clz_i32_u32_e32 v167, v166
	v_min_u32_e32 v167, 32, v167
	s_delay_alu instid0(VALU_DEP_1) | instskip(SKIP_1) | instid1(VALU_DEP_2)
	v_subrev_nc_u32_e32 v176, 28, v167
	v_sub_nc_u32_e32 v167, 29, v167
	v_lshlrev_b32_e32 v176, v176, v165
	v_bfe_u32 v165, v165, 3, 4
	s_delay_alu instid0(VALU_DEP_2) | instskip(NEXT) | instid1(VALU_DEP_2)
	v_and_b32_e32 v176, 7, v176
	v_cmp_eq_u32_e32 vcc_lo, 0, v165
	s_delay_alu instid0(VALU_DEP_2) | instskip(NEXT) | instid1(VALU_DEP_1)
	v_dual_cndmask_b32 v165, v165, v167 :: v_dual_cndmask_b32 v166, v166, v176
	v_lshl_add_u32 v165, v165, 23, 0x3b800000
	s_delay_alu instid0(VALU_DEP_2) | instskip(NEXT) | instid1(VALU_DEP_1)
	v_lshlrev_b32_e32 v166, 20, v166
	v_or3_b32 v165, v164, v165, v166
.LBB4_2361:                             ;   in Loop: Header=BB4_2209 Depth=3
	s_or_b32 exec_lo, exec_lo, s16
	s_delay_alu instid0(VALU_DEP_1) | instskip(NEXT) | instid1(VALU_DEP_1)
	v_add_f32_e32 v164, v163, v165
	v_and_b32_e32 v163, 0x7f800000, v164
	s_delay_alu instid0(VALU_DEP_1)
	v_cmp_ne_u32_e32 vcc_lo, 0x7f800000, v163
	v_mov_b32_e32 v163, 0x80
	s_and_saveexec_b32 s16, vcc_lo
	s_cbranch_execz .LBB4_2369
; %bb.2362:                             ;   in Loop: Header=BB4_2209 Depth=3
	v_mov_b32_e32 v163, 0
	s_mov_b32 s17, exec_lo
	v_cmpx_ne_u32_e32 0, v164
	s_cbranch_execz .LBB4_2368
; %bb.2363:                             ;   in Loop: Header=BB4_2209 Depth=3
	v_bfe_u32 v163, v164, 23, 8
	s_delay_alu instid0(VALU_DEP_1) | instskip(SKIP_1) | instid1(VALU_DEP_2)
	v_sub_nc_u32_e32 v166, 0x78, v163
	v_cmp_gt_u32_e32 vcc_lo, 0x79, v163
	v_dual_cndmask_b32 v166, 0, v166 :: v_dual_and_b32 v165, 0x7fffff, v164
	s_delay_alu instid0(VALU_DEP_1) | instskip(SKIP_2) | instid1(VALU_DEP_4)
	v_or_b32_e32 v167, 0x800000, v165
	v_cmp_eq_u32_e32 vcc_lo, 0, v163
	v_add_nc_u32_e32 v163, 0xffffff89, v163
	v_cndmask_b32_e64 v166, v166, 0x77, vcc_lo
	s_delay_alu instid0(VALU_DEP_2) | instskip(SKIP_1) | instid1(VALU_DEP_3)
	v_cndmask_b32_e64 v163, v163, 0xffffff8a, vcc_lo
	v_cndmask_b32_e32 v165, v167, v165, vcc_lo
	v_lshl_add_u32 v167, 0x100000, v166, -1
	v_lshlrev_b32_e64 v178, v166, 0x80000
	s_delay_alu instid0(VALU_DEP_3) | instskip(SKIP_1) | instid1(VALU_DEP_4)
	v_lshrrev_b32_e32 v176, v166, v165
	v_add_nc_u32_e32 v166, v166, v163
	v_and_b32_e32 v165, v167, v165
	s_delay_alu instid0(VALU_DEP_3) | instskip(NEXT) | instid1(VALU_DEP_2)
	v_bfe_u32 v177, v176, 20, 1
	v_cmp_eq_u32_e64 s13, v165, v178
	s_delay_alu instid0(VALU_DEP_2) | instskip(NEXT) | instid1(VALU_DEP_1)
	v_add_nc_u32_e32 v167, -1, v177
	v_cndmask_b32_e64 v165, 0, v167, s13
	v_lshrrev_b32_e32 v167, 23, v176
	s_mov_b32 s13, exec_lo
	s_delay_alu instid0(VALU_DEP_2) | instskip(NEXT) | instid1(VALU_DEP_2)
	v_add_nc_u32_e32 v165, v165, v176
	v_xor_b32_e32 v167, 1, v167
	s_delay_alu instid0(VALU_DEP_2) | instskip(NEXT) | instid1(VALU_DEP_1)
	v_and_b32_e32 v163, 0xfffff, v165
	v_add_nc_u32_e32 v165, v163, v176
                                        ; implicit-def: $vgpr163
	s_delay_alu instid0(VALU_DEP_3)
	v_cmpx_ne_u32_e64 v166, v167
	s_xor_b32 s13, exec_lo, s13
; %bb.2364:                             ;   in Loop: Header=BB4_2209 Depth=3
	s_delay_alu instid0(VALU_DEP_2) | instskip(SKIP_2) | instid1(VALU_DEP_2)
	v_cmp_lt_u32_e32 vcc_lo, 0xffffff, v165
	v_sub_nc_u32_e32 v163, v166, v167
	v_cndmask_b32_e64 v166, 0, 1, vcc_lo
	v_add_co_ci_u32_e32 v163, vcc_lo, 0, v163, vcc_lo
	s_delay_alu instid0(VALU_DEP_2)
	v_lshrrev_b32_e32 v165, v166, v165
; %bb.2365:                             ;   in Loop: Header=BB4_2209 Depth=3
	s_and_not1_saveexec_b32 s13, s13
; %bb.2366:                             ;   in Loop: Header=BB4_2209 Depth=3
	s_delay_alu instid0(VALU_DEP_1)
	v_bfe_u32 v163, v165, 23, 1
; %bb.2367:                             ;   in Loop: Header=BB4_2209 Depth=3
	s_or_b32 exec_lo, exec_lo, s13
	v_lshrrev_b32_e32 v165, 20, v165
	s_delay_alu instid0(VALU_DEP_2) | instskip(SKIP_2) | instid1(VALU_DEP_2)
	v_cmp_gt_i32_e32 vcc_lo, 16, v163
	v_lshrrev_b32_e32 v164, 24, v164
	v_min_i32_e32 v166, 15, v163
	v_dual_cndmask_b32 v165, 7, v165 :: v_dual_and_b32 v164, 0x80, v164
	s_delay_alu instid0(VALU_DEP_1) | instskip(SKIP_1) | instid1(VALU_DEP_2)
	v_or_b32_e32 v163, v163, v165
	v_and_b32_e32 v167, 7, v165
	v_cmp_ne_u32_e32 vcc_lo, 0, v163
	v_lshlrev_b32_e32 v166, 3, v166
	s_delay_alu instid0(VALU_DEP_1) | instskip(NEXT) | instid1(VALU_DEP_1)
	v_or3_b32 v164, v166, v164, v167
	v_cndmask_b32_e32 v163, 0, v164, vcc_lo
.LBB4_2368:                             ;   in Loop: Header=BB4_2209 Depth=3
	s_or_b32 exec_lo, exec_lo, s17
.LBB4_2369:                             ;   in Loop: Header=BB4_2209 Depth=3
	s_delay_alu instid0(SALU_CYCLE_1) | instskip(SKIP_3) | instid1(VALU_DEP_1)
	s_or_b32 exec_lo, exec_lo, s16
	v_lshrrev_b32_e32 v165, 16, v22
	s_mov_b32 s13, 0
	s_mov_b32 s17, exec_lo
                                        ; implicit-def: $sgpr16
	v_and_b32_e32 v166, 0xff, v165
	s_delay_alu instid0(VALU_DEP_1)
	v_cmpx_lt_i16_e64 0x7f, v166
	s_xor_b32 s17, exec_lo, s17
	s_cbranch_execnz .LBB4_2799
; %bb.2370:                             ;   in Loop: Header=BB4_2209 Depth=3
	s_or_saveexec_b32 s17, s17
	v_mov_b32_e32 v164, s16
	s_xor_b32 exec_lo, exec_lo, s17
	s_cbranch_execnz .LBB4_2802
.LBB4_2371:                             ;   in Loop: Header=BB4_2209 Depth=3
	s_or_b32 exec_lo, exec_lo, s17
	s_and_saveexec_b32 s16, s13
	s_cbranch_execz .LBB4_2373
.LBB4_2372:                             ;   in Loop: Header=BB4_2209 Depth=3
	v_bfe_u32 v164, v22, 16, 3
	v_lshlrev_b32_e32 v176, 8, v22
	s_delay_alu instid0(VALU_DEP_2) | instskip(NEXT) | instid1(VALU_DEP_1)
	v_clz_i32_u32_e32 v166, v164
	v_min_u32_e32 v166, 32, v166
	s_delay_alu instid0(VALU_DEP_1) | instskip(SKIP_1) | instid1(VALU_DEP_2)
	v_subrev_nc_u32_e32 v167, 28, v166
	v_sub_nc_u32_e32 v166, 29, v166
	v_lshlrev_b32_e32 v165, v167, v165
	v_bfe_u32 v167, v22, 19, 4
	s_delay_alu instid0(VALU_DEP_1) | instskip(NEXT) | instid1(VALU_DEP_3)
	v_cmp_eq_u32_e32 vcc_lo, 0, v167
	v_dual_cndmask_b32 v166, v167, v166 :: v_dual_and_b32 v165, 7, v165
	s_delay_alu instid0(VALU_DEP_1) | instskip(NEXT) | instid1(VALU_DEP_2)
	v_dual_cndmask_b32 v164, v164, v165 :: v_dual_and_b32 v165, 0x80000000, v176
	v_lshl_add_u32 v166, v166, 23, 0x3b800000
	s_delay_alu instid0(VALU_DEP_2) | instskip(NEXT) | instid1(VALU_DEP_1)
	v_lshlrev_b32_e32 v164, 20, v164
	v_or3_b32 v164, v165, v166, v164
.LBB4_2373:                             ;   in Loop: Header=BB4_2209 Depth=3
	s_or_b32 exec_lo, exec_lo, s16
	v_lshrrev_b32_e32 v165, 16, v18
	s_mov_b32 s13, 0
	s_mov_b32 s17, exec_lo
                                        ; implicit-def: $sgpr16
	s_delay_alu instid0(VALU_DEP_1) | instskip(NEXT) | instid1(VALU_DEP_1)
	v_and_b32_e32 v167, 0xff, v165
	v_cmpx_lt_i16_e64 0x7f, v167
	s_xor_b32 s17, exec_lo, s17
	s_cbranch_execnz .LBB4_2803
; %bb.2374:                             ;   in Loop: Header=BB4_2209 Depth=3
	s_or_saveexec_b32 s17, s17
	v_mov_b32_e32 v166, s16
	s_xor_b32 exec_lo, exec_lo, s17
	s_cbranch_execnz .LBB4_2806
.LBB4_2375:                             ;   in Loop: Header=BB4_2209 Depth=3
	s_or_b32 exec_lo, exec_lo, s17
	s_and_saveexec_b32 s16, s13
	s_cbranch_execz .LBB4_2377
.LBB4_2376:                             ;   in Loop: Header=BB4_2209 Depth=3
	v_bfe_u32 v166, v18, 16, 3
	v_lshlrev_b32_e32 v177, 8, v18
	s_delay_alu instid0(VALU_DEP_2) | instskip(NEXT) | instid1(VALU_DEP_1)
	v_clz_i32_u32_e32 v167, v166
	v_min_u32_e32 v167, 32, v167
	s_delay_alu instid0(VALU_DEP_1) | instskip(SKIP_1) | instid1(VALU_DEP_2)
	v_subrev_nc_u32_e32 v176, 28, v167
	v_sub_nc_u32_e32 v167, 29, v167
	v_lshlrev_b32_e32 v165, v176, v165
	v_bfe_u32 v176, v18, 19, 4
	s_delay_alu instid0(VALU_DEP_2) | instskip(NEXT) | instid1(VALU_DEP_2)
	v_and_b32_e32 v165, 7, v165
	v_cmp_eq_u32_e32 vcc_lo, 0, v176
	v_cndmask_b32_e32 v167, v176, v167, vcc_lo
	s_delay_alu instid0(VALU_DEP_3) | instskip(SKIP_1) | instid1(VALU_DEP_3)
	v_cndmask_b32_e32 v165, v166, v165, vcc_lo
	v_and_b32_e32 v166, 0x80000000, v177
	v_lshl_add_u32 v167, v167, 23, 0x3b800000
	s_delay_alu instid0(VALU_DEP_3) | instskip(NEXT) | instid1(VALU_DEP_1)
	v_lshlrev_b32_e32 v165, 20, v165
	v_or3_b32 v166, v166, v167, v165
.LBB4_2377:                             ;   in Loop: Header=BB4_2209 Depth=3
	s_or_b32 exec_lo, exec_lo, s16
	s_delay_alu instid0(VALU_DEP_1) | instskip(NEXT) | instid1(VALU_DEP_1)
	v_add_f32_e32 v165, v164, v166
	v_and_b32_e32 v164, 0x7f800000, v165
	s_delay_alu instid0(VALU_DEP_1)
	v_cmp_ne_u32_e32 vcc_lo, 0x7f800000, v164
	v_mov_b32_e32 v164, 0x80
	s_and_saveexec_b32 s16, vcc_lo
	s_cbranch_execz .LBB4_2385
; %bb.2378:                             ;   in Loop: Header=BB4_2209 Depth=3
	v_mov_b32_e32 v164, 0
	s_mov_b32 s17, exec_lo
	v_cmpx_ne_u32_e32 0, v165
	s_cbranch_execz .LBB4_2384
; %bb.2379:                             ;   in Loop: Header=BB4_2209 Depth=3
	v_bfe_u32 v164, v165, 23, 8
	s_delay_alu instid0(VALU_DEP_1) | instskip(SKIP_1) | instid1(VALU_DEP_2)
	v_sub_nc_u32_e32 v167, 0x78, v164
	v_cmp_gt_u32_e32 vcc_lo, 0x79, v164
	v_dual_cndmask_b32 v167, 0, v167 :: v_dual_and_b32 v166, 0x7fffff, v165
	s_delay_alu instid0(VALU_DEP_1) | instskip(SKIP_2) | instid1(VALU_DEP_4)
	v_or_b32_e32 v176, 0x800000, v166
	v_cmp_eq_u32_e32 vcc_lo, 0, v164
	v_add_nc_u32_e32 v164, 0xffffff89, v164
	v_cndmask_b32_e64 v167, v167, 0x77, vcc_lo
	s_delay_alu instid0(VALU_DEP_2) | instskip(SKIP_1) | instid1(VALU_DEP_3)
	v_cndmask_b32_e64 v164, v164, 0xffffff8a, vcc_lo
	v_cndmask_b32_e32 v166, v176, v166, vcc_lo
	v_lshl_add_u32 v176, 0x100000, v167, -1
	v_lshlrev_b32_e64 v179, v167, 0x80000
	s_delay_alu instid0(VALU_DEP_3) | instskip(SKIP_1) | instid1(VALU_DEP_4)
	v_lshrrev_b32_e32 v177, v167, v166
	v_add_nc_u32_e32 v167, v167, v164
	v_and_b32_e32 v166, v176, v166
	s_delay_alu instid0(VALU_DEP_3) | instskip(NEXT) | instid1(VALU_DEP_2)
	v_bfe_u32 v178, v177, 20, 1
	v_cmp_eq_u32_e64 s13, v166, v179
	s_delay_alu instid0(VALU_DEP_2) | instskip(NEXT) | instid1(VALU_DEP_1)
	v_add_nc_u32_e32 v176, -1, v178
	v_cndmask_b32_e64 v166, 0, v176, s13
	v_lshrrev_b32_e32 v176, 23, v177
	s_mov_b32 s13, exec_lo
	s_delay_alu instid0(VALU_DEP_2) | instskip(NEXT) | instid1(VALU_DEP_2)
	v_add_nc_u32_e32 v166, v166, v177
	v_xor_b32_e32 v176, 1, v176
	s_delay_alu instid0(VALU_DEP_2) | instskip(NEXT) | instid1(VALU_DEP_1)
	v_and_b32_e32 v164, 0xfffff, v166
	v_add_nc_u32_e32 v166, v164, v177
                                        ; implicit-def: $vgpr164
	s_delay_alu instid0(VALU_DEP_3)
	v_cmpx_ne_u32_e64 v167, v176
	s_xor_b32 s13, exec_lo, s13
; %bb.2380:                             ;   in Loop: Header=BB4_2209 Depth=3
	s_delay_alu instid0(VALU_DEP_2) | instskip(SKIP_2) | instid1(VALU_DEP_2)
	v_cmp_lt_u32_e32 vcc_lo, 0xffffff, v166
	v_sub_nc_u32_e32 v164, v167, v176
	v_cndmask_b32_e64 v167, 0, 1, vcc_lo
	v_add_co_ci_u32_e32 v164, vcc_lo, 0, v164, vcc_lo
	s_delay_alu instid0(VALU_DEP_2)
	v_lshrrev_b32_e32 v166, v167, v166
; %bb.2381:                             ;   in Loop: Header=BB4_2209 Depth=3
	s_and_not1_saveexec_b32 s13, s13
; %bb.2382:                             ;   in Loop: Header=BB4_2209 Depth=3
	s_delay_alu instid0(VALU_DEP_1)
	v_bfe_u32 v164, v166, 23, 1
; %bb.2383:                             ;   in Loop: Header=BB4_2209 Depth=3
	s_or_b32 exec_lo, exec_lo, s13
	v_lshrrev_b32_e32 v166, 20, v166
	s_delay_alu instid0(VALU_DEP_2) | instskip(SKIP_2) | instid1(VALU_DEP_2)
	v_cmp_gt_i32_e32 vcc_lo, 16, v164
	v_lshrrev_b32_e32 v165, 24, v165
	v_min_i32_e32 v167, 15, v164
	v_dual_cndmask_b32 v166, 7, v166 :: v_dual_and_b32 v165, 0x80, v165
	s_delay_alu instid0(VALU_DEP_1) | instskip(SKIP_1) | instid1(VALU_DEP_2)
	v_or_b32_e32 v164, v164, v166
	v_and_b32_e32 v176, 7, v166
	v_cmp_ne_u32_e32 vcc_lo, 0, v164
	v_lshlrev_b32_e32 v167, 3, v167
	s_delay_alu instid0(VALU_DEP_1) | instskip(NEXT) | instid1(VALU_DEP_1)
	v_or3_b32 v165, v167, v165, v176
	v_cndmask_b32_e32 v164, 0, v165, vcc_lo
.LBB4_2384:                             ;   in Loop: Header=BB4_2209 Depth=3
	s_or_b32 exec_lo, exec_lo, s17
.LBB4_2385:                             ;   in Loop: Header=BB4_2209 Depth=3
	s_delay_alu instid0(SALU_CYCLE_1) | instskip(SKIP_3) | instid1(VALU_DEP_1)
	s_or_b32 exec_lo, exec_lo, s16
	v_lshrrev_b32_e32 v166, 24, v22
	s_mov_b32 s13, 0
	s_mov_b32 s17, exec_lo
                                        ; implicit-def: $sgpr16
	v_cmpx_lt_i16_e64 0x7f, v166
	s_xor_b32 s17, exec_lo, s17
	s_cbranch_execnz .LBB4_2807
; %bb.2386:                             ;   in Loop: Header=BB4_2209 Depth=3
	s_or_saveexec_b32 s17, s17
	v_mov_b32_e32 v165, s16
	s_xor_b32 exec_lo, exec_lo, s17
	s_cbranch_execnz .LBB4_2810
.LBB4_2387:                             ;   in Loop: Header=BB4_2209 Depth=3
	s_or_b32 exec_lo, exec_lo, s17
	s_and_saveexec_b32 s16, s13
	s_cbranch_execz .LBB4_2389
.LBB4_2388:                             ;   in Loop: Header=BB4_2209 Depth=3
	v_bfe_u32 v165, v22, 24, 3
	s_delay_alu instid0(VALU_DEP_1) | instskip(NEXT) | instid1(VALU_DEP_1)
	v_clz_i32_u32_e32 v167, v165
	v_min_u32_e32 v167, 32, v167
	s_delay_alu instid0(VALU_DEP_1) | instskip(SKIP_1) | instid1(VALU_DEP_2)
	v_subrev_nc_u32_e32 v176, 28, v167
	v_sub_nc_u32_e32 v167, 29, v167
	v_lshlrev_b32_e32 v166, v176, v166
	v_bfe_u32 v176, v22, 27, 4
	v_and_b32_e32 v22, 0x80000000, v22
	s_delay_alu instid0(VALU_DEP_2) | instskip(NEXT) | instid1(VALU_DEP_4)
	v_cmp_eq_u32_e32 vcc_lo, 0, v176
	v_dual_cndmask_b32 v167, v176, v167 :: v_dual_and_b32 v166, 7, v166
	s_delay_alu instid0(VALU_DEP_1) | instskip(NEXT) | instid1(VALU_DEP_2)
	v_cndmask_b32_e32 v165, v165, v166, vcc_lo
	v_lshl_add_u32 v166, v167, 23, 0x3b800000
	s_delay_alu instid0(VALU_DEP_2) | instskip(NEXT) | instid1(VALU_DEP_1)
	v_lshlrev_b32_e32 v165, 20, v165
	v_or3_b32 v165, v22, v166, v165
.LBB4_2389:                             ;   in Loop: Header=BB4_2209 Depth=3
	s_or_b32 exec_lo, exec_lo, s16
	v_lshrrev_b32_e32 v22, 24, v18
	s_mov_b32 s13, 0
	s_mov_b32 s17, exec_lo
                                        ; implicit-def: $sgpr16
	s_delay_alu instid0(VALU_DEP_1)
	v_cmpx_lt_i16_e32 0x7f, v22
	s_xor_b32 s17, exec_lo, s17
	s_cbranch_execnz .LBB4_2811
; %bb.2390:                             ;   in Loop: Header=BB4_2209 Depth=3
	s_or_saveexec_b32 s17, s17
	v_mov_b32_e32 v166, s16
	s_xor_b32 exec_lo, exec_lo, s17
	s_cbranch_execnz .LBB4_2814
.LBB4_2391:                             ;   in Loop: Header=BB4_2209 Depth=3
	s_or_b32 exec_lo, exec_lo, s17
	s_and_saveexec_b32 s16, s13
	s_cbranch_execz .LBB4_2393
.LBB4_2392:                             ;   in Loop: Header=BB4_2209 Depth=3
	v_bfe_u32 v166, v18, 24, 3
	s_delay_alu instid0(VALU_DEP_1) | instskip(NEXT) | instid1(VALU_DEP_1)
	v_clz_i32_u32_e32 v167, v166
	v_min_u32_e32 v167, 32, v167
	s_delay_alu instid0(VALU_DEP_1) | instskip(SKIP_1) | instid1(VALU_DEP_2)
	v_subrev_nc_u32_e32 v176, 28, v167
	v_sub_nc_u32_e32 v167, 29, v167
	v_lshlrev_b32_e32 v22, v176, v22
	v_bfe_u32 v176, v18, 27, 4
	v_and_b32_e32 v18, 0x80000000, v18
	s_delay_alu instid0(VALU_DEP_2) | instskip(NEXT) | instid1(VALU_DEP_4)
	v_cmp_eq_u32_e32 vcc_lo, 0, v176
	v_dual_cndmask_b32 v167, v176, v167 :: v_dual_and_b32 v22, 7, v22
	s_delay_alu instid0(VALU_DEP_1) | instskip(NEXT) | instid1(VALU_DEP_2)
	v_cndmask_b32_e32 v22, v166, v22, vcc_lo
	v_lshl_add_u32 v166, v167, 23, 0x3b800000
	s_delay_alu instid0(VALU_DEP_2) | instskip(NEXT) | instid1(VALU_DEP_1)
	v_lshlrev_b32_e32 v22, 20, v22
	v_or3_b32 v166, v18, v166, v22
.LBB4_2393:                             ;   in Loop: Header=BB4_2209 Depth=3
	s_or_b32 exec_lo, exec_lo, s16
	s_delay_alu instid0(VALU_DEP_1) | instskip(NEXT) | instid1(VALU_DEP_1)
	v_add_f32_e32 v22, v165, v166
	v_and_b32_e32 v18, 0x7f800000, v22
	s_delay_alu instid0(VALU_DEP_1)
	v_cmp_ne_u32_e32 vcc_lo, 0x7f800000, v18
	v_mov_b32_e32 v18, 0x80
	s_and_saveexec_b32 s16, vcc_lo
	s_cbranch_execz .LBB4_2401
; %bb.2394:                             ;   in Loop: Header=BB4_2209 Depth=3
	v_mov_b32_e32 v18, 0
	s_mov_b32 s17, exec_lo
	v_cmpx_ne_u32_e32 0, v22
	s_cbranch_execz .LBB4_2400
; %bb.2395:                             ;   in Loop: Header=BB4_2209 Depth=3
	v_bfe_u32 v18, v22, 23, 8
	v_and_b32_e32 v165, 0x7fffff, v22
	s_delay_alu instid0(VALU_DEP_2) | instskip(SKIP_1) | instid1(VALU_DEP_3)
	v_sub_nc_u32_e32 v166, 0x78, v18
	v_cmp_gt_u32_e32 vcc_lo, 0x79, v18
	v_or_b32_e32 v167, 0x800000, v165
	s_delay_alu instid0(VALU_DEP_3) | instskip(SKIP_1) | instid1(VALU_DEP_3)
	v_cndmask_b32_e32 v166, 0, v166, vcc_lo
	v_cmp_eq_u32_e32 vcc_lo, 0, v18
	v_dual_cndmask_b32 v165, v167, v165 :: v_dual_add_nc_u32 v18, 0xffffff89, v18
	s_delay_alu instid0(VALU_DEP_3) | instskip(NEXT) | instid1(VALU_DEP_2)
	v_cndmask_b32_e64 v166, v166, 0x77, vcc_lo
	v_cndmask_b32_e64 v18, v18, 0xffffff8a, vcc_lo
	s_delay_alu instid0(VALU_DEP_2) | instskip(SKIP_2) | instid1(VALU_DEP_4)
	v_lshrrev_b32_e32 v176, v166, v165
	v_lshl_add_u32 v167, 0x100000, v166, -1
	v_lshlrev_b32_e64 v178, v166, 0x80000
	v_add_nc_u32_e32 v166, v166, v18
	s_delay_alu instid0(VALU_DEP_4) | instskip(NEXT) | instid1(VALU_DEP_4)
	v_bfe_u32 v177, v176, 20, 1
	v_and_b32_e32 v165, v167, v165
	s_delay_alu instid0(VALU_DEP_2) | instskip(NEXT) | instid1(VALU_DEP_2)
	v_add_nc_u32_e32 v167, -1, v177
	v_cmp_eq_u32_e64 s13, v165, v178
	s_delay_alu instid0(VALU_DEP_1) | instskip(SKIP_2) | instid1(VALU_DEP_2)
	v_cndmask_b32_e64 v165, 0, v167, s13
	v_lshrrev_b32_e32 v167, 23, v176
	s_mov_b32 s13, exec_lo
	v_add_nc_u32_e32 v165, v165, v176
	s_delay_alu instid0(VALU_DEP_2) | instskip(NEXT) | instid1(VALU_DEP_2)
	v_xor_b32_e32 v167, 1, v167
	v_and_b32_e32 v18, 0xfffff, v165
	s_delay_alu instid0(VALU_DEP_1) | instskip(NEXT) | instid1(VALU_DEP_3)
	v_add_nc_u32_e32 v165, v18, v176
                                        ; implicit-def: $vgpr18
	v_cmpx_ne_u32_e64 v166, v167
	s_xor_b32 s13, exec_lo, s13
; %bb.2396:                             ;   in Loop: Header=BB4_2209 Depth=3
	s_delay_alu instid0(VALU_DEP_2) | instskip(SKIP_2) | instid1(VALU_DEP_2)
	v_cmp_lt_u32_e32 vcc_lo, 0xffffff, v165
	v_sub_nc_u32_e32 v18, v166, v167
	v_cndmask_b32_e64 v166, 0, 1, vcc_lo
	v_add_co_ci_u32_e32 v18, vcc_lo, 0, v18, vcc_lo
	s_delay_alu instid0(VALU_DEP_2)
	v_lshrrev_b32_e32 v165, v166, v165
; %bb.2397:                             ;   in Loop: Header=BB4_2209 Depth=3
	s_and_not1_saveexec_b32 s13, s13
; %bb.2398:                             ;   in Loop: Header=BB4_2209 Depth=3
	s_delay_alu instid0(VALU_DEP_1)
	v_bfe_u32 v18, v165, 23, 1
; %bb.2399:                             ;   in Loop: Header=BB4_2209 Depth=3
	s_or_b32 exec_lo, exec_lo, s13
	v_lshrrev_b32_e32 v165, 20, v165
	s_delay_alu instid0(VALU_DEP_2) | instskip(SKIP_2) | instid1(VALU_DEP_2)
	v_cmp_gt_i32_e32 vcc_lo, 16, v18
	v_lshrrev_b32_e32 v22, 24, v22
	v_min_i32_e32 v166, 15, v18
	v_dual_cndmask_b32 v165, 7, v165 :: v_dual_and_b32 v22, 0x80, v22
	s_delay_alu instid0(VALU_DEP_2) | instskip(NEXT) | instid1(VALU_DEP_2)
	v_lshlrev_b32_e32 v166, 3, v166
	v_or_b32_e32 v18, v18, v165
	s_delay_alu instid0(VALU_DEP_1) | instskip(SKIP_1) | instid1(VALU_DEP_1)
	v_cmp_ne_u32_e32 vcc_lo, 0, v18
	v_and_b32_e32 v167, 7, v165
	v_or3_b32 v22, v166, v22, v167
	s_delay_alu instid0(VALU_DEP_1)
	v_cndmask_b32_e32 v18, 0, v22, vcc_lo
.LBB4_2400:                             ;   in Loop: Header=BB4_2209 Depth=3
	s_or_b32 exec_lo, exec_lo, s17
.LBB4_2401:                             ;   in Loop: Header=BB4_2209 Depth=3
	s_delay_alu instid0(SALU_CYCLE_1) | instskip(SKIP_3) | instid1(VALU_DEP_1)
	s_or_b32 exec_lo, exec_lo, s16
	v_and_b32_e32 v165, 0xff, v23
	s_mov_b32 s13, 0
	s_mov_b32 s17, exec_lo
                                        ; implicit-def: $sgpr16
	v_cmpx_lt_i16_e64 0x7f, v165
	s_xor_b32 s17, exec_lo, s17
	s_cbranch_execnz .LBB4_2815
; %bb.2402:                             ;   in Loop: Header=BB4_2209 Depth=3
	s_or_saveexec_b32 s17, s17
	v_mov_b32_e32 v22, s16
	s_xor_b32 exec_lo, exec_lo, s17
	s_cbranch_execnz .LBB4_2818
.LBB4_2403:                             ;   in Loop: Header=BB4_2209 Depth=3
	s_or_b32 exec_lo, exec_lo, s17
	s_and_saveexec_b32 s16, s13
	s_cbranch_execz .LBB4_2405
.LBB4_2404:                             ;   in Loop: Header=BB4_2209 Depth=3
	v_bfe_u32 v167, v23, 3, 4
	v_lshlrev_b32_e32 v176, 24, v23
	s_delay_alu instid0(VALU_DEP_2) | instskip(SKIP_1) | instid1(VALU_DEP_1)
	v_cmp_eq_u32_e32 vcc_lo, 0, v167
	v_and_b32_e32 v22, 7, v23
	v_clz_i32_u32_e32 v165, v22
	s_delay_alu instid0(VALU_DEP_1) | instskip(NEXT) | instid1(VALU_DEP_1)
	v_min_u32_e32 v165, 32, v165
	v_subrev_nc_u32_e32 v166, 28, v165
	v_sub_nc_u32_e32 v165, 29, v165
	s_delay_alu instid0(VALU_DEP_1) | instskip(NEXT) | instid1(VALU_DEP_1)
	v_dual_cndmask_b32 v165, v167, v165 :: v_dual_lshlrev_b32 v166, v166, v23
	v_and_b32_e32 v166, 7, v166
	s_delay_alu instid0(VALU_DEP_2) | instskip(NEXT) | instid1(VALU_DEP_2)
	v_lshl_add_u32 v165, v165, 23, 0x3b800000
	v_cndmask_b32_e32 v22, v22, v166, vcc_lo
	v_and_b32_e32 v166, 0x80000000, v176
	s_delay_alu instid0(VALU_DEP_2) | instskip(NEXT) | instid1(VALU_DEP_1)
	v_lshlrev_b32_e32 v22, 20, v22
	v_or3_b32 v22, v166, v165, v22
.LBB4_2405:                             ;   in Loop: Header=BB4_2209 Depth=3
	s_or_b32 exec_lo, exec_lo, s16
	v_and_b32_e32 v166, 0xff, v19
	s_mov_b32 s13, 0
	s_mov_b32 s17, exec_lo
                                        ; implicit-def: $sgpr16
	s_delay_alu instid0(VALU_DEP_1)
	v_cmpx_lt_i16_e64 0x7f, v166
	s_xor_b32 s17, exec_lo, s17
	s_cbranch_execnz .LBB4_2819
; %bb.2406:                             ;   in Loop: Header=BB4_2209 Depth=3
	s_or_saveexec_b32 s17, s17
	v_mov_b32_e32 v165, s16
	s_xor_b32 exec_lo, exec_lo, s17
	s_cbranch_execnz .LBB4_2822
.LBB4_2407:                             ;   in Loop: Header=BB4_2209 Depth=3
	s_or_b32 exec_lo, exec_lo, s17
	s_and_saveexec_b32 s16, s13
	s_cbranch_execz .LBB4_2409
.LBB4_2408:                             ;   in Loop: Header=BB4_2209 Depth=3
	v_bfe_u32 v176, v19, 3, 4
	v_lshlrev_b32_e32 v177, 24, v19
	s_delay_alu instid0(VALU_DEP_2) | instskip(SKIP_1) | instid1(VALU_DEP_1)
	v_cmp_eq_u32_e32 vcc_lo, 0, v176
	v_and_b32_e32 v165, 7, v19
	v_clz_i32_u32_e32 v166, v165
	s_delay_alu instid0(VALU_DEP_1) | instskip(NEXT) | instid1(VALU_DEP_1)
	v_min_u32_e32 v166, 32, v166
	v_subrev_nc_u32_e32 v167, 28, v166
	v_sub_nc_u32_e32 v166, 29, v166
	s_delay_alu instid0(VALU_DEP_1) | instskip(NEXT) | instid1(VALU_DEP_1)
	v_dual_cndmask_b32 v166, v176, v166 :: v_dual_lshlrev_b32 v167, v167, v19
	v_and_b32_e32 v167, 7, v167
	s_delay_alu instid0(VALU_DEP_2) | instskip(NEXT) | instid1(VALU_DEP_2)
	v_lshl_add_u32 v166, v166, 23, 0x3b800000
	v_cndmask_b32_e32 v165, v165, v167, vcc_lo
	v_and_b32_e32 v167, 0x80000000, v177
	s_delay_alu instid0(VALU_DEP_2) | instskip(NEXT) | instid1(VALU_DEP_1)
	v_lshlrev_b32_e32 v165, 20, v165
	v_or3_b32 v165, v167, v166, v165
.LBB4_2409:                             ;   in Loop: Header=BB4_2209 Depth=3
	s_or_b32 exec_lo, exec_lo, s16
	s_delay_alu instid0(VALU_DEP_1) | instskip(NEXT) | instid1(VALU_DEP_1)
	v_add_f32_e32 v165, v22, v165
	v_and_b32_e32 v22, 0x7f800000, v165
	s_delay_alu instid0(VALU_DEP_1)
	v_cmp_ne_u32_e32 vcc_lo, 0x7f800000, v22
	v_mov_b32_e32 v22, 0x80
	s_and_saveexec_b32 s16, vcc_lo
	s_cbranch_execz .LBB4_2417
; %bb.2410:                             ;   in Loop: Header=BB4_2209 Depth=3
	v_mov_b32_e32 v22, 0
	s_mov_b32 s17, exec_lo
	v_cmpx_ne_u32_e32 0, v165
	s_cbranch_execz .LBB4_2416
; %bb.2411:                             ;   in Loop: Header=BB4_2209 Depth=3
	v_bfe_u32 v22, v165, 23, 8
	s_delay_alu instid0(VALU_DEP_1) | instskip(SKIP_1) | instid1(VALU_DEP_2)
	v_sub_nc_u32_e32 v167, 0x78, v22
	v_cmp_gt_u32_e32 vcc_lo, 0x79, v22
	v_dual_cndmask_b32 v167, 0, v167 :: v_dual_and_b32 v166, 0x7fffff, v165
	s_delay_alu instid0(VALU_DEP_1) | instskip(SKIP_2) | instid1(VALU_DEP_4)
	v_or_b32_e32 v176, 0x800000, v166
	v_cmp_eq_u32_e32 vcc_lo, 0, v22
	v_add_nc_u32_e32 v22, 0xffffff89, v22
	v_cndmask_b32_e64 v167, v167, 0x77, vcc_lo
	s_delay_alu instid0(VALU_DEP_4) | instskip(NEXT) | instid1(VALU_DEP_3)
	v_cndmask_b32_e32 v166, v176, v166, vcc_lo
	v_cndmask_b32_e64 v22, v22, 0xffffff8a, vcc_lo
	s_delay_alu instid0(VALU_DEP_3) | instskip(NEXT) | instid1(VALU_DEP_3)
	v_lshl_add_u32 v176, 0x100000, v167, -1
	v_lshrrev_b32_e32 v177, v167, v166
	v_lshlrev_b32_e64 v179, v167, 0x80000
	s_delay_alu instid0(VALU_DEP_4) | instskip(NEXT) | instid1(VALU_DEP_4)
	v_add_nc_u32_e32 v167, v167, v22
	v_and_b32_e32 v166, v176, v166
	s_delay_alu instid0(VALU_DEP_4) | instskip(NEXT) | instid1(VALU_DEP_2)
	v_bfe_u32 v178, v177, 20, 1
	v_cmp_eq_u32_e64 s13, v166, v179
	s_delay_alu instid0(VALU_DEP_2) | instskip(NEXT) | instid1(VALU_DEP_1)
	v_add_nc_u32_e32 v176, -1, v178
	v_cndmask_b32_e64 v166, 0, v176, s13
	v_lshrrev_b32_e32 v176, 23, v177
	s_mov_b32 s13, exec_lo
	s_delay_alu instid0(VALU_DEP_2) | instskip(NEXT) | instid1(VALU_DEP_2)
	v_add_nc_u32_e32 v166, v166, v177
	v_xor_b32_e32 v176, 1, v176
	s_delay_alu instid0(VALU_DEP_2) | instskip(NEXT) | instid1(VALU_DEP_1)
	v_and_b32_e32 v22, 0xfffff, v166
	v_add_nc_u32_e32 v166, v22, v177
                                        ; implicit-def: $vgpr22
	s_delay_alu instid0(VALU_DEP_3)
	v_cmpx_ne_u32_e64 v167, v176
	s_xor_b32 s13, exec_lo, s13
; %bb.2412:                             ;   in Loop: Header=BB4_2209 Depth=3
	s_delay_alu instid0(VALU_DEP_2) | instskip(SKIP_2) | instid1(VALU_DEP_2)
	v_cmp_lt_u32_e32 vcc_lo, 0xffffff, v166
	v_sub_nc_u32_e32 v22, v167, v176
	v_cndmask_b32_e64 v167, 0, 1, vcc_lo
	v_add_co_ci_u32_e32 v22, vcc_lo, 0, v22, vcc_lo
	s_delay_alu instid0(VALU_DEP_2)
	v_lshrrev_b32_e32 v166, v167, v166
; %bb.2413:                             ;   in Loop: Header=BB4_2209 Depth=3
	s_and_not1_saveexec_b32 s13, s13
; %bb.2414:                             ;   in Loop: Header=BB4_2209 Depth=3
	s_delay_alu instid0(VALU_DEP_1)
	v_bfe_u32 v22, v166, 23, 1
; %bb.2415:                             ;   in Loop: Header=BB4_2209 Depth=3
	s_or_b32 exec_lo, exec_lo, s13
	v_lshrrev_b32_e32 v166, 20, v166
	s_delay_alu instid0(VALU_DEP_2) | instskip(SKIP_2) | instid1(VALU_DEP_2)
	v_cmp_gt_i32_e32 vcc_lo, 16, v22
	v_lshrrev_b32_e32 v165, 24, v165
	v_min_i32_e32 v167, 15, v22
	v_dual_cndmask_b32 v166, 7, v166 :: v_dual_and_b32 v165, 0x80, v165
	s_delay_alu instid0(VALU_DEP_1) | instskip(SKIP_1) | instid1(VALU_DEP_2)
	v_or_b32_e32 v22, v22, v166
	v_and_b32_e32 v176, 7, v166
	v_cmp_ne_u32_e32 vcc_lo, 0, v22
	v_lshlrev_b32_e32 v167, 3, v167
	s_delay_alu instid0(VALU_DEP_1) | instskip(NEXT) | instid1(VALU_DEP_1)
	v_or3_b32 v165, v167, v165, v176
	v_cndmask_b32_e32 v22, 0, v165, vcc_lo
.LBB4_2416:                             ;   in Loop: Header=BB4_2209 Depth=3
	s_or_b32 exec_lo, exec_lo, s17
.LBB4_2417:                             ;   in Loop: Header=BB4_2209 Depth=3
	s_delay_alu instid0(SALU_CYCLE_1) | instskip(SKIP_3) | instid1(VALU_DEP_1)
	s_or_b32 exec_lo, exec_lo, s16
	v_lshrrev_b16 v166, 8, v23
	s_mov_b32 s13, 0
	s_mov_b32 s17, exec_lo
                                        ; implicit-def: $sgpr16
	v_cmpx_lt_i16_e64 0x7f, v166
	s_xor_b32 s17, exec_lo, s17
	s_cbranch_execnz .LBB4_2823
; %bb.2418:                             ;   in Loop: Header=BB4_2209 Depth=3
	s_or_saveexec_b32 s17, s17
	v_mov_b32_e32 v165, s16
	s_xor_b32 exec_lo, exec_lo, s17
	s_cbranch_execnz .LBB4_2826
.LBB4_2419:                             ;   in Loop: Header=BB4_2209 Depth=3
	s_or_b32 exec_lo, exec_lo, s17
	s_and_saveexec_b32 s16, s13
	s_cbranch_execz .LBB4_2421
.LBB4_2420:                             ;   in Loop: Header=BB4_2209 Depth=3
	v_and_b32_e32 v165, 0xffff, v166
	s_delay_alu instid0(VALU_DEP_1) | instskip(NEXT) | instid1(VALU_DEP_1)
	v_and_b32_e32 v167, 7, v165
	v_clz_i32_u32_e32 v176, v167
	s_delay_alu instid0(VALU_DEP_1) | instskip(NEXT) | instid1(VALU_DEP_1)
	v_min_u32_e32 v176, 32, v176
	v_subrev_nc_u32_e32 v177, 28, v176
	v_sub_nc_u32_e32 v176, 29, v176
	s_delay_alu instid0(VALU_DEP_2) | instskip(SKIP_1) | instid1(VALU_DEP_2)
	v_lshlrev_b32_e32 v177, v177, v165
	v_bfe_u32 v165, v165, 3, 4
	v_and_b32_e32 v177, 7, v177
	s_delay_alu instid0(VALU_DEP_2) | instskip(SKIP_1) | instid1(VALU_DEP_1)
	v_cmp_eq_u32_e32 vcc_lo, 0, v165
	v_dual_cndmask_b32 v165, v165, v176 :: v_dual_lshlrev_b32 v166, 24, v166
	v_dual_cndmask_b32 v167, v167, v177 :: v_dual_and_b32 v166, 0x80000000, v166
	s_delay_alu instid0(VALU_DEP_2) | instskip(NEXT) | instid1(VALU_DEP_2)
	v_lshl_add_u32 v165, v165, 23, 0x3b800000
	v_lshlrev_b32_e32 v167, 20, v167
	s_delay_alu instid0(VALU_DEP_1)
	v_or3_b32 v165, v166, v165, v167
.LBB4_2421:                             ;   in Loop: Header=BB4_2209 Depth=3
	s_or_b32 exec_lo, exec_lo, s16
	v_lshrrev_b16 v166, 8, v19
	s_mov_b32 s13, 0
	s_mov_b32 s17, exec_lo
                                        ; implicit-def: $sgpr16
	s_delay_alu instid0(VALU_DEP_1)
	v_cmpx_lt_i16_e64 0x7f, v166
	s_xor_b32 s17, exec_lo, s17
	s_cbranch_execnz .LBB4_2827
; %bb.2422:                             ;   in Loop: Header=BB4_2209 Depth=3
	s_or_saveexec_b32 s17, s17
	v_mov_b32_e32 v167, s16
	s_xor_b32 exec_lo, exec_lo, s17
	s_cbranch_execnz .LBB4_2830
.LBB4_2423:                             ;   in Loop: Header=BB4_2209 Depth=3
	s_or_b32 exec_lo, exec_lo, s17
	s_and_saveexec_b32 s16, s13
	s_cbranch_execz .LBB4_2425
.LBB4_2424:                             ;   in Loop: Header=BB4_2209 Depth=3
	v_and_b32_e32 v167, 0xffff, v166
	v_lshlrev_b32_e32 v166, 24, v166
	s_delay_alu instid0(VALU_DEP_2) | instskip(NEXT) | instid1(VALU_DEP_2)
	v_and_b32_e32 v176, 7, v167
	v_and_b32_e32 v166, 0x80000000, v166
	s_delay_alu instid0(VALU_DEP_2) | instskip(NEXT) | instid1(VALU_DEP_1)
	v_clz_i32_u32_e32 v177, v176
	v_min_u32_e32 v177, 32, v177
	s_delay_alu instid0(VALU_DEP_1) | instskip(SKIP_1) | instid1(VALU_DEP_2)
	v_subrev_nc_u32_e32 v178, 28, v177
	v_sub_nc_u32_e32 v177, 29, v177
	v_lshlrev_b32_e32 v178, v178, v167
	v_bfe_u32 v167, v167, 3, 4
	s_delay_alu instid0(VALU_DEP_2) | instskip(NEXT) | instid1(VALU_DEP_2)
	v_and_b32_e32 v178, 7, v178
	v_cmp_eq_u32_e32 vcc_lo, 0, v167
	s_delay_alu instid0(VALU_DEP_2) | instskip(NEXT) | instid1(VALU_DEP_1)
	v_dual_cndmask_b32 v167, v167, v177 :: v_dual_cndmask_b32 v176, v176, v178
	v_lshl_add_u32 v167, v167, 23, 0x3b800000
	s_delay_alu instid0(VALU_DEP_2) | instskip(NEXT) | instid1(VALU_DEP_1)
	v_lshlrev_b32_e32 v176, 20, v176
	v_or3_b32 v167, v166, v167, v176
.LBB4_2425:                             ;   in Loop: Header=BB4_2209 Depth=3
	s_or_b32 exec_lo, exec_lo, s16
	s_delay_alu instid0(VALU_DEP_1) | instskip(NEXT) | instid1(VALU_DEP_1)
	v_add_f32_e32 v166, v165, v167
	v_and_b32_e32 v165, 0x7f800000, v166
	s_delay_alu instid0(VALU_DEP_1)
	v_cmp_ne_u32_e32 vcc_lo, 0x7f800000, v165
	v_mov_b32_e32 v165, 0x8000
	s_and_saveexec_b32 s16, vcc_lo
	s_cbranch_execz .LBB4_2433
; %bb.2426:                             ;   in Loop: Header=BB4_2209 Depth=3
	v_mov_b32_e32 v165, 0
	s_mov_b32 s17, exec_lo
	v_cmpx_ne_u32_e32 0, v166
	s_cbranch_execz .LBB4_2432
; %bb.2427:                             ;   in Loop: Header=BB4_2209 Depth=3
	v_bfe_u32 v165, v166, 23, 8
	s_delay_alu instid0(VALU_DEP_1) | instskip(SKIP_1) | instid1(VALU_DEP_2)
	v_sub_nc_u32_e32 v176, 0x78, v165
	v_cmp_gt_u32_e32 vcc_lo, 0x79, v165
	v_dual_cndmask_b32 v176, 0, v176 :: v_dual_and_b32 v167, 0x7fffff, v166
	s_delay_alu instid0(VALU_DEP_1) | instskip(SKIP_2) | instid1(VALU_DEP_4)
	v_or_b32_e32 v177, 0x800000, v167
	v_cmp_eq_u32_e32 vcc_lo, 0, v165
	v_add_nc_u32_e32 v165, 0xffffff89, v165
	v_cndmask_b32_e64 v176, v176, 0x77, vcc_lo
	s_delay_alu instid0(VALU_DEP_2) | instskip(SKIP_1) | instid1(VALU_DEP_3)
	v_cndmask_b32_e64 v165, v165, 0xffffff8a, vcc_lo
	v_cndmask_b32_e32 v167, v177, v167, vcc_lo
	v_lshl_add_u32 v177, 0x100000, v176, -1
	v_lshlrev_b32_e64 v180, v176, 0x80000
	s_delay_alu instid0(VALU_DEP_3) | instskip(SKIP_1) | instid1(VALU_DEP_4)
	v_lshrrev_b32_e32 v178, v176, v167
	v_add_nc_u32_e32 v176, v176, v165
	v_and_b32_e32 v167, v177, v167
	s_delay_alu instid0(VALU_DEP_3) | instskip(NEXT) | instid1(VALU_DEP_2)
	v_bfe_u32 v179, v178, 20, 1
	v_cmp_eq_u32_e64 s13, v167, v180
	s_delay_alu instid0(VALU_DEP_2) | instskip(NEXT) | instid1(VALU_DEP_1)
	v_add_nc_u32_e32 v177, -1, v179
	v_cndmask_b32_e64 v167, 0, v177, s13
	v_lshrrev_b32_e32 v177, 23, v178
	s_mov_b32 s13, exec_lo
	s_delay_alu instid0(VALU_DEP_2) | instskip(NEXT) | instid1(VALU_DEP_2)
	v_add_nc_u32_e32 v167, v167, v178
	v_xor_b32_e32 v177, 1, v177
	s_delay_alu instid0(VALU_DEP_2) | instskip(NEXT) | instid1(VALU_DEP_1)
	v_and_b32_e32 v165, 0xfffff, v167
	v_add_nc_u32_e32 v167, v165, v178
                                        ; implicit-def: $vgpr165
	s_delay_alu instid0(VALU_DEP_3)
	v_cmpx_ne_u32_e64 v176, v177
	s_xor_b32 s13, exec_lo, s13
; %bb.2428:                             ;   in Loop: Header=BB4_2209 Depth=3
	s_delay_alu instid0(VALU_DEP_2) | instskip(SKIP_2) | instid1(VALU_DEP_2)
	v_cmp_lt_u32_e32 vcc_lo, 0xffffff, v167
	v_sub_nc_u32_e32 v165, v176, v177
	v_cndmask_b32_e64 v176, 0, 1, vcc_lo
	v_add_co_ci_u32_e32 v165, vcc_lo, 0, v165, vcc_lo
	s_delay_alu instid0(VALU_DEP_2)
	v_lshrrev_b32_e32 v167, v176, v167
; %bb.2429:                             ;   in Loop: Header=BB4_2209 Depth=3
	s_and_not1_saveexec_b32 s13, s13
; %bb.2430:                             ;   in Loop: Header=BB4_2209 Depth=3
	s_delay_alu instid0(VALU_DEP_1)
	v_bfe_u32 v165, v167, 23, 1
; %bb.2431:                             ;   in Loop: Header=BB4_2209 Depth=3
	s_or_b32 exec_lo, exec_lo, s13
	v_lshrrev_b32_e32 v167, 20, v167
	s_delay_alu instid0(VALU_DEP_2) | instskip(SKIP_2) | instid1(VALU_DEP_2)
	v_cmp_gt_i32_e32 vcc_lo, 16, v165
	v_min_i32_e32 v176, 15, v165
	v_lshrrev_b32_e32 v166, 24, v166
	v_dual_cndmask_b32 v167, 7, v167 :: v_dual_lshlrev_b32 v176, 3, v176
	s_delay_alu instid0(VALU_DEP_2) | instskip(NEXT) | instid1(VALU_DEP_2)
	v_and_b32_e32 v166, 0x80, v166
	v_or_b32_e32 v165, v165, v167
	v_and_b32_e32 v177, 7, v167
	s_delay_alu instid0(VALU_DEP_2) | instskip(SKIP_1) | instid1(VALU_DEP_1)
	v_cmp_ne_u32_e32 vcc_lo, 0, v165
	v_and_b32_e32 v176, 0xf8, v176
	v_or3_b32 v166, v166, v176, v177
	s_delay_alu instid0(VALU_DEP_1) | instskip(NEXT) | instid1(VALU_DEP_1)
	v_lshlrev_b32_e32 v166, 8, v166
	v_cndmask_b32_e32 v165, 0, v166, vcc_lo
.LBB4_2432:                             ;   in Loop: Header=BB4_2209 Depth=3
	s_or_b32 exec_lo, exec_lo, s17
.LBB4_2433:                             ;   in Loop: Header=BB4_2209 Depth=3
	s_delay_alu instid0(SALU_CYCLE_1) | instskip(SKIP_3) | instid1(VALU_DEP_1)
	s_or_b32 exec_lo, exec_lo, s16
	v_lshrrev_b32_e32 v167, 16, v23
	s_mov_b32 s13, 0
	s_mov_b32 s17, exec_lo
                                        ; implicit-def: $sgpr16
	v_and_b32_e32 v176, 0xff, v167
	s_delay_alu instid0(VALU_DEP_1)
	v_cmpx_lt_i16_e64 0x7f, v176
	s_xor_b32 s17, exec_lo, s17
	s_cbranch_execnz .LBB4_2831
; %bb.2434:                             ;   in Loop: Header=BB4_2209 Depth=3
	s_or_saveexec_b32 s17, s17
	v_mov_b32_e32 v166, s16
	s_xor_b32 exec_lo, exec_lo, s17
	s_cbranch_execnz .LBB4_2834
.LBB4_2435:                             ;   in Loop: Header=BB4_2209 Depth=3
	s_or_b32 exec_lo, exec_lo, s17
	s_and_saveexec_b32 s16, s13
	s_cbranch_execz .LBB4_2437
.LBB4_2436:                             ;   in Loop: Header=BB4_2209 Depth=3
	v_bfe_u32 v166, v23, 16, 3
	v_lshlrev_b32_e32 v178, 8, v23
	s_delay_alu instid0(VALU_DEP_2) | instskip(NEXT) | instid1(VALU_DEP_1)
	v_clz_i32_u32_e32 v176, v166
	v_min_u32_e32 v176, 32, v176
	s_delay_alu instid0(VALU_DEP_1) | instskip(SKIP_1) | instid1(VALU_DEP_2)
	v_subrev_nc_u32_e32 v177, 28, v176
	v_sub_nc_u32_e32 v176, 29, v176
	v_lshlrev_b32_e32 v167, v177, v167
	v_bfe_u32 v177, v23, 19, 4
	s_delay_alu instid0(VALU_DEP_1) | instskip(NEXT) | instid1(VALU_DEP_3)
	v_cmp_eq_u32_e32 vcc_lo, 0, v177
	v_dual_cndmask_b32 v176, v177, v176 :: v_dual_and_b32 v167, 7, v167
	s_delay_alu instid0(VALU_DEP_1) | instskip(NEXT) | instid1(VALU_DEP_2)
	v_dual_cndmask_b32 v166, v166, v167 :: v_dual_and_b32 v167, 0x80000000, v178
	v_lshl_add_u32 v176, v176, 23, 0x3b800000
	s_delay_alu instid0(VALU_DEP_2) | instskip(NEXT) | instid1(VALU_DEP_1)
	v_lshlrev_b32_e32 v166, 20, v166
	v_or3_b32 v166, v167, v176, v166
.LBB4_2437:                             ;   in Loop: Header=BB4_2209 Depth=3
	s_or_b32 exec_lo, exec_lo, s16
	v_lshrrev_b32_e32 v167, 16, v19
	s_mov_b32 s13, 0
	s_mov_b32 s17, exec_lo
                                        ; implicit-def: $sgpr16
	s_delay_alu instid0(VALU_DEP_1) | instskip(NEXT) | instid1(VALU_DEP_1)
	v_and_b32_e32 v177, 0xff, v167
	v_cmpx_lt_i16_e64 0x7f, v177
	s_xor_b32 s17, exec_lo, s17
	s_cbranch_execnz .LBB4_2835
; %bb.2438:                             ;   in Loop: Header=BB4_2209 Depth=3
	s_or_saveexec_b32 s17, s17
	v_mov_b32_e32 v176, s16
	s_xor_b32 exec_lo, exec_lo, s17
	s_cbranch_execnz .LBB4_2838
.LBB4_2439:                             ;   in Loop: Header=BB4_2209 Depth=3
	s_or_b32 exec_lo, exec_lo, s17
	s_and_saveexec_b32 s16, s13
	s_cbranch_execz .LBB4_2441
.LBB4_2440:                             ;   in Loop: Header=BB4_2209 Depth=3
	v_bfe_u32 v176, v19, 16, 3
	v_lshlrev_b32_e32 v179, 8, v19
	s_delay_alu instid0(VALU_DEP_2) | instskip(NEXT) | instid1(VALU_DEP_1)
	v_clz_i32_u32_e32 v177, v176
	v_min_u32_e32 v177, 32, v177
	s_delay_alu instid0(VALU_DEP_1) | instskip(SKIP_1) | instid1(VALU_DEP_2)
	v_subrev_nc_u32_e32 v178, 28, v177
	v_sub_nc_u32_e32 v177, 29, v177
	v_lshlrev_b32_e32 v167, v178, v167
	v_bfe_u32 v178, v19, 19, 4
	s_delay_alu instid0(VALU_DEP_2) | instskip(NEXT) | instid1(VALU_DEP_2)
	v_and_b32_e32 v167, 7, v167
	v_cmp_eq_u32_e32 vcc_lo, 0, v178
	v_cndmask_b32_e32 v177, v178, v177, vcc_lo
	s_delay_alu instid0(VALU_DEP_3) | instskip(SKIP_1) | instid1(VALU_DEP_3)
	v_cndmask_b32_e32 v167, v176, v167, vcc_lo
	v_and_b32_e32 v176, 0x80000000, v179
	v_lshl_add_u32 v177, v177, 23, 0x3b800000
	s_delay_alu instid0(VALU_DEP_3) | instskip(NEXT) | instid1(VALU_DEP_1)
	v_lshlrev_b32_e32 v167, 20, v167
	v_or3_b32 v176, v176, v177, v167
.LBB4_2441:                             ;   in Loop: Header=BB4_2209 Depth=3
	s_or_b32 exec_lo, exec_lo, s16
	s_delay_alu instid0(VALU_DEP_1) | instskip(NEXT) | instid1(VALU_DEP_1)
	v_add_f32_e32 v167, v166, v176
	v_and_b32_e32 v166, 0x7f800000, v167
	s_delay_alu instid0(VALU_DEP_1)
	v_cmp_ne_u32_e32 vcc_lo, 0x7f800000, v166
	v_mov_b32_e32 v166, 0x80
	s_and_saveexec_b32 s16, vcc_lo
	s_cbranch_execz .LBB4_2449
; %bb.2442:                             ;   in Loop: Header=BB4_2209 Depth=3
	v_mov_b32_e32 v166, 0
	s_mov_b32 s17, exec_lo
	v_cmpx_ne_u32_e32 0, v167
	s_cbranch_execz .LBB4_2448
; %bb.2443:                             ;   in Loop: Header=BB4_2209 Depth=3
	v_bfe_u32 v166, v167, 23, 8
	s_delay_alu instid0(VALU_DEP_1) | instskip(SKIP_1) | instid1(VALU_DEP_2)
	v_sub_nc_u32_e32 v177, 0x78, v166
	v_cmp_gt_u32_e32 vcc_lo, 0x79, v166
	v_dual_cndmask_b32 v177, 0, v177 :: v_dual_and_b32 v176, 0x7fffff, v167
	s_delay_alu instid0(VALU_DEP_1) | instskip(SKIP_2) | instid1(VALU_DEP_4)
	v_or_b32_e32 v178, 0x800000, v176
	v_cmp_eq_u32_e32 vcc_lo, 0, v166
	v_add_nc_u32_e32 v166, 0xffffff89, v166
	v_cndmask_b32_e64 v177, v177, 0x77, vcc_lo
	s_delay_alu instid0(VALU_DEP_2) | instskip(SKIP_1) | instid1(VALU_DEP_3)
	v_cndmask_b32_e64 v166, v166, 0xffffff8a, vcc_lo
	v_cndmask_b32_e32 v176, v178, v176, vcc_lo
	v_lshl_add_u32 v178, 0x100000, v177, -1
	v_lshlrev_b32_e64 v181, v177, 0x80000
	s_delay_alu instid0(VALU_DEP_3) | instskip(SKIP_1) | instid1(VALU_DEP_4)
	v_lshrrev_b32_e32 v179, v177, v176
	v_add_nc_u32_e32 v177, v177, v166
	v_and_b32_e32 v176, v178, v176
	s_delay_alu instid0(VALU_DEP_3) | instskip(NEXT) | instid1(VALU_DEP_2)
	v_bfe_u32 v180, v179, 20, 1
	v_cmp_eq_u32_e64 s13, v176, v181
	s_delay_alu instid0(VALU_DEP_2) | instskip(NEXT) | instid1(VALU_DEP_1)
	v_add_nc_u32_e32 v178, -1, v180
	v_cndmask_b32_e64 v176, 0, v178, s13
	v_lshrrev_b32_e32 v178, 23, v179
	s_mov_b32 s13, exec_lo
	s_delay_alu instid0(VALU_DEP_2) | instskip(NEXT) | instid1(VALU_DEP_2)
	v_add_nc_u32_e32 v176, v176, v179
	v_xor_b32_e32 v178, 1, v178
	s_delay_alu instid0(VALU_DEP_2) | instskip(NEXT) | instid1(VALU_DEP_1)
	v_and_b32_e32 v166, 0xfffff, v176
	v_add_nc_u32_e32 v176, v166, v179
                                        ; implicit-def: $vgpr166
	s_delay_alu instid0(VALU_DEP_3)
	v_cmpx_ne_u32_e64 v177, v178
	s_xor_b32 s13, exec_lo, s13
; %bb.2444:                             ;   in Loop: Header=BB4_2209 Depth=3
	s_delay_alu instid0(VALU_DEP_2) | instskip(SKIP_2) | instid1(VALU_DEP_2)
	v_cmp_lt_u32_e32 vcc_lo, 0xffffff, v176
	v_sub_nc_u32_e32 v166, v177, v178
	v_cndmask_b32_e64 v177, 0, 1, vcc_lo
	v_add_co_ci_u32_e32 v166, vcc_lo, 0, v166, vcc_lo
	s_delay_alu instid0(VALU_DEP_2)
	v_lshrrev_b32_e32 v176, v177, v176
; %bb.2445:                             ;   in Loop: Header=BB4_2209 Depth=3
	s_and_not1_saveexec_b32 s13, s13
; %bb.2446:                             ;   in Loop: Header=BB4_2209 Depth=3
	s_delay_alu instid0(VALU_DEP_1)
	v_bfe_u32 v166, v176, 23, 1
; %bb.2447:                             ;   in Loop: Header=BB4_2209 Depth=3
	s_or_b32 exec_lo, exec_lo, s13
	v_lshrrev_b32_e32 v176, 20, v176
	s_delay_alu instid0(VALU_DEP_2) | instskip(SKIP_2) | instid1(VALU_DEP_2)
	v_cmp_gt_i32_e32 vcc_lo, 16, v166
	v_min_i32_e32 v177, 15, v166
	v_lshrrev_b32_e32 v167, 24, v167
	v_dual_cndmask_b32 v176, 7, v176 :: v_dual_lshlrev_b32 v177, 3, v177
	s_delay_alu instid0(VALU_DEP_2) | instskip(NEXT) | instid1(VALU_DEP_2)
	v_and_b32_e32 v167, 0x80, v167
	v_or_b32_e32 v166, v166, v176
	v_and_b32_e32 v178, 7, v176
	s_delay_alu instid0(VALU_DEP_2) | instskip(SKIP_1) | instid1(VALU_DEP_1)
	v_cmp_ne_u32_e32 vcc_lo, 0, v166
	v_and_b32_e32 v177, 0xf8, v177
	v_or3_b32 v167, v177, v167, v178
	s_delay_alu instid0(VALU_DEP_1)
	v_cndmask_b32_e32 v166, 0, v167, vcc_lo
.LBB4_2448:                             ;   in Loop: Header=BB4_2209 Depth=3
	s_or_b32 exec_lo, exec_lo, s17
.LBB4_2449:                             ;   in Loop: Header=BB4_2209 Depth=3
	s_delay_alu instid0(SALU_CYCLE_1) | instskip(SKIP_3) | instid1(VALU_DEP_1)
	s_or_b32 exec_lo, exec_lo, s16
	v_lshrrev_b32_e32 v176, 24, v23
	s_mov_b32 s13, 0
	s_mov_b32 s17, exec_lo
                                        ; implicit-def: $sgpr16
	v_cmpx_lt_i16_e64 0x7f, v176
	s_xor_b32 s17, exec_lo, s17
	s_cbranch_execnz .LBB4_2839
; %bb.2450:                             ;   in Loop: Header=BB4_2209 Depth=3
	s_or_saveexec_b32 s17, s17
	v_mov_b32_e32 v167, s16
	s_xor_b32 exec_lo, exec_lo, s17
	s_cbranch_execnz .LBB4_2842
.LBB4_2451:                             ;   in Loop: Header=BB4_2209 Depth=3
	s_or_b32 exec_lo, exec_lo, s17
	s_and_saveexec_b32 s16, s13
	s_cbranch_execz .LBB4_2453
.LBB4_2452:                             ;   in Loop: Header=BB4_2209 Depth=3
	v_bfe_u32 v167, v23, 24, 3
	s_delay_alu instid0(VALU_DEP_1) | instskip(NEXT) | instid1(VALU_DEP_1)
	v_clz_i32_u32_e32 v177, v167
	v_min_u32_e32 v177, 32, v177
	s_delay_alu instid0(VALU_DEP_1) | instskip(SKIP_1) | instid1(VALU_DEP_2)
	v_subrev_nc_u32_e32 v178, 28, v177
	v_sub_nc_u32_e32 v177, 29, v177
	v_lshlrev_b32_e32 v176, v178, v176
	v_bfe_u32 v178, v23, 27, 4
	v_and_b32_e32 v23, 0x80000000, v23
	s_delay_alu instid0(VALU_DEP_2) | instskip(NEXT) | instid1(VALU_DEP_4)
	v_cmp_eq_u32_e32 vcc_lo, 0, v178
	v_dual_cndmask_b32 v177, v178, v177 :: v_dual_and_b32 v176, 7, v176
	s_delay_alu instid0(VALU_DEP_1) | instskip(NEXT) | instid1(VALU_DEP_2)
	v_cndmask_b32_e32 v167, v167, v176, vcc_lo
	v_lshl_add_u32 v176, v177, 23, 0x3b800000
	s_delay_alu instid0(VALU_DEP_2) | instskip(NEXT) | instid1(VALU_DEP_1)
	v_lshlrev_b32_e32 v167, 20, v167
	v_or3_b32 v167, v23, v176, v167
.LBB4_2453:                             ;   in Loop: Header=BB4_2209 Depth=3
	s_or_b32 exec_lo, exec_lo, s16
	v_lshrrev_b32_e32 v23, 24, v19
	s_mov_b32 s13, 0
	s_mov_b32 s17, exec_lo
                                        ; implicit-def: $sgpr16
	s_delay_alu instid0(VALU_DEP_1)
	v_cmpx_lt_i16_e32 0x7f, v23
	s_xor_b32 s17, exec_lo, s17
	s_cbranch_execnz .LBB4_2843
; %bb.2454:                             ;   in Loop: Header=BB4_2209 Depth=3
	s_or_saveexec_b32 s17, s17
	v_mov_b32_e32 v176, s16
	s_xor_b32 exec_lo, exec_lo, s17
	s_cbranch_execnz .LBB4_2846
.LBB4_2455:                             ;   in Loop: Header=BB4_2209 Depth=3
	s_or_b32 exec_lo, exec_lo, s17
	s_and_saveexec_b32 s16, s13
	s_cbranch_execz .LBB4_2457
.LBB4_2456:                             ;   in Loop: Header=BB4_2209 Depth=3
	v_bfe_u32 v176, v19, 24, 3
	s_delay_alu instid0(VALU_DEP_1) | instskip(NEXT) | instid1(VALU_DEP_1)
	v_clz_i32_u32_e32 v177, v176
	v_min_u32_e32 v177, 32, v177
	s_delay_alu instid0(VALU_DEP_1) | instskip(SKIP_1) | instid1(VALU_DEP_2)
	v_subrev_nc_u32_e32 v178, 28, v177
	v_sub_nc_u32_e32 v177, 29, v177
	v_lshlrev_b32_e32 v23, v178, v23
	v_bfe_u32 v178, v19, 27, 4
	v_and_b32_e32 v19, 0x80000000, v19
	s_delay_alu instid0(VALU_DEP_3) | instskip(NEXT) | instid1(VALU_DEP_3)
	v_and_b32_e32 v23, 7, v23
	v_cmp_eq_u32_e32 vcc_lo, 0, v178
	v_cndmask_b32_e32 v177, v178, v177, vcc_lo
	s_delay_alu instid0(VALU_DEP_3) | instskip(NEXT) | instid1(VALU_DEP_2)
	v_cndmask_b32_e32 v23, v176, v23, vcc_lo
	v_lshl_add_u32 v176, v177, 23, 0x3b800000
	s_delay_alu instid0(VALU_DEP_2) | instskip(NEXT) | instid1(VALU_DEP_1)
	v_lshlrev_b32_e32 v23, 20, v23
	v_or3_b32 v176, v19, v176, v23
.LBB4_2457:                             ;   in Loop: Header=BB4_2209 Depth=3
	s_or_b32 exec_lo, exec_lo, s16
	s_delay_alu instid0(VALU_DEP_1) | instskip(NEXT) | instid1(VALU_DEP_1)
	v_add_f32_e32 v23, v167, v176
	v_and_b32_e32 v19, 0x7f800000, v23
	s_delay_alu instid0(VALU_DEP_1)
	v_cmp_ne_u32_e32 vcc_lo, 0x7f800000, v19
	v_mov_b32_e32 v19, 0x8000
	s_and_saveexec_b32 s16, vcc_lo
	s_cbranch_execz .LBB4_2465
; %bb.2458:                             ;   in Loop: Header=BB4_2209 Depth=3
	v_mov_b32_e32 v19, 0
	s_mov_b32 s17, exec_lo
	v_cmpx_ne_u32_e32 0, v23
	s_cbranch_execz .LBB4_2464
; %bb.2459:                             ;   in Loop: Header=BB4_2209 Depth=3
	v_bfe_u32 v19, v23, 23, 8
	s_delay_alu instid0(VALU_DEP_1) | instskip(SKIP_1) | instid1(VALU_DEP_2)
	v_sub_nc_u32_e32 v176, 0x78, v19
	v_cmp_gt_u32_e32 vcc_lo, 0x79, v19
	v_dual_cndmask_b32 v176, 0, v176 :: v_dual_and_b32 v167, 0x7fffff, v23
	s_delay_alu instid0(VALU_DEP_1) | instskip(SKIP_2) | instid1(VALU_DEP_4)
	v_or_b32_e32 v177, 0x800000, v167
	v_cmp_eq_u32_e32 vcc_lo, 0, v19
	v_add_nc_u32_e32 v19, 0xffffff89, v19
	v_cndmask_b32_e64 v176, v176, 0x77, vcc_lo
	s_delay_alu instid0(VALU_DEP_4) | instskip(NEXT) | instid1(VALU_DEP_3)
	v_cndmask_b32_e32 v167, v177, v167, vcc_lo
	v_cndmask_b32_e64 v19, v19, 0xffffff8a, vcc_lo
	s_delay_alu instid0(VALU_DEP_3) | instskip(NEXT) | instid1(VALU_DEP_3)
	v_lshl_add_u32 v177, 0x100000, v176, -1
	v_lshrrev_b32_e32 v178, v176, v167
	v_lshlrev_b32_e64 v180, v176, 0x80000
	s_delay_alu instid0(VALU_DEP_4) | instskip(NEXT) | instid1(VALU_DEP_4)
	v_add_nc_u32_e32 v176, v176, v19
	v_and_b32_e32 v167, v177, v167
	s_delay_alu instid0(VALU_DEP_4) | instskip(NEXT) | instid1(VALU_DEP_2)
	v_bfe_u32 v179, v178, 20, 1
	v_cmp_eq_u32_e64 s13, v167, v180
	s_delay_alu instid0(VALU_DEP_2) | instskip(NEXT) | instid1(VALU_DEP_1)
	v_add_nc_u32_e32 v177, -1, v179
	v_cndmask_b32_e64 v167, 0, v177, s13
	v_lshrrev_b32_e32 v177, 23, v178
	s_mov_b32 s13, exec_lo
	s_delay_alu instid0(VALU_DEP_2) | instskip(NEXT) | instid1(VALU_DEP_2)
	v_add_nc_u32_e32 v167, v167, v178
	v_xor_b32_e32 v177, 1, v177
	s_delay_alu instid0(VALU_DEP_2) | instskip(NEXT) | instid1(VALU_DEP_1)
	v_and_b32_e32 v19, 0xfffff, v167
	v_add_nc_u32_e32 v167, v19, v178
                                        ; implicit-def: $vgpr19
	s_delay_alu instid0(VALU_DEP_3)
	v_cmpx_ne_u32_e64 v176, v177
	s_xor_b32 s13, exec_lo, s13
; %bb.2460:                             ;   in Loop: Header=BB4_2209 Depth=3
	s_delay_alu instid0(VALU_DEP_2) | instskip(SKIP_2) | instid1(VALU_DEP_2)
	v_cmp_lt_u32_e32 vcc_lo, 0xffffff, v167
	v_sub_nc_u32_e32 v19, v176, v177
	v_cndmask_b32_e64 v176, 0, 1, vcc_lo
	v_add_co_ci_u32_e32 v19, vcc_lo, 0, v19, vcc_lo
	s_delay_alu instid0(VALU_DEP_2)
	v_lshrrev_b32_e32 v167, v176, v167
; %bb.2461:                             ;   in Loop: Header=BB4_2209 Depth=3
	s_and_not1_saveexec_b32 s13, s13
; %bb.2462:                             ;   in Loop: Header=BB4_2209 Depth=3
	s_delay_alu instid0(VALU_DEP_1)
	v_bfe_u32 v19, v167, 23, 1
; %bb.2463:                             ;   in Loop: Header=BB4_2209 Depth=3
	s_or_b32 exec_lo, exec_lo, s13
	v_lshrrev_b32_e32 v167, 20, v167
	s_delay_alu instid0(VALU_DEP_2) | instskip(SKIP_2) | instid1(VALU_DEP_2)
	v_cmp_gt_i32_e32 vcc_lo, 16, v19
	v_min_i32_e32 v176, 15, v19
	v_lshrrev_b32_e32 v23, 24, v23
	v_dual_cndmask_b32 v167, 7, v167 :: v_dual_lshlrev_b32 v176, 3, v176
	s_delay_alu instid0(VALU_DEP_2) | instskip(NEXT) | instid1(VALU_DEP_2)
	v_and_b32_e32 v23, 0x80, v23
	v_or_b32_e32 v19, v19, v167
	v_and_b32_e32 v177, 7, v167
	s_delay_alu instid0(VALU_DEP_2) | instskip(SKIP_1) | instid1(VALU_DEP_1)
	v_cmp_ne_u32_e32 vcc_lo, 0, v19
	v_and_b32_e32 v176, 0xf8, v176
	v_or3_b32 v23, v23, v176, v177
	s_delay_alu instid0(VALU_DEP_1) | instskip(NEXT) | instid1(VALU_DEP_1)
	v_lshlrev_b32_e32 v23, 8, v23
	v_cndmask_b32_e32 v19, 0, v23, vcc_lo
.LBB4_2464:                             ;   in Loop: Header=BB4_2209 Depth=3
	s_or_b32 exec_lo, exec_lo, s17
.LBB4_2465:                             ;   in Loop: Header=BB4_2209 Depth=3
	s_delay_alu instid0(SALU_CYCLE_1) | instskip(SKIP_3) | instid1(VALU_DEP_1)
	s_or_b32 exec_lo, exec_lo, s16
	v_and_b32_e32 v167, 0xff, v12
	s_mov_b32 s13, 0
	s_mov_b32 s17, exec_lo
                                        ; implicit-def: $sgpr16
	v_cmpx_lt_i16_e64 0x7f, v167
	s_xor_b32 s17, exec_lo, s17
	s_cbranch_execnz .LBB4_2847
; %bb.2466:                             ;   in Loop: Header=BB4_2209 Depth=3
	s_or_saveexec_b32 s17, s17
	v_mov_b32_e32 v23, s16
	s_xor_b32 exec_lo, exec_lo, s17
	s_cbranch_execnz .LBB4_2850
.LBB4_2467:                             ;   in Loop: Header=BB4_2209 Depth=3
	s_or_b32 exec_lo, exec_lo, s17
	s_and_saveexec_b32 s16, s13
	s_cbranch_execz .LBB4_2469
.LBB4_2468:                             ;   in Loop: Header=BB4_2209 Depth=3
	v_and_b32_e32 v23, 7, v12
	v_bfe_u32 v177, v12, 3, 4
	v_lshlrev_b32_e32 v178, 24, v12
	s_delay_alu instid0(VALU_DEP_3) | instskip(NEXT) | instid1(VALU_DEP_3)
	v_clz_i32_u32_e32 v167, v23
	v_cmp_eq_u32_e32 vcc_lo, 0, v177
	s_delay_alu instid0(VALU_DEP_2) | instskip(NEXT) | instid1(VALU_DEP_1)
	v_min_u32_e32 v167, 32, v167
	v_subrev_nc_u32_e32 v176, 28, v167
	v_sub_nc_u32_e32 v167, 29, v167
	s_delay_alu instid0(VALU_DEP_1) | instskip(NEXT) | instid1(VALU_DEP_1)
	v_dual_cndmask_b32 v167, v177, v167 :: v_dual_lshlrev_b32 v176, v176, v12
	v_and_b32_e32 v176, 7, v176
	s_delay_alu instid0(VALU_DEP_2) | instskip(NEXT) | instid1(VALU_DEP_2)
	v_lshl_add_u32 v167, v167, 23, 0x3b800000
	v_dual_cndmask_b32 v23, v23, v176 :: v_dual_and_b32 v176, 0x80000000, v178
	s_delay_alu instid0(VALU_DEP_1) | instskip(NEXT) | instid1(VALU_DEP_1)
	v_lshlrev_b32_e32 v23, 20, v23
	v_or3_b32 v23, v176, v167, v23
.LBB4_2469:                             ;   in Loop: Header=BB4_2209 Depth=3
	s_or_b32 exec_lo, exec_lo, s16
	s_waitcnt vmcnt(0)
	v_and_b32_e32 v176, 0xff, v8
	s_mov_b32 s13, 0
	s_mov_b32 s17, exec_lo
                                        ; implicit-def: $sgpr16
	s_delay_alu instid0(VALU_DEP_1)
	v_cmpx_lt_i16_e64 0x7f, v176
	s_xor_b32 s17, exec_lo, s17
	s_cbranch_execnz .LBB4_2851
; %bb.2470:                             ;   in Loop: Header=BB4_2209 Depth=3
	s_or_saveexec_b32 s17, s17
	v_mov_b32_e32 v167, s16
	s_xor_b32 exec_lo, exec_lo, s17
	s_cbranch_execnz .LBB4_2854
.LBB4_2471:                             ;   in Loop: Header=BB4_2209 Depth=3
	s_or_b32 exec_lo, exec_lo, s17
	s_and_saveexec_b32 s16, s13
	s_cbranch_execz .LBB4_2473
.LBB4_2472:                             ;   in Loop: Header=BB4_2209 Depth=3
	v_and_b32_e32 v167, 7, v8
	v_bfe_u32 v178, v8, 3, 4
	v_lshlrev_b32_e32 v179, 24, v8
	s_delay_alu instid0(VALU_DEP_3) | instskip(NEXT) | instid1(VALU_DEP_3)
	v_clz_i32_u32_e32 v176, v167
	v_cmp_eq_u32_e32 vcc_lo, 0, v178
	s_delay_alu instid0(VALU_DEP_2) | instskip(NEXT) | instid1(VALU_DEP_1)
	v_min_u32_e32 v176, 32, v176
	v_subrev_nc_u32_e32 v177, 28, v176
	v_sub_nc_u32_e32 v176, 29, v176
	s_delay_alu instid0(VALU_DEP_2) | instskip(NEXT) | instid1(VALU_DEP_1)
	v_lshlrev_b32_e32 v177, v177, v8
	v_dual_cndmask_b32 v176, v178, v176 :: v_dual_and_b32 v177, 7, v177
	s_delay_alu instid0(VALU_DEP_1) | instskip(NEXT) | instid1(VALU_DEP_2)
	v_lshl_add_u32 v176, v176, 23, 0x3b800000
	v_cndmask_b32_e32 v167, v167, v177, vcc_lo
	v_and_b32_e32 v177, 0x80000000, v179
	s_delay_alu instid0(VALU_DEP_2) | instskip(NEXT) | instid1(VALU_DEP_1)
	v_lshlrev_b32_e32 v167, 20, v167
	v_or3_b32 v167, v177, v176, v167
.LBB4_2473:                             ;   in Loop: Header=BB4_2209 Depth=3
	s_or_b32 exec_lo, exec_lo, s16
	s_delay_alu instid0(VALU_DEP_1) | instskip(NEXT) | instid1(VALU_DEP_1)
	v_add_f32_e32 v167, v23, v167
	v_and_b32_e32 v23, 0x7f800000, v167
	s_delay_alu instid0(VALU_DEP_1)
	v_cmp_ne_u32_e32 vcc_lo, 0x7f800000, v23
	v_mov_b32_e32 v23, 0x80
	s_and_saveexec_b32 s16, vcc_lo
	s_cbranch_execz .LBB4_2481
; %bb.2474:                             ;   in Loop: Header=BB4_2209 Depth=3
	v_mov_b32_e32 v23, 0
	s_mov_b32 s17, exec_lo
	v_cmpx_ne_u32_e32 0, v167
	s_cbranch_execz .LBB4_2480
; %bb.2475:                             ;   in Loop: Header=BB4_2209 Depth=3
	v_bfe_u32 v23, v167, 23, 8
	s_delay_alu instid0(VALU_DEP_1) | instskip(SKIP_1) | instid1(VALU_DEP_2)
	v_sub_nc_u32_e32 v177, 0x78, v23
	v_cmp_gt_u32_e32 vcc_lo, 0x79, v23
	v_dual_cndmask_b32 v177, 0, v177 :: v_dual_and_b32 v176, 0x7fffff, v167
	s_delay_alu instid0(VALU_DEP_1) | instskip(SKIP_2) | instid1(VALU_DEP_4)
	v_or_b32_e32 v178, 0x800000, v176
	v_cmp_eq_u32_e32 vcc_lo, 0, v23
	v_add_nc_u32_e32 v23, 0xffffff89, v23
	v_cndmask_b32_e64 v177, v177, 0x77, vcc_lo
	s_delay_alu instid0(VALU_DEP_4) | instskip(NEXT) | instid1(VALU_DEP_3)
	v_cndmask_b32_e32 v176, v178, v176, vcc_lo
	v_cndmask_b32_e64 v23, v23, 0xffffff8a, vcc_lo
	s_delay_alu instid0(VALU_DEP_3) | instskip(NEXT) | instid1(VALU_DEP_3)
	v_lshl_add_u32 v178, 0x100000, v177, -1
	v_lshrrev_b32_e32 v179, v177, v176
	v_lshlrev_b32_e64 v181, v177, 0x80000
	s_delay_alu instid0(VALU_DEP_4) | instskip(NEXT) | instid1(VALU_DEP_4)
	v_add_nc_u32_e32 v177, v177, v23
	v_and_b32_e32 v176, v178, v176
	s_delay_alu instid0(VALU_DEP_4) | instskip(NEXT) | instid1(VALU_DEP_2)
	v_bfe_u32 v180, v179, 20, 1
	v_cmp_eq_u32_e64 s13, v176, v181
	s_delay_alu instid0(VALU_DEP_2) | instskip(NEXT) | instid1(VALU_DEP_1)
	v_add_nc_u32_e32 v178, -1, v180
	v_cndmask_b32_e64 v176, 0, v178, s13
	v_lshrrev_b32_e32 v178, 23, v179
	s_mov_b32 s13, exec_lo
	s_delay_alu instid0(VALU_DEP_2) | instskip(NEXT) | instid1(VALU_DEP_2)
	v_add_nc_u32_e32 v176, v176, v179
	v_xor_b32_e32 v178, 1, v178
	s_delay_alu instid0(VALU_DEP_2) | instskip(NEXT) | instid1(VALU_DEP_1)
	v_and_b32_e32 v23, 0xfffff, v176
	v_add_nc_u32_e32 v176, v23, v179
                                        ; implicit-def: $vgpr23
	s_delay_alu instid0(VALU_DEP_3)
	v_cmpx_ne_u32_e64 v177, v178
	s_xor_b32 s13, exec_lo, s13
; %bb.2476:                             ;   in Loop: Header=BB4_2209 Depth=3
	s_delay_alu instid0(VALU_DEP_2) | instskip(SKIP_2) | instid1(VALU_DEP_2)
	v_cmp_lt_u32_e32 vcc_lo, 0xffffff, v176
	v_sub_nc_u32_e32 v23, v177, v178
	v_cndmask_b32_e64 v177, 0, 1, vcc_lo
	v_add_co_ci_u32_e32 v23, vcc_lo, 0, v23, vcc_lo
	s_delay_alu instid0(VALU_DEP_2)
	v_lshrrev_b32_e32 v176, v177, v176
; %bb.2477:                             ;   in Loop: Header=BB4_2209 Depth=3
	s_and_not1_saveexec_b32 s13, s13
; %bb.2478:                             ;   in Loop: Header=BB4_2209 Depth=3
	s_delay_alu instid0(VALU_DEP_1)
	v_bfe_u32 v23, v176, 23, 1
; %bb.2479:                             ;   in Loop: Header=BB4_2209 Depth=3
	s_or_b32 exec_lo, exec_lo, s13
	v_lshrrev_b32_e32 v176, 20, v176
	s_delay_alu instid0(VALU_DEP_2) | instskip(SKIP_2) | instid1(VALU_DEP_2)
	v_cmp_gt_i32_e32 vcc_lo, 16, v23
	v_lshrrev_b32_e32 v167, 24, v167
	v_min_i32_e32 v177, 15, v23
	v_dual_cndmask_b32 v176, 7, v176 :: v_dual_and_b32 v167, 0x80, v167
	s_delay_alu instid0(VALU_DEP_2) | instskip(NEXT) | instid1(VALU_DEP_2)
	v_lshlrev_b32_e32 v177, 3, v177
	v_or_b32_e32 v23, v23, v176
	s_delay_alu instid0(VALU_DEP_1) | instskip(SKIP_1) | instid1(VALU_DEP_1)
	v_cmp_ne_u32_e32 vcc_lo, 0, v23
	v_and_b32_e32 v178, 7, v176
	v_or3_b32 v167, v177, v167, v178
	s_delay_alu instid0(VALU_DEP_1)
	v_cndmask_b32_e32 v23, 0, v167, vcc_lo
.LBB4_2480:                             ;   in Loop: Header=BB4_2209 Depth=3
	s_or_b32 exec_lo, exec_lo, s17
.LBB4_2481:                             ;   in Loop: Header=BB4_2209 Depth=3
	s_delay_alu instid0(SALU_CYCLE_1) | instskip(SKIP_3) | instid1(VALU_DEP_1)
	s_or_b32 exec_lo, exec_lo, s16
	v_lshrrev_b16 v176, 8, v12
	s_mov_b32 s13, 0
	s_mov_b32 s17, exec_lo
                                        ; implicit-def: $sgpr16
	v_cmpx_lt_i16_e64 0x7f, v176
	s_xor_b32 s17, exec_lo, s17
	s_cbranch_execnz .LBB4_2855
; %bb.2482:                             ;   in Loop: Header=BB4_2209 Depth=3
	s_or_saveexec_b32 s17, s17
	v_mov_b32_e32 v167, s16
	s_xor_b32 exec_lo, exec_lo, s17
	s_cbranch_execnz .LBB4_2858
.LBB4_2483:                             ;   in Loop: Header=BB4_2209 Depth=3
	s_or_b32 exec_lo, exec_lo, s17
	s_and_saveexec_b32 s16, s13
	s_cbranch_execz .LBB4_2485
.LBB4_2484:                             ;   in Loop: Header=BB4_2209 Depth=3
	v_and_b32_e32 v167, 0xffff, v176
	s_delay_alu instid0(VALU_DEP_1) | instskip(NEXT) | instid1(VALU_DEP_1)
	v_and_b32_e32 v177, 7, v167
	v_clz_i32_u32_e32 v178, v177
	s_delay_alu instid0(VALU_DEP_1) | instskip(NEXT) | instid1(VALU_DEP_1)
	v_min_u32_e32 v178, 32, v178
	v_subrev_nc_u32_e32 v179, 28, v178
	v_sub_nc_u32_e32 v178, 29, v178
	s_delay_alu instid0(VALU_DEP_2) | instskip(SKIP_1) | instid1(VALU_DEP_2)
	v_lshlrev_b32_e32 v179, v179, v167
	v_bfe_u32 v167, v167, 3, 4
	v_and_b32_e32 v179, 7, v179
	s_delay_alu instid0(VALU_DEP_2) | instskip(SKIP_1) | instid1(VALU_DEP_1)
	v_cmp_eq_u32_e32 vcc_lo, 0, v167
	v_dual_cndmask_b32 v167, v167, v178 :: v_dual_lshlrev_b32 v176, 24, v176
	v_dual_cndmask_b32 v177, v177, v179 :: v_dual_and_b32 v176, 0x80000000, v176
	s_delay_alu instid0(VALU_DEP_2) | instskip(NEXT) | instid1(VALU_DEP_2)
	v_lshl_add_u32 v167, v167, 23, 0x3b800000
	v_lshlrev_b32_e32 v177, 20, v177
	s_delay_alu instid0(VALU_DEP_1)
	v_or3_b32 v167, v176, v167, v177
.LBB4_2485:                             ;   in Loop: Header=BB4_2209 Depth=3
	s_or_b32 exec_lo, exec_lo, s16
	v_lshrrev_b16 v176, 8, v8
	s_mov_b32 s13, 0
	s_mov_b32 s17, exec_lo
                                        ; implicit-def: $sgpr16
	s_delay_alu instid0(VALU_DEP_1)
	v_cmpx_lt_i16_e64 0x7f, v176
	s_xor_b32 s17, exec_lo, s17
	s_cbranch_execnz .LBB4_2859
; %bb.2486:                             ;   in Loop: Header=BB4_2209 Depth=3
	s_or_saveexec_b32 s17, s17
	v_mov_b32_e32 v177, s16
	s_xor_b32 exec_lo, exec_lo, s17
	s_cbranch_execnz .LBB4_2862
.LBB4_2487:                             ;   in Loop: Header=BB4_2209 Depth=3
	s_or_b32 exec_lo, exec_lo, s17
	s_and_saveexec_b32 s16, s13
	s_cbranch_execz .LBB4_2489
.LBB4_2488:                             ;   in Loop: Header=BB4_2209 Depth=3
	v_and_b32_e32 v177, 0xffff, v176
	v_lshlrev_b32_e32 v176, 24, v176
	s_delay_alu instid0(VALU_DEP_2) | instskip(NEXT) | instid1(VALU_DEP_2)
	v_and_b32_e32 v178, 7, v177
	v_and_b32_e32 v176, 0x80000000, v176
	s_delay_alu instid0(VALU_DEP_2) | instskip(NEXT) | instid1(VALU_DEP_1)
	v_clz_i32_u32_e32 v179, v178
	v_min_u32_e32 v179, 32, v179
	s_delay_alu instid0(VALU_DEP_1) | instskip(SKIP_1) | instid1(VALU_DEP_2)
	v_subrev_nc_u32_e32 v180, 28, v179
	v_sub_nc_u32_e32 v179, 29, v179
	v_lshlrev_b32_e32 v180, v180, v177
	v_bfe_u32 v177, v177, 3, 4
	s_delay_alu instid0(VALU_DEP_2) | instskip(NEXT) | instid1(VALU_DEP_2)
	v_and_b32_e32 v180, 7, v180
	v_cmp_eq_u32_e32 vcc_lo, 0, v177
	s_delay_alu instid0(VALU_DEP_2) | instskip(NEXT) | instid1(VALU_DEP_1)
	v_dual_cndmask_b32 v177, v177, v179 :: v_dual_cndmask_b32 v178, v178, v180
	v_lshl_add_u32 v177, v177, 23, 0x3b800000
	s_delay_alu instid0(VALU_DEP_2) | instskip(NEXT) | instid1(VALU_DEP_1)
	v_lshlrev_b32_e32 v178, 20, v178
	v_or3_b32 v177, v176, v177, v178
.LBB4_2489:                             ;   in Loop: Header=BB4_2209 Depth=3
	s_or_b32 exec_lo, exec_lo, s16
	s_delay_alu instid0(VALU_DEP_1) | instskip(NEXT) | instid1(VALU_DEP_1)
	v_add_f32_e32 v176, v167, v177
	v_and_b32_e32 v167, 0x7f800000, v176
	s_delay_alu instid0(VALU_DEP_1)
	v_cmp_ne_u32_e32 vcc_lo, 0x7f800000, v167
	v_mov_b32_e32 v167, 0x80
	s_and_saveexec_b32 s16, vcc_lo
	s_cbranch_execz .LBB4_2497
; %bb.2490:                             ;   in Loop: Header=BB4_2209 Depth=3
	v_mov_b32_e32 v167, 0
	s_mov_b32 s17, exec_lo
	v_cmpx_ne_u32_e32 0, v176
	s_cbranch_execz .LBB4_2496
; %bb.2491:                             ;   in Loop: Header=BB4_2209 Depth=3
	v_bfe_u32 v167, v176, 23, 8
	s_delay_alu instid0(VALU_DEP_1) | instskip(SKIP_1) | instid1(VALU_DEP_2)
	v_sub_nc_u32_e32 v178, 0x78, v167
	v_cmp_gt_u32_e32 vcc_lo, 0x79, v167
	v_dual_cndmask_b32 v178, 0, v178 :: v_dual_and_b32 v177, 0x7fffff, v176
	s_delay_alu instid0(VALU_DEP_1) | instskip(SKIP_2) | instid1(VALU_DEP_4)
	v_or_b32_e32 v179, 0x800000, v177
	v_cmp_eq_u32_e32 vcc_lo, 0, v167
	v_add_nc_u32_e32 v167, 0xffffff89, v167
	v_cndmask_b32_e64 v178, v178, 0x77, vcc_lo
	s_delay_alu instid0(VALU_DEP_2) | instskip(SKIP_1) | instid1(VALU_DEP_3)
	v_cndmask_b32_e64 v167, v167, 0xffffff8a, vcc_lo
	v_cndmask_b32_e32 v177, v179, v177, vcc_lo
	v_lshl_add_u32 v179, 0x100000, v178, -1
	v_lshlrev_b32_e64 v182, v178, 0x80000
	s_delay_alu instid0(VALU_DEP_3) | instskip(SKIP_1) | instid1(VALU_DEP_4)
	v_lshrrev_b32_e32 v180, v178, v177
	v_add_nc_u32_e32 v178, v178, v167
	v_and_b32_e32 v177, v179, v177
	s_delay_alu instid0(VALU_DEP_3) | instskip(NEXT) | instid1(VALU_DEP_2)
	v_bfe_u32 v181, v180, 20, 1
	v_cmp_eq_u32_e64 s13, v177, v182
	s_delay_alu instid0(VALU_DEP_2) | instskip(NEXT) | instid1(VALU_DEP_1)
	v_add_nc_u32_e32 v179, -1, v181
	v_cndmask_b32_e64 v177, 0, v179, s13
	v_lshrrev_b32_e32 v179, 23, v180
	s_mov_b32 s13, exec_lo
	s_delay_alu instid0(VALU_DEP_2) | instskip(NEXT) | instid1(VALU_DEP_2)
	v_add_nc_u32_e32 v177, v177, v180
	v_xor_b32_e32 v179, 1, v179
	s_delay_alu instid0(VALU_DEP_2) | instskip(NEXT) | instid1(VALU_DEP_1)
	v_and_b32_e32 v167, 0xfffff, v177
	v_add_nc_u32_e32 v177, v167, v180
                                        ; implicit-def: $vgpr167
	s_delay_alu instid0(VALU_DEP_3)
	v_cmpx_ne_u32_e64 v178, v179
	s_xor_b32 s13, exec_lo, s13
; %bb.2492:                             ;   in Loop: Header=BB4_2209 Depth=3
	s_delay_alu instid0(VALU_DEP_2) | instskip(SKIP_2) | instid1(VALU_DEP_2)
	v_cmp_lt_u32_e32 vcc_lo, 0xffffff, v177
	v_sub_nc_u32_e32 v167, v178, v179
	v_cndmask_b32_e64 v178, 0, 1, vcc_lo
	v_add_co_ci_u32_e32 v167, vcc_lo, 0, v167, vcc_lo
	s_delay_alu instid0(VALU_DEP_2)
	v_lshrrev_b32_e32 v177, v178, v177
; %bb.2493:                             ;   in Loop: Header=BB4_2209 Depth=3
	s_and_not1_saveexec_b32 s13, s13
; %bb.2494:                             ;   in Loop: Header=BB4_2209 Depth=3
	s_delay_alu instid0(VALU_DEP_1)
	v_bfe_u32 v167, v177, 23, 1
; %bb.2495:                             ;   in Loop: Header=BB4_2209 Depth=3
	s_or_b32 exec_lo, exec_lo, s13
	v_lshrrev_b32_e32 v177, 20, v177
	s_delay_alu instid0(VALU_DEP_2) | instskip(SKIP_2) | instid1(VALU_DEP_2)
	v_cmp_gt_i32_e32 vcc_lo, 16, v167
	v_lshrrev_b32_e32 v176, 24, v176
	v_min_i32_e32 v178, 15, v167
	v_dual_cndmask_b32 v177, 7, v177 :: v_dual_and_b32 v176, 0x80, v176
	s_delay_alu instid0(VALU_DEP_1) | instskip(SKIP_1) | instid1(VALU_DEP_2)
	v_or_b32_e32 v167, v167, v177
	v_and_b32_e32 v179, 7, v177
	v_cmp_ne_u32_e32 vcc_lo, 0, v167
	v_lshlrev_b32_e32 v178, 3, v178
	s_delay_alu instid0(VALU_DEP_1) | instskip(NEXT) | instid1(VALU_DEP_1)
	v_or3_b32 v176, v178, v176, v179
	v_cndmask_b32_e32 v167, 0, v176, vcc_lo
.LBB4_2496:                             ;   in Loop: Header=BB4_2209 Depth=3
	s_or_b32 exec_lo, exec_lo, s17
.LBB4_2497:                             ;   in Loop: Header=BB4_2209 Depth=3
	s_delay_alu instid0(SALU_CYCLE_1) | instskip(SKIP_3) | instid1(VALU_DEP_1)
	s_or_b32 exec_lo, exec_lo, s16
	v_lshrrev_b32_e32 v177, 16, v12
	s_mov_b32 s13, 0
	s_mov_b32 s17, exec_lo
                                        ; implicit-def: $sgpr16
	v_and_b32_e32 v178, 0xff, v177
	s_delay_alu instid0(VALU_DEP_1)
	v_cmpx_lt_i16_e64 0x7f, v178
	s_xor_b32 s17, exec_lo, s17
	s_cbranch_execnz .LBB4_2863
; %bb.2498:                             ;   in Loop: Header=BB4_2209 Depth=3
	s_or_saveexec_b32 s17, s17
	v_mov_b32_e32 v176, s16
	s_xor_b32 exec_lo, exec_lo, s17
	s_cbranch_execnz .LBB4_2866
.LBB4_2499:                             ;   in Loop: Header=BB4_2209 Depth=3
	s_or_b32 exec_lo, exec_lo, s17
	s_and_saveexec_b32 s16, s13
	s_cbranch_execz .LBB4_2501
.LBB4_2500:                             ;   in Loop: Header=BB4_2209 Depth=3
	v_bfe_u32 v176, v12, 16, 3
	v_lshlrev_b32_e32 v180, 8, v12
	s_delay_alu instid0(VALU_DEP_2) | instskip(NEXT) | instid1(VALU_DEP_1)
	v_clz_i32_u32_e32 v178, v176
	v_min_u32_e32 v178, 32, v178
	s_delay_alu instid0(VALU_DEP_1) | instskip(SKIP_1) | instid1(VALU_DEP_2)
	v_subrev_nc_u32_e32 v179, 28, v178
	v_sub_nc_u32_e32 v178, 29, v178
	v_lshlrev_b32_e32 v177, v179, v177
	v_bfe_u32 v179, v12, 19, 4
	s_delay_alu instid0(VALU_DEP_1) | instskip(NEXT) | instid1(VALU_DEP_3)
	v_cmp_eq_u32_e32 vcc_lo, 0, v179
	v_dual_cndmask_b32 v178, v179, v178 :: v_dual_and_b32 v177, 7, v177
	s_delay_alu instid0(VALU_DEP_1) | instskip(NEXT) | instid1(VALU_DEP_2)
	v_dual_cndmask_b32 v176, v176, v177 :: v_dual_and_b32 v177, 0x80000000, v180
	v_lshl_add_u32 v178, v178, 23, 0x3b800000
	s_delay_alu instid0(VALU_DEP_2) | instskip(NEXT) | instid1(VALU_DEP_1)
	v_lshlrev_b32_e32 v176, 20, v176
	v_or3_b32 v176, v177, v178, v176
.LBB4_2501:                             ;   in Loop: Header=BB4_2209 Depth=3
	s_or_b32 exec_lo, exec_lo, s16
	v_lshrrev_b32_e32 v177, 16, v8
	s_mov_b32 s13, 0
	s_mov_b32 s17, exec_lo
                                        ; implicit-def: $sgpr16
	s_delay_alu instid0(VALU_DEP_1) | instskip(NEXT) | instid1(VALU_DEP_1)
	v_and_b32_e32 v179, 0xff, v177
	v_cmpx_lt_i16_e64 0x7f, v179
	s_xor_b32 s17, exec_lo, s17
	s_cbranch_execnz .LBB4_2867
; %bb.2502:                             ;   in Loop: Header=BB4_2209 Depth=3
	s_or_saveexec_b32 s17, s17
	v_mov_b32_e32 v178, s16
	s_xor_b32 exec_lo, exec_lo, s17
	s_cbranch_execnz .LBB4_2870
.LBB4_2503:                             ;   in Loop: Header=BB4_2209 Depth=3
	s_or_b32 exec_lo, exec_lo, s17
	s_and_saveexec_b32 s16, s13
	s_cbranch_execz .LBB4_2505
.LBB4_2504:                             ;   in Loop: Header=BB4_2209 Depth=3
	v_bfe_u32 v178, v8, 16, 3
	v_lshlrev_b32_e32 v181, 8, v8
	s_delay_alu instid0(VALU_DEP_2) | instskip(NEXT) | instid1(VALU_DEP_1)
	v_clz_i32_u32_e32 v179, v178
	v_min_u32_e32 v179, 32, v179
	s_delay_alu instid0(VALU_DEP_1) | instskip(SKIP_1) | instid1(VALU_DEP_2)
	v_subrev_nc_u32_e32 v180, 28, v179
	v_sub_nc_u32_e32 v179, 29, v179
	v_lshlrev_b32_e32 v177, v180, v177
	v_bfe_u32 v180, v8, 19, 4
	s_delay_alu instid0(VALU_DEP_2) | instskip(NEXT) | instid1(VALU_DEP_2)
	v_and_b32_e32 v177, 7, v177
	v_cmp_eq_u32_e32 vcc_lo, 0, v180
	v_cndmask_b32_e32 v179, v180, v179, vcc_lo
	s_delay_alu instid0(VALU_DEP_3) | instskip(SKIP_1) | instid1(VALU_DEP_3)
	v_cndmask_b32_e32 v177, v178, v177, vcc_lo
	v_and_b32_e32 v178, 0x80000000, v181
	v_lshl_add_u32 v179, v179, 23, 0x3b800000
	s_delay_alu instid0(VALU_DEP_3) | instskip(NEXT) | instid1(VALU_DEP_1)
	v_lshlrev_b32_e32 v177, 20, v177
	v_or3_b32 v178, v178, v179, v177
.LBB4_2505:                             ;   in Loop: Header=BB4_2209 Depth=3
	s_or_b32 exec_lo, exec_lo, s16
	s_delay_alu instid0(VALU_DEP_1) | instskip(NEXT) | instid1(VALU_DEP_1)
	v_add_f32_e32 v177, v176, v178
	v_and_b32_e32 v176, 0x7f800000, v177
	s_delay_alu instid0(VALU_DEP_1)
	v_cmp_ne_u32_e32 vcc_lo, 0x7f800000, v176
	v_mov_b32_e32 v176, 0x80
	s_and_saveexec_b32 s16, vcc_lo
	s_cbranch_execz .LBB4_2513
; %bb.2506:                             ;   in Loop: Header=BB4_2209 Depth=3
	v_mov_b32_e32 v176, 0
	s_mov_b32 s17, exec_lo
	v_cmpx_ne_u32_e32 0, v177
	s_cbranch_execz .LBB4_2512
; %bb.2507:                             ;   in Loop: Header=BB4_2209 Depth=3
	v_bfe_u32 v176, v177, 23, 8
	s_delay_alu instid0(VALU_DEP_1) | instskip(SKIP_1) | instid1(VALU_DEP_2)
	v_sub_nc_u32_e32 v179, 0x78, v176
	v_cmp_gt_u32_e32 vcc_lo, 0x79, v176
	v_dual_cndmask_b32 v179, 0, v179 :: v_dual_and_b32 v178, 0x7fffff, v177
	s_delay_alu instid0(VALU_DEP_1) | instskip(SKIP_2) | instid1(VALU_DEP_4)
	v_or_b32_e32 v180, 0x800000, v178
	v_cmp_eq_u32_e32 vcc_lo, 0, v176
	v_add_nc_u32_e32 v176, 0xffffff89, v176
	v_cndmask_b32_e64 v179, v179, 0x77, vcc_lo
	s_delay_alu instid0(VALU_DEP_2) | instskip(SKIP_1) | instid1(VALU_DEP_3)
	v_cndmask_b32_e64 v176, v176, 0xffffff8a, vcc_lo
	v_cndmask_b32_e32 v178, v180, v178, vcc_lo
	v_lshl_add_u32 v180, 0x100000, v179, -1
	v_lshlrev_b32_e64 v183, v179, 0x80000
	s_delay_alu instid0(VALU_DEP_3) | instskip(SKIP_1) | instid1(VALU_DEP_4)
	v_lshrrev_b32_e32 v181, v179, v178
	v_add_nc_u32_e32 v179, v179, v176
	v_and_b32_e32 v178, v180, v178
	s_delay_alu instid0(VALU_DEP_3) | instskip(NEXT) | instid1(VALU_DEP_2)
	v_bfe_u32 v182, v181, 20, 1
	v_cmp_eq_u32_e64 s13, v178, v183
	s_delay_alu instid0(VALU_DEP_2) | instskip(NEXT) | instid1(VALU_DEP_1)
	v_add_nc_u32_e32 v180, -1, v182
	v_cndmask_b32_e64 v178, 0, v180, s13
	v_lshrrev_b32_e32 v180, 23, v181
	s_mov_b32 s13, exec_lo
	s_delay_alu instid0(VALU_DEP_2) | instskip(NEXT) | instid1(VALU_DEP_2)
	v_add_nc_u32_e32 v178, v178, v181
	v_xor_b32_e32 v180, 1, v180
	s_delay_alu instid0(VALU_DEP_2) | instskip(NEXT) | instid1(VALU_DEP_1)
	v_and_b32_e32 v176, 0xfffff, v178
	v_add_nc_u32_e32 v178, v176, v181
                                        ; implicit-def: $vgpr176
	s_delay_alu instid0(VALU_DEP_3)
	v_cmpx_ne_u32_e64 v179, v180
	s_xor_b32 s13, exec_lo, s13
; %bb.2508:                             ;   in Loop: Header=BB4_2209 Depth=3
	s_delay_alu instid0(VALU_DEP_2) | instskip(SKIP_2) | instid1(VALU_DEP_2)
	v_cmp_lt_u32_e32 vcc_lo, 0xffffff, v178
	v_sub_nc_u32_e32 v176, v179, v180
	v_cndmask_b32_e64 v179, 0, 1, vcc_lo
	v_add_co_ci_u32_e32 v176, vcc_lo, 0, v176, vcc_lo
	s_delay_alu instid0(VALU_DEP_2)
	v_lshrrev_b32_e32 v178, v179, v178
; %bb.2509:                             ;   in Loop: Header=BB4_2209 Depth=3
	s_and_not1_saveexec_b32 s13, s13
; %bb.2510:                             ;   in Loop: Header=BB4_2209 Depth=3
	s_delay_alu instid0(VALU_DEP_1)
	v_bfe_u32 v176, v178, 23, 1
; %bb.2511:                             ;   in Loop: Header=BB4_2209 Depth=3
	s_or_b32 exec_lo, exec_lo, s13
	v_lshrrev_b32_e32 v178, 20, v178
	s_delay_alu instid0(VALU_DEP_2) | instskip(SKIP_2) | instid1(VALU_DEP_2)
	v_cmp_gt_i32_e32 vcc_lo, 16, v176
	v_lshrrev_b32_e32 v177, 24, v177
	v_min_i32_e32 v179, 15, v176
	v_dual_cndmask_b32 v178, 7, v178 :: v_dual_and_b32 v177, 0x80, v177
	s_delay_alu instid0(VALU_DEP_1) | instskip(SKIP_1) | instid1(VALU_DEP_2)
	v_or_b32_e32 v176, v176, v178
	v_and_b32_e32 v180, 7, v178
	v_cmp_ne_u32_e32 vcc_lo, 0, v176
	v_lshlrev_b32_e32 v179, 3, v179
	s_delay_alu instid0(VALU_DEP_1) | instskip(NEXT) | instid1(VALU_DEP_1)
	v_or3_b32 v177, v179, v177, v180
	v_cndmask_b32_e32 v176, 0, v177, vcc_lo
.LBB4_2512:                             ;   in Loop: Header=BB4_2209 Depth=3
	s_or_b32 exec_lo, exec_lo, s17
.LBB4_2513:                             ;   in Loop: Header=BB4_2209 Depth=3
	s_delay_alu instid0(SALU_CYCLE_1) | instskip(SKIP_3) | instid1(VALU_DEP_1)
	s_or_b32 exec_lo, exec_lo, s16
	v_lshrrev_b32_e32 v178, 24, v12
	s_mov_b32 s13, 0
	s_mov_b32 s17, exec_lo
                                        ; implicit-def: $sgpr16
	v_cmpx_lt_i16_e64 0x7f, v178
	s_xor_b32 s17, exec_lo, s17
	s_cbranch_execnz .LBB4_2871
; %bb.2514:                             ;   in Loop: Header=BB4_2209 Depth=3
	s_or_saveexec_b32 s17, s17
	v_mov_b32_e32 v177, s16
	s_xor_b32 exec_lo, exec_lo, s17
	s_cbranch_execnz .LBB4_2874
.LBB4_2515:                             ;   in Loop: Header=BB4_2209 Depth=3
	s_or_b32 exec_lo, exec_lo, s17
	s_and_saveexec_b32 s16, s13
	s_cbranch_execz .LBB4_2517
.LBB4_2516:                             ;   in Loop: Header=BB4_2209 Depth=3
	v_bfe_u32 v177, v12, 24, 3
	s_delay_alu instid0(VALU_DEP_1) | instskip(NEXT) | instid1(VALU_DEP_1)
	v_clz_i32_u32_e32 v179, v177
	v_min_u32_e32 v179, 32, v179
	s_delay_alu instid0(VALU_DEP_1) | instskip(SKIP_1) | instid1(VALU_DEP_2)
	v_subrev_nc_u32_e32 v180, 28, v179
	v_sub_nc_u32_e32 v179, 29, v179
	v_lshlrev_b32_e32 v178, v180, v178
	v_bfe_u32 v180, v12, 27, 4
	v_and_b32_e32 v12, 0x80000000, v12
	s_delay_alu instid0(VALU_DEP_2) | instskip(NEXT) | instid1(VALU_DEP_4)
	v_cmp_eq_u32_e32 vcc_lo, 0, v180
	v_dual_cndmask_b32 v179, v180, v179 :: v_dual_and_b32 v178, 7, v178
	s_delay_alu instid0(VALU_DEP_1) | instskip(NEXT) | instid1(VALU_DEP_2)
	v_cndmask_b32_e32 v177, v177, v178, vcc_lo
	v_lshl_add_u32 v178, v179, 23, 0x3b800000
	s_delay_alu instid0(VALU_DEP_2) | instskip(NEXT) | instid1(VALU_DEP_1)
	v_lshlrev_b32_e32 v177, 20, v177
	v_or3_b32 v177, v12, v178, v177
.LBB4_2517:                             ;   in Loop: Header=BB4_2209 Depth=3
	s_or_b32 exec_lo, exec_lo, s16
	v_lshrrev_b32_e32 v12, 24, v8
	s_mov_b32 s13, 0
	s_mov_b32 s17, exec_lo
                                        ; implicit-def: $sgpr16
	s_delay_alu instid0(VALU_DEP_1)
	v_cmpx_lt_i16_e32 0x7f, v12
	s_xor_b32 s17, exec_lo, s17
	s_cbranch_execnz .LBB4_2875
; %bb.2518:                             ;   in Loop: Header=BB4_2209 Depth=3
	s_or_saveexec_b32 s17, s17
	v_mov_b32_e32 v178, s16
	s_xor_b32 exec_lo, exec_lo, s17
	s_cbranch_execnz .LBB4_2878
.LBB4_2519:                             ;   in Loop: Header=BB4_2209 Depth=3
	s_or_b32 exec_lo, exec_lo, s17
	s_and_saveexec_b32 s16, s13
	s_cbranch_execz .LBB4_2521
.LBB4_2520:                             ;   in Loop: Header=BB4_2209 Depth=3
	v_bfe_u32 v178, v8, 24, 3
	s_delay_alu instid0(VALU_DEP_1) | instskip(NEXT) | instid1(VALU_DEP_1)
	v_clz_i32_u32_e32 v179, v178
	v_min_u32_e32 v179, 32, v179
	s_delay_alu instid0(VALU_DEP_1) | instskip(SKIP_1) | instid1(VALU_DEP_2)
	v_subrev_nc_u32_e32 v180, 28, v179
	v_sub_nc_u32_e32 v179, 29, v179
	v_lshlrev_b32_e32 v12, v180, v12
	v_bfe_u32 v180, v8, 27, 4
	v_and_b32_e32 v8, 0x80000000, v8
	s_delay_alu instid0(VALU_DEP_2) | instskip(NEXT) | instid1(VALU_DEP_4)
	v_cmp_eq_u32_e32 vcc_lo, 0, v180
	v_dual_cndmask_b32 v179, v180, v179 :: v_dual_and_b32 v12, 7, v12
	s_delay_alu instid0(VALU_DEP_1) | instskip(NEXT) | instid1(VALU_DEP_2)
	v_cndmask_b32_e32 v12, v178, v12, vcc_lo
	v_lshl_add_u32 v178, v179, 23, 0x3b800000
	s_delay_alu instid0(VALU_DEP_2) | instskip(NEXT) | instid1(VALU_DEP_1)
	v_lshlrev_b32_e32 v12, 20, v12
	v_or3_b32 v178, v8, v178, v12
.LBB4_2521:                             ;   in Loop: Header=BB4_2209 Depth=3
	s_or_b32 exec_lo, exec_lo, s16
	s_delay_alu instid0(VALU_DEP_1) | instskip(NEXT) | instid1(VALU_DEP_1)
	v_add_f32_e32 v12, v177, v178
	v_and_b32_e32 v8, 0x7f800000, v12
	s_delay_alu instid0(VALU_DEP_1)
	v_cmp_ne_u32_e32 vcc_lo, 0x7f800000, v8
	v_mov_b32_e32 v8, 0x80
	s_and_saveexec_b32 s16, vcc_lo
	s_cbranch_execz .LBB4_2529
; %bb.2522:                             ;   in Loop: Header=BB4_2209 Depth=3
	v_mov_b32_e32 v8, 0
	s_mov_b32 s17, exec_lo
	v_cmpx_ne_u32_e32 0, v12
	s_cbranch_execz .LBB4_2528
; %bb.2523:                             ;   in Loop: Header=BB4_2209 Depth=3
	v_bfe_u32 v8, v12, 23, 8
	s_delay_alu instid0(VALU_DEP_1) | instskip(SKIP_1) | instid1(VALU_DEP_2)
	v_sub_nc_u32_e32 v178, 0x78, v8
	v_cmp_gt_u32_e32 vcc_lo, 0x79, v8
	v_dual_cndmask_b32 v178, 0, v178 :: v_dual_and_b32 v177, 0x7fffff, v12
	s_delay_alu instid0(VALU_DEP_1) | instskip(SKIP_2) | instid1(VALU_DEP_4)
	v_or_b32_e32 v179, 0x800000, v177
	v_cmp_eq_u32_e32 vcc_lo, 0, v8
	v_add_nc_u32_e32 v8, 0xffffff89, v8
	v_cndmask_b32_e64 v178, v178, 0x77, vcc_lo
	s_delay_alu instid0(VALU_DEP_4) | instskip(NEXT) | instid1(VALU_DEP_3)
	v_cndmask_b32_e32 v177, v179, v177, vcc_lo
	v_cndmask_b32_e64 v8, v8, 0xffffff8a, vcc_lo
	s_delay_alu instid0(VALU_DEP_3) | instskip(NEXT) | instid1(VALU_DEP_3)
	v_lshl_add_u32 v179, 0x100000, v178, -1
	v_lshrrev_b32_e32 v180, v178, v177
	v_lshlrev_b32_e64 v182, v178, 0x80000
	s_delay_alu instid0(VALU_DEP_4) | instskip(NEXT) | instid1(VALU_DEP_4)
	v_add_nc_u32_e32 v178, v178, v8
	v_and_b32_e32 v177, v179, v177
	s_delay_alu instid0(VALU_DEP_4) | instskip(NEXT) | instid1(VALU_DEP_2)
	v_bfe_u32 v181, v180, 20, 1
	v_cmp_eq_u32_e64 s13, v177, v182
	s_delay_alu instid0(VALU_DEP_2) | instskip(NEXT) | instid1(VALU_DEP_1)
	v_add_nc_u32_e32 v179, -1, v181
	v_cndmask_b32_e64 v177, 0, v179, s13
	v_lshrrev_b32_e32 v179, 23, v180
	s_mov_b32 s13, exec_lo
	s_delay_alu instid0(VALU_DEP_2) | instskip(NEXT) | instid1(VALU_DEP_2)
	v_add_nc_u32_e32 v177, v177, v180
	v_xor_b32_e32 v179, 1, v179
	s_delay_alu instid0(VALU_DEP_2) | instskip(NEXT) | instid1(VALU_DEP_1)
	v_and_b32_e32 v8, 0xfffff, v177
	v_add_nc_u32_e32 v177, v8, v180
                                        ; implicit-def: $vgpr8
	s_delay_alu instid0(VALU_DEP_3)
	v_cmpx_ne_u32_e64 v178, v179
	s_xor_b32 s13, exec_lo, s13
; %bb.2524:                             ;   in Loop: Header=BB4_2209 Depth=3
	s_delay_alu instid0(VALU_DEP_2) | instskip(SKIP_2) | instid1(VALU_DEP_2)
	v_cmp_lt_u32_e32 vcc_lo, 0xffffff, v177
	v_sub_nc_u32_e32 v8, v178, v179
	v_cndmask_b32_e64 v178, 0, 1, vcc_lo
	v_add_co_ci_u32_e32 v8, vcc_lo, 0, v8, vcc_lo
	s_delay_alu instid0(VALU_DEP_2)
	v_lshrrev_b32_e32 v177, v178, v177
; %bb.2525:                             ;   in Loop: Header=BB4_2209 Depth=3
	s_and_not1_saveexec_b32 s13, s13
; %bb.2526:                             ;   in Loop: Header=BB4_2209 Depth=3
	s_delay_alu instid0(VALU_DEP_1)
	v_bfe_u32 v8, v177, 23, 1
; %bb.2527:                             ;   in Loop: Header=BB4_2209 Depth=3
	s_or_b32 exec_lo, exec_lo, s13
	v_lshrrev_b32_e32 v177, 20, v177
	s_delay_alu instid0(VALU_DEP_2) | instskip(SKIP_2) | instid1(VALU_DEP_2)
	v_cmp_gt_i32_e32 vcc_lo, 16, v8
	v_lshrrev_b32_e32 v12, 24, v12
	v_min_i32_e32 v178, 15, v8
	v_dual_cndmask_b32 v177, 7, v177 :: v_dual_and_b32 v12, 0x80, v12
	s_delay_alu instid0(VALU_DEP_2) | instskip(NEXT) | instid1(VALU_DEP_2)
	v_lshlrev_b32_e32 v178, 3, v178
	v_or_b32_e32 v8, v8, v177
	s_delay_alu instid0(VALU_DEP_1) | instskip(SKIP_1) | instid1(VALU_DEP_1)
	v_cmp_ne_u32_e32 vcc_lo, 0, v8
	v_and_b32_e32 v179, 7, v177
	v_or3_b32 v12, v178, v12, v179
	s_delay_alu instid0(VALU_DEP_1)
	v_cndmask_b32_e32 v8, 0, v12, vcc_lo
.LBB4_2528:                             ;   in Loop: Header=BB4_2209 Depth=3
	s_or_b32 exec_lo, exec_lo, s17
.LBB4_2529:                             ;   in Loop: Header=BB4_2209 Depth=3
	s_delay_alu instid0(SALU_CYCLE_1) | instskip(SKIP_3) | instid1(VALU_DEP_1)
	s_or_b32 exec_lo, exec_lo, s16
	v_and_b32_e32 v177, 0xff, v13
	s_mov_b32 s13, 0
	s_mov_b32 s17, exec_lo
                                        ; implicit-def: $sgpr16
	v_cmpx_lt_i16_e64 0x7f, v177
	s_xor_b32 s17, exec_lo, s17
	s_cbranch_execnz .LBB4_2879
; %bb.2530:                             ;   in Loop: Header=BB4_2209 Depth=3
	s_or_saveexec_b32 s17, s17
	v_mov_b32_e32 v12, s16
	s_xor_b32 exec_lo, exec_lo, s17
	s_cbranch_execnz .LBB4_2882
.LBB4_2531:                             ;   in Loop: Header=BB4_2209 Depth=3
	s_or_b32 exec_lo, exec_lo, s17
	s_and_saveexec_b32 s16, s13
	s_cbranch_execz .LBB4_2533
.LBB4_2532:                             ;   in Loop: Header=BB4_2209 Depth=3
	v_and_b32_e32 v12, 7, v13
	v_bfe_u32 v179, v13, 3, 4
	v_lshlrev_b32_e32 v180, 24, v13
	s_delay_alu instid0(VALU_DEP_3) | instskip(NEXT) | instid1(VALU_DEP_3)
	v_clz_i32_u32_e32 v177, v12
	v_cmp_eq_u32_e32 vcc_lo, 0, v179
	s_delay_alu instid0(VALU_DEP_2) | instskip(NEXT) | instid1(VALU_DEP_1)
	v_min_u32_e32 v177, 32, v177
	v_subrev_nc_u32_e32 v178, 28, v177
	v_sub_nc_u32_e32 v177, 29, v177
	s_delay_alu instid0(VALU_DEP_2) | instskip(NEXT) | instid1(VALU_DEP_1)
	v_lshlrev_b32_e32 v178, v178, v13
	v_dual_cndmask_b32 v177, v179, v177 :: v_dual_and_b32 v178, 7, v178
	s_delay_alu instid0(VALU_DEP_1) | instskip(NEXT) | instid1(VALU_DEP_2)
	v_lshl_add_u32 v177, v177, 23, 0x3b800000
	v_cndmask_b32_e32 v12, v12, v178, vcc_lo
	v_and_b32_e32 v178, 0x80000000, v180
	s_delay_alu instid0(VALU_DEP_2) | instskip(NEXT) | instid1(VALU_DEP_1)
	v_lshlrev_b32_e32 v12, 20, v12
	v_or3_b32 v12, v178, v177, v12
.LBB4_2533:                             ;   in Loop: Header=BB4_2209 Depth=3
	s_or_b32 exec_lo, exec_lo, s16
	v_and_b32_e32 v178, 0xff, v9
	s_mov_b32 s13, 0
	s_mov_b32 s17, exec_lo
                                        ; implicit-def: $sgpr16
	s_delay_alu instid0(VALU_DEP_1)
	v_cmpx_lt_i16_e64 0x7f, v178
	s_xor_b32 s17, exec_lo, s17
	s_cbranch_execnz .LBB4_2883
; %bb.2534:                             ;   in Loop: Header=BB4_2209 Depth=3
	s_or_saveexec_b32 s17, s17
	v_mov_b32_e32 v177, s16
	s_xor_b32 exec_lo, exec_lo, s17
	s_cbranch_execnz .LBB4_2886
.LBB4_2535:                             ;   in Loop: Header=BB4_2209 Depth=3
	s_or_b32 exec_lo, exec_lo, s17
	s_and_saveexec_b32 s16, s13
	s_cbranch_execz .LBB4_2537
.LBB4_2536:                             ;   in Loop: Header=BB4_2209 Depth=3
	v_bfe_u32 v180, v9, 3, 4
	v_lshlrev_b32_e32 v181, 24, v9
	s_delay_alu instid0(VALU_DEP_2) | instskip(SKIP_1) | instid1(VALU_DEP_1)
	v_cmp_eq_u32_e32 vcc_lo, 0, v180
	v_and_b32_e32 v177, 7, v9
	v_clz_i32_u32_e32 v178, v177
	s_delay_alu instid0(VALU_DEP_1) | instskip(NEXT) | instid1(VALU_DEP_1)
	v_min_u32_e32 v178, 32, v178
	v_subrev_nc_u32_e32 v179, 28, v178
	v_sub_nc_u32_e32 v178, 29, v178
	s_delay_alu instid0(VALU_DEP_1) | instskip(NEXT) | instid1(VALU_DEP_1)
	v_dual_cndmask_b32 v178, v180, v178 :: v_dual_lshlrev_b32 v179, v179, v9
	v_and_b32_e32 v179, 7, v179
	s_delay_alu instid0(VALU_DEP_2) | instskip(NEXT) | instid1(VALU_DEP_2)
	v_lshl_add_u32 v178, v178, 23, 0x3b800000
	v_cndmask_b32_e32 v177, v177, v179, vcc_lo
	v_and_b32_e32 v179, 0x80000000, v181
	s_delay_alu instid0(VALU_DEP_2) | instskip(NEXT) | instid1(VALU_DEP_1)
	v_lshlrev_b32_e32 v177, 20, v177
	v_or3_b32 v177, v179, v178, v177
.LBB4_2537:                             ;   in Loop: Header=BB4_2209 Depth=3
	s_or_b32 exec_lo, exec_lo, s16
	s_delay_alu instid0(VALU_DEP_1) | instskip(NEXT) | instid1(VALU_DEP_1)
	v_add_f32_e32 v177, v12, v177
	v_and_b32_e32 v12, 0x7f800000, v177
	s_delay_alu instid0(VALU_DEP_1)
	v_cmp_ne_u32_e32 vcc_lo, 0x7f800000, v12
	v_mov_b32_e32 v12, 0x80
	s_and_saveexec_b32 s16, vcc_lo
	s_cbranch_execz .LBB4_2545
; %bb.2538:                             ;   in Loop: Header=BB4_2209 Depth=3
	v_mov_b32_e32 v12, 0
	s_mov_b32 s17, exec_lo
	v_cmpx_ne_u32_e32 0, v177
	s_cbranch_execz .LBB4_2544
; %bb.2539:                             ;   in Loop: Header=BB4_2209 Depth=3
	v_bfe_u32 v12, v177, 23, 8
	s_delay_alu instid0(VALU_DEP_1) | instskip(SKIP_1) | instid1(VALU_DEP_2)
	v_sub_nc_u32_e32 v179, 0x78, v12
	v_cmp_gt_u32_e32 vcc_lo, 0x79, v12
	v_dual_cndmask_b32 v179, 0, v179 :: v_dual_and_b32 v178, 0x7fffff, v177
	s_delay_alu instid0(VALU_DEP_1) | instskip(SKIP_2) | instid1(VALU_DEP_4)
	v_or_b32_e32 v180, 0x800000, v178
	v_cmp_eq_u32_e32 vcc_lo, 0, v12
	v_add_nc_u32_e32 v12, 0xffffff89, v12
	v_cndmask_b32_e64 v179, v179, 0x77, vcc_lo
	s_delay_alu instid0(VALU_DEP_2) | instskip(SKIP_1) | instid1(VALU_DEP_3)
	v_cndmask_b32_e64 v12, v12, 0xffffff8a, vcc_lo
	v_cndmask_b32_e32 v178, v180, v178, vcc_lo
	v_lshl_add_u32 v180, 0x100000, v179, -1
	v_lshlrev_b32_e64 v183, v179, 0x80000
	s_delay_alu instid0(VALU_DEP_3) | instskip(SKIP_1) | instid1(VALU_DEP_4)
	v_lshrrev_b32_e32 v181, v179, v178
	v_add_nc_u32_e32 v179, v179, v12
	v_and_b32_e32 v178, v180, v178
	s_delay_alu instid0(VALU_DEP_3) | instskip(NEXT) | instid1(VALU_DEP_2)
	v_bfe_u32 v182, v181, 20, 1
	v_cmp_eq_u32_e64 s13, v178, v183
	s_delay_alu instid0(VALU_DEP_2) | instskip(NEXT) | instid1(VALU_DEP_1)
	v_add_nc_u32_e32 v180, -1, v182
	v_cndmask_b32_e64 v178, 0, v180, s13
	v_lshrrev_b32_e32 v180, 23, v181
	s_mov_b32 s13, exec_lo
	s_delay_alu instid0(VALU_DEP_2) | instskip(NEXT) | instid1(VALU_DEP_2)
	v_add_nc_u32_e32 v178, v178, v181
	v_xor_b32_e32 v180, 1, v180
	s_delay_alu instid0(VALU_DEP_2) | instskip(NEXT) | instid1(VALU_DEP_1)
	v_and_b32_e32 v12, 0xfffff, v178
	v_add_nc_u32_e32 v178, v12, v181
                                        ; implicit-def: $vgpr12
	s_delay_alu instid0(VALU_DEP_3)
	v_cmpx_ne_u32_e64 v179, v180
	s_xor_b32 s13, exec_lo, s13
; %bb.2540:                             ;   in Loop: Header=BB4_2209 Depth=3
	s_delay_alu instid0(VALU_DEP_2) | instskip(SKIP_2) | instid1(VALU_DEP_2)
	v_cmp_lt_u32_e32 vcc_lo, 0xffffff, v178
	v_sub_nc_u32_e32 v12, v179, v180
	v_cndmask_b32_e64 v179, 0, 1, vcc_lo
	v_add_co_ci_u32_e32 v12, vcc_lo, 0, v12, vcc_lo
	s_delay_alu instid0(VALU_DEP_2)
	v_lshrrev_b32_e32 v178, v179, v178
; %bb.2541:                             ;   in Loop: Header=BB4_2209 Depth=3
	s_and_not1_saveexec_b32 s13, s13
; %bb.2542:                             ;   in Loop: Header=BB4_2209 Depth=3
	s_delay_alu instid0(VALU_DEP_1)
	v_bfe_u32 v12, v178, 23, 1
; %bb.2543:                             ;   in Loop: Header=BB4_2209 Depth=3
	s_or_b32 exec_lo, exec_lo, s13
	v_lshrrev_b32_e32 v178, 20, v178
	s_delay_alu instid0(VALU_DEP_2) | instskip(SKIP_2) | instid1(VALU_DEP_2)
	v_cmp_gt_i32_e32 vcc_lo, 16, v12
	v_lshrrev_b32_e32 v177, 24, v177
	v_min_i32_e32 v179, 15, v12
	v_dual_cndmask_b32 v178, 7, v178 :: v_dual_and_b32 v177, 0x80, v177
	s_delay_alu instid0(VALU_DEP_1) | instskip(SKIP_1) | instid1(VALU_DEP_2)
	v_or_b32_e32 v12, v12, v178
	v_and_b32_e32 v180, 7, v178
	v_cmp_ne_u32_e32 vcc_lo, 0, v12
	v_lshlrev_b32_e32 v179, 3, v179
	s_delay_alu instid0(VALU_DEP_1) | instskip(NEXT) | instid1(VALU_DEP_1)
	v_or3_b32 v177, v179, v177, v180
	v_cndmask_b32_e32 v12, 0, v177, vcc_lo
.LBB4_2544:                             ;   in Loop: Header=BB4_2209 Depth=3
	s_or_b32 exec_lo, exec_lo, s17
.LBB4_2545:                             ;   in Loop: Header=BB4_2209 Depth=3
	s_delay_alu instid0(SALU_CYCLE_1) | instskip(SKIP_3) | instid1(VALU_DEP_1)
	s_or_b32 exec_lo, exec_lo, s16
	v_lshrrev_b16 v178, 8, v13
	s_mov_b32 s13, 0
	s_mov_b32 s17, exec_lo
                                        ; implicit-def: $sgpr16
	v_cmpx_lt_i16_e64 0x7f, v178
	s_xor_b32 s17, exec_lo, s17
	s_cbranch_execnz .LBB4_2887
; %bb.2546:                             ;   in Loop: Header=BB4_2209 Depth=3
	s_or_saveexec_b32 s17, s17
	v_mov_b32_e32 v177, s16
	s_xor_b32 exec_lo, exec_lo, s17
	s_cbranch_execnz .LBB4_2890
.LBB4_2547:                             ;   in Loop: Header=BB4_2209 Depth=3
	s_or_b32 exec_lo, exec_lo, s17
	s_and_saveexec_b32 s16, s13
	s_cbranch_execz .LBB4_2549
.LBB4_2548:                             ;   in Loop: Header=BB4_2209 Depth=3
	v_and_b32_e32 v177, 0xffff, v178
	s_delay_alu instid0(VALU_DEP_1) | instskip(NEXT) | instid1(VALU_DEP_1)
	v_and_b32_e32 v179, 7, v177
	v_clz_i32_u32_e32 v180, v179
	s_delay_alu instid0(VALU_DEP_1) | instskip(NEXT) | instid1(VALU_DEP_1)
	v_min_u32_e32 v180, 32, v180
	v_subrev_nc_u32_e32 v181, 28, v180
	v_sub_nc_u32_e32 v180, 29, v180
	s_delay_alu instid0(VALU_DEP_2) | instskip(SKIP_1) | instid1(VALU_DEP_2)
	v_lshlrev_b32_e32 v181, v181, v177
	v_bfe_u32 v177, v177, 3, 4
	v_and_b32_e32 v181, 7, v181
	s_delay_alu instid0(VALU_DEP_2) | instskip(SKIP_1) | instid1(VALU_DEP_1)
	v_cmp_eq_u32_e32 vcc_lo, 0, v177
	v_dual_cndmask_b32 v177, v177, v180 :: v_dual_lshlrev_b32 v178, 24, v178
	v_dual_cndmask_b32 v179, v179, v181 :: v_dual_and_b32 v178, 0x80000000, v178
	s_delay_alu instid0(VALU_DEP_2) | instskip(NEXT) | instid1(VALU_DEP_2)
	v_lshl_add_u32 v177, v177, 23, 0x3b800000
	v_lshlrev_b32_e32 v179, 20, v179
	s_delay_alu instid0(VALU_DEP_1)
	v_or3_b32 v177, v178, v177, v179
.LBB4_2549:                             ;   in Loop: Header=BB4_2209 Depth=3
	s_or_b32 exec_lo, exec_lo, s16
	v_lshrrev_b16 v178, 8, v9
	s_mov_b32 s13, 0
	s_mov_b32 s17, exec_lo
                                        ; implicit-def: $sgpr16
	s_delay_alu instid0(VALU_DEP_1)
	v_cmpx_lt_i16_e64 0x7f, v178
	s_xor_b32 s17, exec_lo, s17
	s_cbranch_execnz .LBB4_2891
; %bb.2550:                             ;   in Loop: Header=BB4_2209 Depth=3
	s_or_saveexec_b32 s17, s17
	v_mov_b32_e32 v179, s16
	s_xor_b32 exec_lo, exec_lo, s17
	s_cbranch_execnz .LBB4_2894
.LBB4_2551:                             ;   in Loop: Header=BB4_2209 Depth=3
	s_or_b32 exec_lo, exec_lo, s17
	s_and_saveexec_b32 s16, s13
	s_cbranch_execz .LBB4_2553
.LBB4_2552:                             ;   in Loop: Header=BB4_2209 Depth=3
	v_and_b32_e32 v179, 0xffff, v178
	v_lshlrev_b32_e32 v178, 24, v178
	s_delay_alu instid0(VALU_DEP_2) | instskip(NEXT) | instid1(VALU_DEP_2)
	v_and_b32_e32 v180, 7, v179
	v_and_b32_e32 v178, 0x80000000, v178
	s_delay_alu instid0(VALU_DEP_2) | instskip(NEXT) | instid1(VALU_DEP_1)
	v_clz_i32_u32_e32 v181, v180
	v_min_u32_e32 v181, 32, v181
	s_delay_alu instid0(VALU_DEP_1) | instskip(SKIP_1) | instid1(VALU_DEP_2)
	v_subrev_nc_u32_e32 v182, 28, v181
	v_sub_nc_u32_e32 v181, 29, v181
	v_lshlrev_b32_e32 v182, v182, v179
	v_bfe_u32 v179, v179, 3, 4
	s_delay_alu instid0(VALU_DEP_2) | instskip(NEXT) | instid1(VALU_DEP_2)
	v_and_b32_e32 v182, 7, v182
	v_cmp_eq_u32_e32 vcc_lo, 0, v179
	s_delay_alu instid0(VALU_DEP_2) | instskip(NEXT) | instid1(VALU_DEP_1)
	v_dual_cndmask_b32 v179, v179, v181 :: v_dual_cndmask_b32 v180, v180, v182
	v_lshl_add_u32 v179, v179, 23, 0x3b800000
	s_delay_alu instid0(VALU_DEP_2) | instskip(NEXT) | instid1(VALU_DEP_1)
	v_lshlrev_b32_e32 v180, 20, v180
	v_or3_b32 v179, v178, v179, v180
.LBB4_2553:                             ;   in Loop: Header=BB4_2209 Depth=3
	s_or_b32 exec_lo, exec_lo, s16
	s_delay_alu instid0(VALU_DEP_1) | instskip(NEXT) | instid1(VALU_DEP_1)
	v_add_f32_e32 v178, v177, v179
	v_and_b32_e32 v177, 0x7f800000, v178
	s_delay_alu instid0(VALU_DEP_1)
	v_cmp_ne_u32_e32 vcc_lo, 0x7f800000, v177
	v_mov_b32_e32 v177, 0x8000
	s_and_saveexec_b32 s16, vcc_lo
	s_cbranch_execz .LBB4_2561
; %bb.2554:                             ;   in Loop: Header=BB4_2209 Depth=3
	v_mov_b32_e32 v177, 0
	s_mov_b32 s17, exec_lo
	v_cmpx_ne_u32_e32 0, v178
	s_cbranch_execz .LBB4_2560
; %bb.2555:                             ;   in Loop: Header=BB4_2209 Depth=3
	v_bfe_u32 v177, v178, 23, 8
	s_delay_alu instid0(VALU_DEP_1) | instskip(SKIP_1) | instid1(VALU_DEP_2)
	v_sub_nc_u32_e32 v180, 0x78, v177
	v_cmp_gt_u32_e32 vcc_lo, 0x79, v177
	v_dual_cndmask_b32 v180, 0, v180 :: v_dual_and_b32 v179, 0x7fffff, v178
	s_delay_alu instid0(VALU_DEP_1) | instskip(SKIP_2) | instid1(VALU_DEP_4)
	v_or_b32_e32 v181, 0x800000, v179
	v_cmp_eq_u32_e32 vcc_lo, 0, v177
	v_add_nc_u32_e32 v177, 0xffffff89, v177
	v_cndmask_b32_e64 v180, v180, 0x77, vcc_lo
	s_delay_alu instid0(VALU_DEP_2) | instskip(SKIP_1) | instid1(VALU_DEP_3)
	v_cndmask_b32_e64 v177, v177, 0xffffff8a, vcc_lo
	v_cndmask_b32_e32 v179, v181, v179, vcc_lo
	v_lshl_add_u32 v181, 0x100000, v180, -1
	v_lshlrev_b32_e64 v40, v180, 0x80000
	s_delay_alu instid0(VALU_DEP_3) | instskip(SKIP_1) | instid1(VALU_DEP_4)
	v_lshrrev_b32_e32 v182, v180, v179
	v_add_nc_u32_e32 v180, v180, v177
	v_and_b32_e32 v179, v181, v179
	s_delay_alu instid0(VALU_DEP_3) | instskip(NEXT) | instid1(VALU_DEP_2)
	v_bfe_u32 v183, v182, 20, 1
	v_cmp_eq_u32_e64 s13, v179, v40
	s_delay_alu instid0(VALU_DEP_2) | instskip(NEXT) | instid1(VALU_DEP_1)
	v_add_nc_u32_e32 v181, -1, v183
	v_cndmask_b32_e64 v179, 0, v181, s13
	v_lshrrev_b32_e32 v181, 23, v182
	s_mov_b32 s13, exec_lo
	s_delay_alu instid0(VALU_DEP_2) | instskip(NEXT) | instid1(VALU_DEP_2)
	v_add_nc_u32_e32 v179, v179, v182
	v_xor_b32_e32 v181, 1, v181
	s_delay_alu instid0(VALU_DEP_2) | instskip(NEXT) | instid1(VALU_DEP_1)
	v_and_b32_e32 v177, 0xfffff, v179
	v_add_nc_u32_e32 v179, v177, v182
                                        ; implicit-def: $vgpr177
	s_delay_alu instid0(VALU_DEP_3)
	v_cmpx_ne_u32_e64 v180, v181
	s_xor_b32 s13, exec_lo, s13
; %bb.2556:                             ;   in Loop: Header=BB4_2209 Depth=3
	s_delay_alu instid0(VALU_DEP_2) | instskip(SKIP_2) | instid1(VALU_DEP_2)
	v_cmp_lt_u32_e32 vcc_lo, 0xffffff, v179
	v_sub_nc_u32_e32 v177, v180, v181
	v_cndmask_b32_e64 v180, 0, 1, vcc_lo
	v_add_co_ci_u32_e32 v177, vcc_lo, 0, v177, vcc_lo
	s_delay_alu instid0(VALU_DEP_2)
	v_lshrrev_b32_e32 v179, v180, v179
; %bb.2557:                             ;   in Loop: Header=BB4_2209 Depth=3
	s_and_not1_saveexec_b32 s13, s13
; %bb.2558:                             ;   in Loop: Header=BB4_2209 Depth=3
	s_delay_alu instid0(VALU_DEP_1)
	v_bfe_u32 v177, v179, 23, 1
; %bb.2559:                             ;   in Loop: Header=BB4_2209 Depth=3
	s_or_b32 exec_lo, exec_lo, s13
	v_lshrrev_b32_e32 v179, 20, v179
	s_delay_alu instid0(VALU_DEP_2) | instskip(SKIP_2) | instid1(VALU_DEP_2)
	v_cmp_gt_i32_e32 vcc_lo, 16, v177
	v_min_i32_e32 v180, 15, v177
	v_lshrrev_b32_e32 v178, 24, v178
	v_dual_cndmask_b32 v179, 7, v179 :: v_dual_lshlrev_b32 v180, 3, v180
	s_delay_alu instid0(VALU_DEP_2) | instskip(NEXT) | instid1(VALU_DEP_2)
	v_and_b32_e32 v178, 0x80, v178
	v_or_b32_e32 v177, v177, v179
	v_and_b32_e32 v181, 7, v179
	s_delay_alu instid0(VALU_DEP_2) | instskip(SKIP_1) | instid1(VALU_DEP_1)
	v_cmp_ne_u32_e32 vcc_lo, 0, v177
	v_and_b32_e32 v180, 0xf8, v180
	v_or3_b32 v178, v178, v180, v181
	s_delay_alu instid0(VALU_DEP_1) | instskip(NEXT) | instid1(VALU_DEP_1)
	v_lshlrev_b32_e32 v178, 8, v178
	v_cndmask_b32_e32 v177, 0, v178, vcc_lo
.LBB4_2560:                             ;   in Loop: Header=BB4_2209 Depth=3
	s_or_b32 exec_lo, exec_lo, s17
.LBB4_2561:                             ;   in Loop: Header=BB4_2209 Depth=3
	s_delay_alu instid0(SALU_CYCLE_1) | instskip(SKIP_3) | instid1(VALU_DEP_1)
	s_or_b32 exec_lo, exec_lo, s16
	v_lshrrev_b32_e32 v179, 16, v13
	s_mov_b32 s13, 0
	s_mov_b32 s17, exec_lo
                                        ; implicit-def: $sgpr16
	v_and_b32_e32 v180, 0xff, v179
	s_delay_alu instid0(VALU_DEP_1)
	v_cmpx_lt_i16_e64 0x7f, v180
	s_xor_b32 s17, exec_lo, s17
	s_cbranch_execnz .LBB4_2895
; %bb.2562:                             ;   in Loop: Header=BB4_2209 Depth=3
	s_or_saveexec_b32 s17, s17
	v_mov_b32_e32 v178, s16
	s_xor_b32 exec_lo, exec_lo, s17
	s_cbranch_execnz .LBB4_2898
.LBB4_2563:                             ;   in Loop: Header=BB4_2209 Depth=3
	s_or_b32 exec_lo, exec_lo, s17
	s_and_saveexec_b32 s16, s13
	s_cbranch_execz .LBB4_2565
.LBB4_2564:                             ;   in Loop: Header=BB4_2209 Depth=3
	v_bfe_u32 v178, v13, 16, 3
	v_lshlrev_b32_e32 v182, 8, v13
	s_delay_alu instid0(VALU_DEP_2) | instskip(NEXT) | instid1(VALU_DEP_1)
	v_clz_i32_u32_e32 v180, v178
	v_min_u32_e32 v180, 32, v180
	s_delay_alu instid0(VALU_DEP_1) | instskip(SKIP_1) | instid1(VALU_DEP_2)
	v_subrev_nc_u32_e32 v181, 28, v180
	v_sub_nc_u32_e32 v180, 29, v180
	v_lshlrev_b32_e32 v179, v181, v179
	v_bfe_u32 v181, v13, 19, 4
	s_delay_alu instid0(VALU_DEP_1) | instskip(NEXT) | instid1(VALU_DEP_3)
	v_cmp_eq_u32_e32 vcc_lo, 0, v181
	v_dual_cndmask_b32 v180, v181, v180 :: v_dual_and_b32 v179, 7, v179
	s_delay_alu instid0(VALU_DEP_1) | instskip(NEXT) | instid1(VALU_DEP_2)
	v_dual_cndmask_b32 v178, v178, v179 :: v_dual_and_b32 v179, 0x80000000, v182
	v_lshl_add_u32 v180, v180, 23, 0x3b800000
	s_delay_alu instid0(VALU_DEP_2) | instskip(NEXT) | instid1(VALU_DEP_1)
	v_lshlrev_b32_e32 v178, 20, v178
	v_or3_b32 v178, v179, v180, v178
.LBB4_2565:                             ;   in Loop: Header=BB4_2209 Depth=3
	s_or_b32 exec_lo, exec_lo, s16
	v_lshrrev_b32_e32 v179, 16, v9
	s_mov_b32 s13, 0
	s_mov_b32 s17, exec_lo
                                        ; implicit-def: $sgpr16
	s_delay_alu instid0(VALU_DEP_1) | instskip(NEXT) | instid1(VALU_DEP_1)
	v_and_b32_e32 v181, 0xff, v179
	v_cmpx_lt_i16_e64 0x7f, v181
	s_xor_b32 s17, exec_lo, s17
	s_cbranch_execnz .LBB4_2899
; %bb.2566:                             ;   in Loop: Header=BB4_2209 Depth=3
	s_or_saveexec_b32 s17, s17
	v_mov_b32_e32 v180, s16
	s_xor_b32 exec_lo, exec_lo, s17
	s_cbranch_execnz .LBB4_2902
.LBB4_2567:                             ;   in Loop: Header=BB4_2209 Depth=3
	s_or_b32 exec_lo, exec_lo, s17
	s_and_saveexec_b32 s16, s13
	s_cbranch_execz .LBB4_2569
.LBB4_2568:                             ;   in Loop: Header=BB4_2209 Depth=3
	v_bfe_u32 v180, v9, 16, 3
	v_lshlrev_b32_e32 v183, 8, v9
	s_delay_alu instid0(VALU_DEP_2) | instskip(NEXT) | instid1(VALU_DEP_1)
	v_clz_i32_u32_e32 v181, v180
	v_min_u32_e32 v181, 32, v181
	s_delay_alu instid0(VALU_DEP_1) | instskip(SKIP_1) | instid1(VALU_DEP_2)
	v_subrev_nc_u32_e32 v182, 28, v181
	v_sub_nc_u32_e32 v181, 29, v181
	v_lshlrev_b32_e32 v179, v182, v179
	v_bfe_u32 v182, v9, 19, 4
	s_delay_alu instid0(VALU_DEP_2) | instskip(NEXT) | instid1(VALU_DEP_2)
	v_and_b32_e32 v179, 7, v179
	v_cmp_eq_u32_e32 vcc_lo, 0, v182
	v_cndmask_b32_e32 v181, v182, v181, vcc_lo
	s_delay_alu instid0(VALU_DEP_3) | instskip(SKIP_1) | instid1(VALU_DEP_3)
	v_cndmask_b32_e32 v179, v180, v179, vcc_lo
	v_and_b32_e32 v180, 0x80000000, v183
	v_lshl_add_u32 v181, v181, 23, 0x3b800000
	s_delay_alu instid0(VALU_DEP_3) | instskip(NEXT) | instid1(VALU_DEP_1)
	v_lshlrev_b32_e32 v179, 20, v179
	v_or3_b32 v180, v180, v181, v179
.LBB4_2569:                             ;   in Loop: Header=BB4_2209 Depth=3
	s_or_b32 exec_lo, exec_lo, s16
	s_delay_alu instid0(VALU_DEP_1) | instskip(NEXT) | instid1(VALU_DEP_1)
	v_add_f32_e32 v179, v178, v180
	v_and_b32_e32 v178, 0x7f800000, v179
	s_delay_alu instid0(VALU_DEP_1)
	v_cmp_ne_u32_e32 vcc_lo, 0x7f800000, v178
	v_mov_b32_e32 v178, 0x80
	s_and_saveexec_b32 s16, vcc_lo
	s_cbranch_execz .LBB4_2577
; %bb.2570:                             ;   in Loop: Header=BB4_2209 Depth=3
	v_mov_b32_e32 v178, 0
	s_mov_b32 s17, exec_lo
	v_cmpx_ne_u32_e32 0, v179
	s_cbranch_execz .LBB4_2576
; %bb.2571:                             ;   in Loop: Header=BB4_2209 Depth=3
	v_bfe_u32 v178, v179, 23, 8
	s_delay_alu instid0(VALU_DEP_1) | instskip(SKIP_1) | instid1(VALU_DEP_2)
	v_sub_nc_u32_e32 v181, 0x78, v178
	v_cmp_gt_u32_e32 vcc_lo, 0x79, v178
	v_dual_cndmask_b32 v181, 0, v181 :: v_dual_and_b32 v180, 0x7fffff, v179
	s_delay_alu instid0(VALU_DEP_1) | instskip(SKIP_2) | instid1(VALU_DEP_4)
	v_or_b32_e32 v182, 0x800000, v180
	v_cmp_eq_u32_e32 vcc_lo, 0, v178
	v_add_nc_u32_e32 v178, 0xffffff89, v178
	v_cndmask_b32_e64 v181, v181, 0x77, vcc_lo
	s_delay_alu instid0(VALU_DEP_2) | instskip(SKIP_1) | instid1(VALU_DEP_3)
	v_cndmask_b32_e64 v178, v178, 0xffffff8a, vcc_lo
	v_cndmask_b32_e32 v180, v182, v180, vcc_lo
	v_lshl_add_u32 v182, 0x100000, v181, -1
	v_lshlrev_b32_e64 v41, v181, 0x80000
	s_delay_alu instid0(VALU_DEP_3) | instskip(SKIP_1) | instid1(VALU_DEP_4)
	v_lshrrev_b32_e32 v183, v181, v180
	v_add_nc_u32_e32 v181, v181, v178
	v_and_b32_e32 v180, v182, v180
	s_delay_alu instid0(VALU_DEP_3) | instskip(NEXT) | instid1(VALU_DEP_2)
	v_bfe_u32 v40, v183, 20, 1
	v_cmp_eq_u32_e64 s13, v180, v41
	s_delay_alu instid0(VALU_DEP_2) | instskip(NEXT) | instid1(VALU_DEP_1)
	v_add_nc_u32_e32 v182, -1, v40
	v_cndmask_b32_e64 v180, 0, v182, s13
	v_lshrrev_b32_e32 v182, 23, v183
	s_mov_b32 s13, exec_lo
	s_delay_alu instid0(VALU_DEP_2) | instskip(NEXT) | instid1(VALU_DEP_2)
	v_add_nc_u32_e32 v180, v180, v183
	v_xor_b32_e32 v182, 1, v182
	s_delay_alu instid0(VALU_DEP_2) | instskip(NEXT) | instid1(VALU_DEP_1)
	v_and_b32_e32 v178, 0xfffff, v180
	v_add_nc_u32_e32 v180, v178, v183
                                        ; implicit-def: $vgpr178
	s_delay_alu instid0(VALU_DEP_3)
	v_cmpx_ne_u32_e64 v181, v182
	s_xor_b32 s13, exec_lo, s13
; %bb.2572:                             ;   in Loop: Header=BB4_2209 Depth=3
	s_delay_alu instid0(VALU_DEP_2) | instskip(SKIP_2) | instid1(VALU_DEP_2)
	v_cmp_lt_u32_e32 vcc_lo, 0xffffff, v180
	v_sub_nc_u32_e32 v178, v181, v182
	v_cndmask_b32_e64 v181, 0, 1, vcc_lo
	v_add_co_ci_u32_e32 v178, vcc_lo, 0, v178, vcc_lo
	s_delay_alu instid0(VALU_DEP_2)
	v_lshrrev_b32_e32 v180, v181, v180
; %bb.2573:                             ;   in Loop: Header=BB4_2209 Depth=3
	s_and_not1_saveexec_b32 s13, s13
; %bb.2574:                             ;   in Loop: Header=BB4_2209 Depth=3
	s_delay_alu instid0(VALU_DEP_1)
	v_bfe_u32 v178, v180, 23, 1
; %bb.2575:                             ;   in Loop: Header=BB4_2209 Depth=3
	s_or_b32 exec_lo, exec_lo, s13
	v_lshrrev_b32_e32 v180, 20, v180
	s_delay_alu instid0(VALU_DEP_2) | instskip(SKIP_2) | instid1(VALU_DEP_2)
	v_cmp_gt_i32_e32 vcc_lo, 16, v178
	v_min_i32_e32 v181, 15, v178
	v_lshrrev_b32_e32 v179, 24, v179
	v_dual_cndmask_b32 v180, 7, v180 :: v_dual_lshlrev_b32 v181, 3, v181
	s_delay_alu instid0(VALU_DEP_2) | instskip(NEXT) | instid1(VALU_DEP_2)
	v_and_b32_e32 v179, 0x80, v179
	v_or_b32_e32 v178, v178, v180
	v_and_b32_e32 v182, 7, v180
	s_delay_alu instid0(VALU_DEP_2) | instskip(SKIP_1) | instid1(VALU_DEP_1)
	v_cmp_ne_u32_e32 vcc_lo, 0, v178
	v_and_b32_e32 v181, 0xf8, v181
	v_or3_b32 v179, v181, v179, v182
	s_delay_alu instid0(VALU_DEP_1)
	v_cndmask_b32_e32 v178, 0, v179, vcc_lo
.LBB4_2576:                             ;   in Loop: Header=BB4_2209 Depth=3
	s_or_b32 exec_lo, exec_lo, s17
.LBB4_2577:                             ;   in Loop: Header=BB4_2209 Depth=3
	s_delay_alu instid0(SALU_CYCLE_1) | instskip(SKIP_3) | instid1(VALU_DEP_1)
	s_or_b32 exec_lo, exec_lo, s16
	v_lshrrev_b32_e32 v180, 24, v13
	s_mov_b32 s13, 0
	s_mov_b32 s17, exec_lo
                                        ; implicit-def: $sgpr16
	v_cmpx_lt_i16_e64 0x7f, v180
	s_xor_b32 s17, exec_lo, s17
	s_cbranch_execnz .LBB4_2903
; %bb.2578:                             ;   in Loop: Header=BB4_2209 Depth=3
	s_or_saveexec_b32 s17, s17
	v_mov_b32_e32 v179, s16
	s_xor_b32 exec_lo, exec_lo, s17
	s_cbranch_execnz .LBB4_2906
.LBB4_2579:                             ;   in Loop: Header=BB4_2209 Depth=3
	s_or_b32 exec_lo, exec_lo, s17
	s_and_saveexec_b32 s16, s13
	s_cbranch_execz .LBB4_2581
.LBB4_2580:                             ;   in Loop: Header=BB4_2209 Depth=3
	v_bfe_u32 v179, v13, 24, 3
	s_delay_alu instid0(VALU_DEP_1) | instskip(NEXT) | instid1(VALU_DEP_1)
	v_clz_i32_u32_e32 v181, v179
	v_min_u32_e32 v181, 32, v181
	s_delay_alu instid0(VALU_DEP_1) | instskip(SKIP_1) | instid1(VALU_DEP_2)
	v_subrev_nc_u32_e32 v182, 28, v181
	v_sub_nc_u32_e32 v181, 29, v181
	v_lshlrev_b32_e32 v180, v182, v180
	v_bfe_u32 v182, v13, 27, 4
	v_and_b32_e32 v13, 0x80000000, v13
	s_delay_alu instid0(VALU_DEP_2) | instskip(NEXT) | instid1(VALU_DEP_4)
	v_cmp_eq_u32_e32 vcc_lo, 0, v182
	v_dual_cndmask_b32 v181, v182, v181 :: v_dual_and_b32 v180, 7, v180
	s_delay_alu instid0(VALU_DEP_1) | instskip(NEXT) | instid1(VALU_DEP_2)
	v_cndmask_b32_e32 v179, v179, v180, vcc_lo
	v_lshl_add_u32 v180, v181, 23, 0x3b800000
	s_delay_alu instid0(VALU_DEP_2) | instskip(NEXT) | instid1(VALU_DEP_1)
	v_lshlrev_b32_e32 v179, 20, v179
	v_or3_b32 v179, v13, v180, v179
.LBB4_2581:                             ;   in Loop: Header=BB4_2209 Depth=3
	s_or_b32 exec_lo, exec_lo, s16
	v_lshrrev_b32_e32 v13, 24, v9
	s_mov_b32 s13, 0
	s_mov_b32 s17, exec_lo
                                        ; implicit-def: $sgpr16
	s_delay_alu instid0(VALU_DEP_1)
	v_cmpx_lt_i16_e32 0x7f, v13
	s_xor_b32 s17, exec_lo, s17
	s_cbranch_execnz .LBB4_2907
; %bb.2582:                             ;   in Loop: Header=BB4_2209 Depth=3
	s_or_saveexec_b32 s17, s17
	v_mov_b32_e32 v180, s16
	s_xor_b32 exec_lo, exec_lo, s17
	s_cbranch_execnz .LBB4_2910
.LBB4_2583:                             ;   in Loop: Header=BB4_2209 Depth=3
	s_or_b32 exec_lo, exec_lo, s17
	s_and_saveexec_b32 s16, s13
	s_cbranch_execz .LBB4_2585
.LBB4_2584:                             ;   in Loop: Header=BB4_2209 Depth=3
	v_bfe_u32 v180, v9, 24, 3
	s_delay_alu instid0(VALU_DEP_1) | instskip(NEXT) | instid1(VALU_DEP_1)
	v_clz_i32_u32_e32 v181, v180
	v_min_u32_e32 v181, 32, v181
	s_delay_alu instid0(VALU_DEP_1) | instskip(SKIP_1) | instid1(VALU_DEP_2)
	v_subrev_nc_u32_e32 v182, 28, v181
	v_sub_nc_u32_e32 v181, 29, v181
	v_lshlrev_b32_e32 v13, v182, v13
	v_bfe_u32 v182, v9, 27, 4
	v_and_b32_e32 v9, 0x80000000, v9
	s_delay_alu instid0(VALU_DEP_3) | instskip(NEXT) | instid1(VALU_DEP_3)
	v_and_b32_e32 v13, 7, v13
	v_cmp_eq_u32_e32 vcc_lo, 0, v182
	v_cndmask_b32_e32 v181, v182, v181, vcc_lo
	s_delay_alu instid0(VALU_DEP_3) | instskip(NEXT) | instid1(VALU_DEP_2)
	v_cndmask_b32_e32 v13, v180, v13, vcc_lo
	v_lshl_add_u32 v180, v181, 23, 0x3b800000
	s_delay_alu instid0(VALU_DEP_2) | instskip(NEXT) | instid1(VALU_DEP_1)
	v_lshlrev_b32_e32 v13, 20, v13
	v_or3_b32 v180, v9, v180, v13
.LBB4_2585:                             ;   in Loop: Header=BB4_2209 Depth=3
	s_or_b32 exec_lo, exec_lo, s16
	s_delay_alu instid0(VALU_DEP_1) | instskip(NEXT) | instid1(VALU_DEP_1)
	v_add_f32_e32 v13, v179, v180
	v_and_b32_e32 v9, 0x7f800000, v13
	s_delay_alu instid0(VALU_DEP_1)
	v_cmp_ne_u32_e32 vcc_lo, 0x7f800000, v9
	v_mov_b32_e32 v9, 0x8000
	s_and_saveexec_b32 s16, vcc_lo
	s_cbranch_execz .LBB4_2593
; %bb.2586:                             ;   in Loop: Header=BB4_2209 Depth=3
	v_mov_b32_e32 v9, 0
	s_mov_b32 s17, exec_lo
	v_cmpx_ne_u32_e32 0, v13
	s_cbranch_execz .LBB4_2592
; %bb.2587:                             ;   in Loop: Header=BB4_2209 Depth=3
	v_bfe_u32 v9, v13, 23, 8
	s_delay_alu instid0(VALU_DEP_1) | instskip(SKIP_1) | instid1(VALU_DEP_2)
	v_sub_nc_u32_e32 v180, 0x78, v9
	v_cmp_gt_u32_e32 vcc_lo, 0x79, v9
	v_dual_cndmask_b32 v180, 0, v180 :: v_dual_and_b32 v179, 0x7fffff, v13
	s_delay_alu instid0(VALU_DEP_1) | instskip(SKIP_2) | instid1(VALU_DEP_4)
	v_or_b32_e32 v181, 0x800000, v179
	v_cmp_eq_u32_e32 vcc_lo, 0, v9
	v_add_nc_u32_e32 v9, 0xffffff89, v9
	v_cndmask_b32_e64 v180, v180, 0x77, vcc_lo
	s_delay_alu instid0(VALU_DEP_2) | instskip(SKIP_1) | instid1(VALU_DEP_3)
	v_cndmask_b32_e64 v9, v9, 0xffffff8a, vcc_lo
	v_cndmask_b32_e32 v179, v181, v179, vcc_lo
	v_lshl_add_u32 v181, 0x100000, v180, -1
	v_lshlrev_b32_e64 v40, v180, 0x80000
	s_delay_alu instid0(VALU_DEP_3) | instskip(SKIP_1) | instid1(VALU_DEP_4)
	v_lshrrev_b32_e32 v182, v180, v179
	v_add_nc_u32_e32 v180, v180, v9
	v_and_b32_e32 v179, v181, v179
	s_delay_alu instid0(VALU_DEP_3) | instskip(NEXT) | instid1(VALU_DEP_2)
	v_bfe_u32 v183, v182, 20, 1
	v_cmp_eq_u32_e64 s13, v179, v40
	s_delay_alu instid0(VALU_DEP_2) | instskip(NEXT) | instid1(VALU_DEP_1)
	v_add_nc_u32_e32 v181, -1, v183
	v_cndmask_b32_e64 v179, 0, v181, s13
	v_lshrrev_b32_e32 v181, 23, v182
	s_mov_b32 s13, exec_lo
	s_delay_alu instid0(VALU_DEP_2) | instskip(NEXT) | instid1(VALU_DEP_2)
	v_add_nc_u32_e32 v179, v179, v182
	v_xor_b32_e32 v181, 1, v181
	s_delay_alu instid0(VALU_DEP_2) | instskip(NEXT) | instid1(VALU_DEP_1)
	v_and_b32_e32 v9, 0xfffff, v179
	v_add_nc_u32_e32 v179, v9, v182
                                        ; implicit-def: $vgpr9
	s_delay_alu instid0(VALU_DEP_3)
	v_cmpx_ne_u32_e64 v180, v181
	s_xor_b32 s13, exec_lo, s13
; %bb.2588:                             ;   in Loop: Header=BB4_2209 Depth=3
	s_delay_alu instid0(VALU_DEP_2) | instskip(SKIP_2) | instid1(VALU_DEP_2)
	v_cmp_lt_u32_e32 vcc_lo, 0xffffff, v179
	v_sub_nc_u32_e32 v9, v180, v181
	v_cndmask_b32_e64 v180, 0, 1, vcc_lo
	v_add_co_ci_u32_e32 v9, vcc_lo, 0, v9, vcc_lo
	s_delay_alu instid0(VALU_DEP_2)
	v_lshrrev_b32_e32 v179, v180, v179
; %bb.2589:                             ;   in Loop: Header=BB4_2209 Depth=3
	s_and_not1_saveexec_b32 s13, s13
; %bb.2590:                             ;   in Loop: Header=BB4_2209 Depth=3
	s_delay_alu instid0(VALU_DEP_1)
	v_bfe_u32 v9, v179, 23, 1
; %bb.2591:                             ;   in Loop: Header=BB4_2209 Depth=3
	s_or_b32 exec_lo, exec_lo, s13
	v_lshrrev_b32_e32 v179, 20, v179
	s_delay_alu instid0(VALU_DEP_2) | instskip(SKIP_2) | instid1(VALU_DEP_2)
	v_cmp_gt_i32_e32 vcc_lo, 16, v9
	v_min_i32_e32 v180, 15, v9
	v_lshrrev_b32_e32 v13, 24, v13
	v_dual_cndmask_b32 v179, 7, v179 :: v_dual_lshlrev_b32 v180, 3, v180
	s_delay_alu instid0(VALU_DEP_2) | instskip(NEXT) | instid1(VALU_DEP_2)
	v_and_b32_e32 v13, 0x80, v13
	v_or_b32_e32 v9, v9, v179
	v_and_b32_e32 v181, 7, v179
	s_delay_alu instid0(VALU_DEP_2) | instskip(SKIP_1) | instid1(VALU_DEP_1)
	v_cmp_ne_u32_e32 vcc_lo, 0, v9
	v_and_b32_e32 v180, 0xf8, v180
	v_or3_b32 v13, v13, v180, v181
	s_delay_alu instid0(VALU_DEP_1) | instskip(NEXT) | instid1(VALU_DEP_1)
	v_lshlrev_b32_e32 v13, 8, v13
	v_cndmask_b32_e32 v9, 0, v13, vcc_lo
.LBB4_2592:                             ;   in Loop: Header=BB4_2209 Depth=3
	s_or_b32 exec_lo, exec_lo, s17
.LBB4_2593:                             ;   in Loop: Header=BB4_2209 Depth=3
	s_delay_alu instid0(SALU_CYCLE_1) | instskip(SKIP_3) | instid1(VALU_DEP_1)
	s_or_b32 exec_lo, exec_lo, s16
	v_and_b32_e32 v179, 0xff, v14
	s_mov_b32 s13, 0
	s_mov_b32 s17, exec_lo
                                        ; implicit-def: $sgpr16
	v_cmpx_lt_i16_e64 0x7f, v179
	s_xor_b32 s17, exec_lo, s17
	s_cbranch_execnz .LBB4_2911
; %bb.2594:                             ;   in Loop: Header=BB4_2209 Depth=3
	s_or_saveexec_b32 s17, s17
	v_mov_b32_e32 v13, s16
	s_xor_b32 exec_lo, exec_lo, s17
	s_cbranch_execnz .LBB4_2914
.LBB4_2595:                             ;   in Loop: Header=BB4_2209 Depth=3
	s_or_b32 exec_lo, exec_lo, s17
	s_and_saveexec_b32 s16, s13
	s_cbranch_execz .LBB4_2597
.LBB4_2596:                             ;   in Loop: Header=BB4_2209 Depth=3
	v_and_b32_e32 v13, 7, v14
	v_bfe_u32 v181, v14, 3, 4
	s_delay_alu instid0(VALU_DEP_2) | instskip(NEXT) | instid1(VALU_DEP_2)
	v_clz_i32_u32_e32 v179, v13
	v_cmp_eq_u32_e32 vcc_lo, 0, v181
	s_delay_alu instid0(VALU_DEP_2) | instskip(NEXT) | instid1(VALU_DEP_1)
	v_min_u32_e32 v179, 32, v179
	v_subrev_nc_u32_e32 v180, 28, v179
	v_sub_nc_u32_e32 v179, 29, v179
	s_delay_alu instid0(VALU_DEP_1) | instskip(NEXT) | instid1(VALU_DEP_1)
	v_dual_cndmask_b32 v179, v181, v179 :: v_dual_lshlrev_b32 v180, v180, v14
	v_and_b32_e32 v180, 7, v180
	v_lshlrev_b32_e32 v182, 24, v14
	s_delay_alu instid0(VALU_DEP_3) | instskip(NEXT) | instid1(VALU_DEP_2)
	v_lshl_add_u32 v179, v179, 23, 0x3b800000
	v_dual_cndmask_b32 v13, v13, v180 :: v_dual_and_b32 v180, 0x80000000, v182
	s_delay_alu instid0(VALU_DEP_1) | instskip(NEXT) | instid1(VALU_DEP_1)
	v_lshlrev_b32_e32 v13, 20, v13
	v_or3_b32 v13, v180, v179, v13
.LBB4_2597:                             ;   in Loop: Header=BB4_2209 Depth=3
	s_or_b32 exec_lo, exec_lo, s16
	v_and_b32_e32 v180, 0xff, v10
	s_mov_b32 s13, 0
	s_mov_b32 s17, exec_lo
                                        ; implicit-def: $sgpr16
	s_delay_alu instid0(VALU_DEP_1)
	v_cmpx_lt_i16_e64 0x7f, v180
	s_xor_b32 s17, exec_lo, s17
	s_cbranch_execnz .LBB4_2915
; %bb.2598:                             ;   in Loop: Header=BB4_2209 Depth=3
	s_or_saveexec_b32 s17, s17
	v_mov_b32_e32 v179, s16
	s_xor_b32 exec_lo, exec_lo, s17
	s_cbranch_execnz .LBB4_2918
.LBB4_2599:                             ;   in Loop: Header=BB4_2209 Depth=3
	s_or_b32 exec_lo, exec_lo, s17
	s_and_saveexec_b32 s16, s13
	s_cbranch_execz .LBB4_2601
.LBB4_2600:                             ;   in Loop: Header=BB4_2209 Depth=3
	v_bfe_u32 v182, v10, 3, 4
	v_lshlrev_b32_e32 v183, 24, v10
	s_delay_alu instid0(VALU_DEP_2) | instskip(SKIP_1) | instid1(VALU_DEP_1)
	v_cmp_eq_u32_e32 vcc_lo, 0, v182
	v_and_b32_e32 v179, 7, v10
	v_clz_i32_u32_e32 v180, v179
	s_delay_alu instid0(VALU_DEP_1) | instskip(NEXT) | instid1(VALU_DEP_1)
	v_min_u32_e32 v180, 32, v180
	v_subrev_nc_u32_e32 v181, 28, v180
	v_sub_nc_u32_e32 v180, 29, v180
	s_delay_alu instid0(VALU_DEP_1) | instskip(NEXT) | instid1(VALU_DEP_1)
	v_dual_cndmask_b32 v180, v182, v180 :: v_dual_lshlrev_b32 v181, v181, v10
	v_and_b32_e32 v181, 7, v181
	s_delay_alu instid0(VALU_DEP_2) | instskip(NEXT) | instid1(VALU_DEP_2)
	v_lshl_add_u32 v180, v180, 23, 0x3b800000
	v_cndmask_b32_e32 v179, v179, v181, vcc_lo
	v_and_b32_e32 v181, 0x80000000, v183
	s_delay_alu instid0(VALU_DEP_2) | instskip(NEXT) | instid1(VALU_DEP_1)
	v_lshlrev_b32_e32 v179, 20, v179
	v_or3_b32 v179, v181, v180, v179
.LBB4_2601:                             ;   in Loop: Header=BB4_2209 Depth=3
	s_or_b32 exec_lo, exec_lo, s16
	s_delay_alu instid0(VALU_DEP_1) | instskip(NEXT) | instid1(VALU_DEP_1)
	v_add_f32_e32 v179, v13, v179
	v_and_b32_e32 v13, 0x7f800000, v179
	s_delay_alu instid0(VALU_DEP_1)
	v_cmp_ne_u32_e32 vcc_lo, 0x7f800000, v13
	v_mov_b32_e32 v13, 0x80
	s_and_saveexec_b32 s16, vcc_lo
	s_cbranch_execz .LBB4_2609
; %bb.2602:                             ;   in Loop: Header=BB4_2209 Depth=3
	v_mov_b32_e32 v13, 0
	s_mov_b32 s17, exec_lo
	v_cmpx_ne_u32_e32 0, v179
	s_cbranch_execz .LBB4_2608
; %bb.2603:                             ;   in Loop: Header=BB4_2209 Depth=3
	v_bfe_u32 v13, v179, 23, 8
	s_delay_alu instid0(VALU_DEP_1) | instskip(SKIP_1) | instid1(VALU_DEP_2)
	v_sub_nc_u32_e32 v181, 0x78, v13
	v_cmp_gt_u32_e32 vcc_lo, 0x79, v13
	v_dual_cndmask_b32 v181, 0, v181 :: v_dual_and_b32 v180, 0x7fffff, v179
	s_delay_alu instid0(VALU_DEP_1) | instskip(SKIP_2) | instid1(VALU_DEP_4)
	v_or_b32_e32 v182, 0x800000, v180
	v_cmp_eq_u32_e32 vcc_lo, 0, v13
	v_add_nc_u32_e32 v13, 0xffffff89, v13
	v_cndmask_b32_e64 v181, v181, 0x77, vcc_lo
	s_delay_alu instid0(VALU_DEP_4) | instskip(NEXT) | instid1(VALU_DEP_3)
	v_cndmask_b32_e32 v180, v182, v180, vcc_lo
	v_cndmask_b32_e64 v13, v13, 0xffffff8a, vcc_lo
	s_delay_alu instid0(VALU_DEP_3) | instskip(NEXT) | instid1(VALU_DEP_3)
	v_lshl_add_u32 v182, 0x100000, v181, -1
	v_lshrrev_b32_e32 v183, v181, v180
	v_lshlrev_b32_e64 v41, v181, 0x80000
	s_delay_alu instid0(VALU_DEP_4) | instskip(NEXT) | instid1(VALU_DEP_4)
	v_add_nc_u32_e32 v181, v181, v13
	v_and_b32_e32 v180, v182, v180
	s_delay_alu instid0(VALU_DEP_4) | instskip(NEXT) | instid1(VALU_DEP_2)
	v_bfe_u32 v40, v183, 20, 1
	v_cmp_eq_u32_e64 s13, v180, v41
	s_delay_alu instid0(VALU_DEP_2) | instskip(NEXT) | instid1(VALU_DEP_1)
	v_add_nc_u32_e32 v182, -1, v40
	v_cndmask_b32_e64 v180, 0, v182, s13
	v_lshrrev_b32_e32 v182, 23, v183
	s_mov_b32 s13, exec_lo
	s_delay_alu instid0(VALU_DEP_2) | instskip(NEXT) | instid1(VALU_DEP_2)
	v_add_nc_u32_e32 v180, v180, v183
	v_xor_b32_e32 v182, 1, v182
	s_delay_alu instid0(VALU_DEP_2) | instskip(NEXT) | instid1(VALU_DEP_1)
	v_and_b32_e32 v13, 0xfffff, v180
	v_add_nc_u32_e32 v180, v13, v183
                                        ; implicit-def: $vgpr13
	s_delay_alu instid0(VALU_DEP_3)
	v_cmpx_ne_u32_e64 v181, v182
	s_xor_b32 s13, exec_lo, s13
; %bb.2604:                             ;   in Loop: Header=BB4_2209 Depth=3
	s_delay_alu instid0(VALU_DEP_2) | instskip(SKIP_2) | instid1(VALU_DEP_2)
	v_cmp_lt_u32_e32 vcc_lo, 0xffffff, v180
	v_sub_nc_u32_e32 v13, v181, v182
	v_cndmask_b32_e64 v181, 0, 1, vcc_lo
	v_add_co_ci_u32_e32 v13, vcc_lo, 0, v13, vcc_lo
	s_delay_alu instid0(VALU_DEP_2)
	v_lshrrev_b32_e32 v180, v181, v180
; %bb.2605:                             ;   in Loop: Header=BB4_2209 Depth=3
	s_and_not1_saveexec_b32 s13, s13
; %bb.2606:                             ;   in Loop: Header=BB4_2209 Depth=3
	s_delay_alu instid0(VALU_DEP_1)
	v_bfe_u32 v13, v180, 23, 1
; %bb.2607:                             ;   in Loop: Header=BB4_2209 Depth=3
	s_or_b32 exec_lo, exec_lo, s13
	v_lshrrev_b32_e32 v180, 20, v180
	s_delay_alu instid0(VALU_DEP_2) | instskip(SKIP_2) | instid1(VALU_DEP_2)
	v_cmp_gt_i32_e32 vcc_lo, 16, v13
	v_lshrrev_b32_e32 v179, 24, v179
	v_min_i32_e32 v181, 15, v13
	v_dual_cndmask_b32 v180, 7, v180 :: v_dual_and_b32 v179, 0x80, v179
	s_delay_alu instid0(VALU_DEP_2) | instskip(NEXT) | instid1(VALU_DEP_2)
	v_lshlrev_b32_e32 v181, 3, v181
	v_or_b32_e32 v13, v13, v180
	s_delay_alu instid0(VALU_DEP_1) | instskip(SKIP_1) | instid1(VALU_DEP_1)
	v_cmp_ne_u32_e32 vcc_lo, 0, v13
	v_and_b32_e32 v182, 7, v180
	v_or3_b32 v179, v181, v179, v182
	s_delay_alu instid0(VALU_DEP_1)
	v_cndmask_b32_e32 v13, 0, v179, vcc_lo
.LBB4_2608:                             ;   in Loop: Header=BB4_2209 Depth=3
	s_or_b32 exec_lo, exec_lo, s17
.LBB4_2609:                             ;   in Loop: Header=BB4_2209 Depth=3
	s_delay_alu instid0(SALU_CYCLE_1) | instskip(SKIP_3) | instid1(VALU_DEP_1)
	s_or_b32 exec_lo, exec_lo, s16
	v_lshrrev_b16 v180, 8, v14
	s_mov_b32 s13, 0
	s_mov_b32 s17, exec_lo
                                        ; implicit-def: $sgpr16
	v_cmpx_lt_i16_e64 0x7f, v180
	s_xor_b32 s17, exec_lo, s17
	s_cbranch_execnz .LBB4_2919
; %bb.2610:                             ;   in Loop: Header=BB4_2209 Depth=3
	s_or_saveexec_b32 s17, s17
	v_mov_b32_e32 v179, s16
	s_xor_b32 exec_lo, exec_lo, s17
	s_cbranch_execnz .LBB4_2922
.LBB4_2611:                             ;   in Loop: Header=BB4_2209 Depth=3
	s_or_b32 exec_lo, exec_lo, s17
	s_and_saveexec_b32 s16, s13
	s_cbranch_execz .LBB4_2613
.LBB4_2612:                             ;   in Loop: Header=BB4_2209 Depth=3
	v_and_b32_e32 v179, 0xffff, v180
	s_delay_alu instid0(VALU_DEP_1) | instskip(NEXT) | instid1(VALU_DEP_1)
	v_and_b32_e32 v181, 7, v179
	v_clz_i32_u32_e32 v182, v181
	s_delay_alu instid0(VALU_DEP_1) | instskip(NEXT) | instid1(VALU_DEP_1)
	v_min_u32_e32 v182, 32, v182
	v_subrev_nc_u32_e32 v183, 28, v182
	v_sub_nc_u32_e32 v182, 29, v182
	s_delay_alu instid0(VALU_DEP_2) | instskip(SKIP_1) | instid1(VALU_DEP_2)
	v_lshlrev_b32_e32 v183, v183, v179
	v_bfe_u32 v179, v179, 3, 4
	v_and_b32_e32 v183, 7, v183
	s_delay_alu instid0(VALU_DEP_2) | instskip(SKIP_1) | instid1(VALU_DEP_1)
	v_cmp_eq_u32_e32 vcc_lo, 0, v179
	v_dual_cndmask_b32 v179, v179, v182 :: v_dual_lshlrev_b32 v180, 24, v180
	v_dual_cndmask_b32 v181, v181, v183 :: v_dual_and_b32 v180, 0x80000000, v180
	s_delay_alu instid0(VALU_DEP_2) | instskip(NEXT) | instid1(VALU_DEP_2)
	v_lshl_add_u32 v179, v179, 23, 0x3b800000
	v_lshlrev_b32_e32 v181, 20, v181
	s_delay_alu instid0(VALU_DEP_1)
	v_or3_b32 v179, v180, v179, v181
.LBB4_2613:                             ;   in Loop: Header=BB4_2209 Depth=3
	s_or_b32 exec_lo, exec_lo, s16
	v_lshrrev_b16 v180, 8, v10
	s_mov_b32 s13, 0
	s_mov_b32 s17, exec_lo
                                        ; implicit-def: $sgpr16
	s_delay_alu instid0(VALU_DEP_1)
	v_cmpx_lt_i16_e64 0x7f, v180
	s_xor_b32 s17, exec_lo, s17
	s_cbranch_execnz .LBB4_2923
; %bb.2614:                             ;   in Loop: Header=BB4_2209 Depth=3
	s_or_saveexec_b32 s17, s17
	v_mov_b32_e32 v181, s16
	s_xor_b32 exec_lo, exec_lo, s17
	s_cbranch_execnz .LBB4_2926
.LBB4_2615:                             ;   in Loop: Header=BB4_2209 Depth=3
	s_or_b32 exec_lo, exec_lo, s17
	s_and_saveexec_b32 s16, s13
	s_cbranch_execz .LBB4_2617
.LBB4_2616:                             ;   in Loop: Header=BB4_2209 Depth=3
	v_and_b32_e32 v181, 0xffff, v180
	v_lshlrev_b32_e32 v180, 24, v180
	s_delay_alu instid0(VALU_DEP_2) | instskip(NEXT) | instid1(VALU_DEP_2)
	v_and_b32_e32 v182, 7, v181
	v_and_b32_e32 v180, 0x80000000, v180
	s_delay_alu instid0(VALU_DEP_2) | instskip(NEXT) | instid1(VALU_DEP_1)
	v_clz_i32_u32_e32 v183, v182
	v_min_u32_e32 v183, 32, v183
	s_delay_alu instid0(VALU_DEP_1) | instskip(SKIP_1) | instid1(VALU_DEP_2)
	v_subrev_nc_u32_e32 v40, 28, v183
	v_sub_nc_u32_e32 v183, 29, v183
	v_lshlrev_b32_e32 v40, v40, v181
	v_bfe_u32 v181, v181, 3, 4
	s_delay_alu instid0(VALU_DEP_2) | instskip(NEXT) | instid1(VALU_DEP_2)
	v_and_b32_e32 v40, 7, v40
	v_cmp_eq_u32_e32 vcc_lo, 0, v181
	s_delay_alu instid0(VALU_DEP_2) | instskip(NEXT) | instid1(VALU_DEP_1)
	v_dual_cndmask_b32 v181, v181, v183 :: v_dual_cndmask_b32 v182, v182, v40
	v_lshl_add_u32 v181, v181, 23, 0x3b800000
	s_delay_alu instid0(VALU_DEP_2) | instskip(NEXT) | instid1(VALU_DEP_1)
	v_lshlrev_b32_e32 v182, 20, v182
	v_or3_b32 v181, v180, v181, v182
.LBB4_2617:                             ;   in Loop: Header=BB4_2209 Depth=3
	s_or_b32 exec_lo, exec_lo, s16
	s_delay_alu instid0(VALU_DEP_1) | instskip(NEXT) | instid1(VALU_DEP_1)
	v_add_f32_e32 v180, v179, v181
	v_and_b32_e32 v179, 0x7f800000, v180
	s_delay_alu instid0(VALU_DEP_1)
	v_cmp_ne_u32_e32 vcc_lo, 0x7f800000, v179
	v_mov_b32_e32 v179, 0x80
	s_and_saveexec_b32 s16, vcc_lo
	s_cbranch_execz .LBB4_2625
; %bb.2618:                             ;   in Loop: Header=BB4_2209 Depth=3
	v_mov_b32_e32 v179, 0
	s_mov_b32 s17, exec_lo
	v_cmpx_ne_u32_e32 0, v180
	s_cbranch_execz .LBB4_2624
; %bb.2619:                             ;   in Loop: Header=BB4_2209 Depth=3
	v_bfe_u32 v179, v180, 23, 8
	s_delay_alu instid0(VALU_DEP_1) | instskip(SKIP_1) | instid1(VALU_DEP_2)
	v_sub_nc_u32_e32 v182, 0x78, v179
	v_cmp_gt_u32_e32 vcc_lo, 0x79, v179
	v_dual_cndmask_b32 v182, 0, v182 :: v_dual_and_b32 v181, 0x7fffff, v180
	s_delay_alu instid0(VALU_DEP_1) | instskip(SKIP_2) | instid1(VALU_DEP_4)
	v_or_b32_e32 v183, 0x800000, v181
	v_cmp_eq_u32_e32 vcc_lo, 0, v179
	v_add_nc_u32_e32 v179, 0xffffff89, v179
	v_cndmask_b32_e64 v182, v182, 0x77, vcc_lo
	s_delay_alu instid0(VALU_DEP_2) | instskip(SKIP_1) | instid1(VALU_DEP_3)
	v_cndmask_b32_e64 v179, v179, 0xffffff8a, vcc_lo
	v_cndmask_b32_e32 v181, v183, v181, vcc_lo
	v_lshl_add_u32 v183, 0x100000, v182, -1
	v_lshlrev_b32_e64 v42, v182, 0x80000
	s_delay_alu instid0(VALU_DEP_3) | instskip(SKIP_1) | instid1(VALU_DEP_4)
	v_lshrrev_b32_e32 v40, v182, v181
	v_add_nc_u32_e32 v182, v182, v179
	v_and_b32_e32 v181, v183, v181
	s_delay_alu instid0(VALU_DEP_3) | instskip(NEXT) | instid1(VALU_DEP_2)
	v_bfe_u32 v41, v40, 20, 1
	v_cmp_eq_u32_e64 s13, v181, v42
	s_delay_alu instid0(VALU_DEP_2) | instskip(NEXT) | instid1(VALU_DEP_1)
	v_add_nc_u32_e32 v183, -1, v41
	v_cndmask_b32_e64 v181, 0, v183, s13
	v_lshrrev_b32_e32 v183, 23, v40
	s_mov_b32 s13, exec_lo
	s_delay_alu instid0(VALU_DEP_2) | instskip(NEXT) | instid1(VALU_DEP_2)
	v_add_nc_u32_e32 v181, v181, v40
	v_xor_b32_e32 v183, 1, v183
	s_delay_alu instid0(VALU_DEP_2) | instskip(NEXT) | instid1(VALU_DEP_1)
	v_and_b32_e32 v179, 0xfffff, v181
	v_add_nc_u32_e32 v181, v179, v40
                                        ; implicit-def: $vgpr179
	s_delay_alu instid0(VALU_DEP_3)
	v_cmpx_ne_u32_e64 v182, v183
	s_xor_b32 s13, exec_lo, s13
; %bb.2620:                             ;   in Loop: Header=BB4_2209 Depth=3
	s_delay_alu instid0(VALU_DEP_2) | instskip(SKIP_2) | instid1(VALU_DEP_2)
	v_cmp_lt_u32_e32 vcc_lo, 0xffffff, v181
	v_sub_nc_u32_e32 v179, v182, v183
	v_cndmask_b32_e64 v182, 0, 1, vcc_lo
	v_add_co_ci_u32_e32 v179, vcc_lo, 0, v179, vcc_lo
	s_delay_alu instid0(VALU_DEP_2)
	v_lshrrev_b32_e32 v181, v182, v181
; %bb.2621:                             ;   in Loop: Header=BB4_2209 Depth=3
	s_and_not1_saveexec_b32 s13, s13
; %bb.2622:                             ;   in Loop: Header=BB4_2209 Depth=3
	s_delay_alu instid0(VALU_DEP_1)
	v_bfe_u32 v179, v181, 23, 1
; %bb.2623:                             ;   in Loop: Header=BB4_2209 Depth=3
	s_or_b32 exec_lo, exec_lo, s13
	v_lshrrev_b32_e32 v181, 20, v181
	s_delay_alu instid0(VALU_DEP_2) | instskip(SKIP_2) | instid1(VALU_DEP_2)
	v_cmp_gt_i32_e32 vcc_lo, 16, v179
	v_lshrrev_b32_e32 v180, 24, v180
	v_min_i32_e32 v182, 15, v179
	v_dual_cndmask_b32 v181, 7, v181 :: v_dual_and_b32 v180, 0x80, v180
	s_delay_alu instid0(VALU_DEP_1) | instskip(SKIP_1) | instid1(VALU_DEP_2)
	v_or_b32_e32 v179, v179, v181
	v_and_b32_e32 v183, 7, v181
	v_cmp_ne_u32_e32 vcc_lo, 0, v179
	v_lshlrev_b32_e32 v182, 3, v182
	s_delay_alu instid0(VALU_DEP_1) | instskip(NEXT) | instid1(VALU_DEP_1)
	v_or3_b32 v180, v182, v180, v183
	v_cndmask_b32_e32 v179, 0, v180, vcc_lo
.LBB4_2624:                             ;   in Loop: Header=BB4_2209 Depth=3
	s_or_b32 exec_lo, exec_lo, s17
.LBB4_2625:                             ;   in Loop: Header=BB4_2209 Depth=3
	s_delay_alu instid0(SALU_CYCLE_1) | instskip(SKIP_3) | instid1(VALU_DEP_1)
	s_or_b32 exec_lo, exec_lo, s16
	v_lshrrev_b32_e32 v181, 16, v14
	s_mov_b32 s13, 0
	s_mov_b32 s17, exec_lo
                                        ; implicit-def: $sgpr16
	v_and_b32_e32 v182, 0xff, v181
	s_delay_alu instid0(VALU_DEP_1)
	v_cmpx_lt_i16_e64 0x7f, v182
	s_xor_b32 s17, exec_lo, s17
	s_cbranch_execnz .LBB4_2927
; %bb.2626:                             ;   in Loop: Header=BB4_2209 Depth=3
	s_or_saveexec_b32 s17, s17
	v_mov_b32_e32 v180, s16
	s_xor_b32 exec_lo, exec_lo, s17
	s_cbranch_execnz .LBB4_2930
.LBB4_2627:                             ;   in Loop: Header=BB4_2209 Depth=3
	s_or_b32 exec_lo, exec_lo, s17
	s_and_saveexec_b32 s16, s13
	s_cbranch_execz .LBB4_2629
.LBB4_2628:                             ;   in Loop: Header=BB4_2209 Depth=3
	v_bfe_u32 v180, v14, 16, 3
	v_lshlrev_b32_e32 v40, 8, v14
	s_delay_alu instid0(VALU_DEP_2) | instskip(NEXT) | instid1(VALU_DEP_1)
	v_clz_i32_u32_e32 v182, v180
	v_min_u32_e32 v182, 32, v182
	s_delay_alu instid0(VALU_DEP_1) | instskip(SKIP_1) | instid1(VALU_DEP_2)
	v_subrev_nc_u32_e32 v183, 28, v182
	v_sub_nc_u32_e32 v182, 29, v182
	v_lshlrev_b32_e32 v181, v183, v181
	v_bfe_u32 v183, v14, 19, 4
	s_delay_alu instid0(VALU_DEP_1) | instskip(NEXT) | instid1(VALU_DEP_3)
	v_cmp_eq_u32_e32 vcc_lo, 0, v183
	v_dual_cndmask_b32 v182, v183, v182 :: v_dual_and_b32 v181, 7, v181
	s_delay_alu instid0(VALU_DEP_1) | instskip(NEXT) | instid1(VALU_DEP_2)
	v_dual_cndmask_b32 v180, v180, v181 :: v_dual_and_b32 v181, 0x80000000, v40
	v_lshl_add_u32 v182, v182, 23, 0x3b800000
	s_delay_alu instid0(VALU_DEP_2) | instskip(NEXT) | instid1(VALU_DEP_1)
	v_lshlrev_b32_e32 v180, 20, v180
	v_or3_b32 v180, v181, v182, v180
.LBB4_2629:                             ;   in Loop: Header=BB4_2209 Depth=3
	s_or_b32 exec_lo, exec_lo, s16
	v_lshrrev_b32_e32 v181, 16, v10
	s_mov_b32 s13, 0
	s_mov_b32 s17, exec_lo
                                        ; implicit-def: $sgpr16
	s_delay_alu instid0(VALU_DEP_1) | instskip(NEXT) | instid1(VALU_DEP_1)
	v_and_b32_e32 v183, 0xff, v181
	v_cmpx_lt_i16_e64 0x7f, v183
	s_xor_b32 s17, exec_lo, s17
	s_cbranch_execnz .LBB4_2931
; %bb.2630:                             ;   in Loop: Header=BB4_2209 Depth=3
	s_or_saveexec_b32 s17, s17
	v_mov_b32_e32 v182, s16
	s_xor_b32 exec_lo, exec_lo, s17
	s_cbranch_execnz .LBB4_2934
.LBB4_2631:                             ;   in Loop: Header=BB4_2209 Depth=3
	s_or_b32 exec_lo, exec_lo, s17
	s_and_saveexec_b32 s16, s13
	s_cbranch_execz .LBB4_2633
.LBB4_2632:                             ;   in Loop: Header=BB4_2209 Depth=3
	v_bfe_u32 v182, v10, 16, 3
	v_lshlrev_b32_e32 v41, 8, v10
	s_delay_alu instid0(VALU_DEP_2) | instskip(NEXT) | instid1(VALU_DEP_1)
	v_clz_i32_u32_e32 v183, v182
	v_min_u32_e32 v183, 32, v183
	s_delay_alu instid0(VALU_DEP_1) | instskip(SKIP_1) | instid1(VALU_DEP_2)
	v_subrev_nc_u32_e32 v40, 28, v183
	v_sub_nc_u32_e32 v183, 29, v183
	v_lshlrev_b32_e32 v181, v40, v181
	v_bfe_u32 v40, v10, 19, 4
	s_delay_alu instid0(VALU_DEP_2) | instskip(NEXT) | instid1(VALU_DEP_2)
	v_and_b32_e32 v181, 7, v181
	v_cmp_eq_u32_e32 vcc_lo, 0, v40
	v_cndmask_b32_e32 v183, v40, v183, vcc_lo
	s_delay_alu instid0(VALU_DEP_3) | instskip(SKIP_1) | instid1(VALU_DEP_3)
	v_cndmask_b32_e32 v181, v182, v181, vcc_lo
	v_and_b32_e32 v182, 0x80000000, v41
	v_lshl_add_u32 v183, v183, 23, 0x3b800000
	s_delay_alu instid0(VALU_DEP_3) | instskip(NEXT) | instid1(VALU_DEP_1)
	v_lshlrev_b32_e32 v181, 20, v181
	v_or3_b32 v182, v182, v183, v181
.LBB4_2633:                             ;   in Loop: Header=BB4_2209 Depth=3
	s_or_b32 exec_lo, exec_lo, s16
	s_delay_alu instid0(VALU_DEP_1) | instskip(NEXT) | instid1(VALU_DEP_1)
	v_add_f32_e32 v181, v180, v182
	v_and_b32_e32 v180, 0x7f800000, v181
	s_delay_alu instid0(VALU_DEP_1)
	v_cmp_ne_u32_e32 vcc_lo, 0x7f800000, v180
	v_mov_b32_e32 v180, 0x80
	s_and_saveexec_b32 s16, vcc_lo
	s_cbranch_execz .LBB4_2641
; %bb.2634:                             ;   in Loop: Header=BB4_2209 Depth=3
	v_mov_b32_e32 v180, 0
	s_mov_b32 s17, exec_lo
	v_cmpx_ne_u32_e32 0, v181
	s_cbranch_execz .LBB4_2640
; %bb.2635:                             ;   in Loop: Header=BB4_2209 Depth=3
	v_bfe_u32 v180, v181, 23, 8
	s_delay_alu instid0(VALU_DEP_1) | instskip(SKIP_1) | instid1(VALU_DEP_2)
	v_sub_nc_u32_e32 v183, 0x78, v180
	v_cmp_gt_u32_e32 vcc_lo, 0x79, v180
	v_dual_cndmask_b32 v183, 0, v183 :: v_dual_and_b32 v182, 0x7fffff, v181
	s_delay_alu instid0(VALU_DEP_1) | instskip(SKIP_2) | instid1(VALU_DEP_4)
	v_or_b32_e32 v40, 0x800000, v182
	v_cmp_eq_u32_e32 vcc_lo, 0, v180
	v_add_nc_u32_e32 v180, 0xffffff89, v180
	v_cndmask_b32_e64 v183, v183, 0x77, vcc_lo
	s_delay_alu instid0(VALU_DEP_2) | instskip(SKIP_1) | instid1(VALU_DEP_3)
	v_cndmask_b32_e64 v180, v180, 0xffffff8a, vcc_lo
	v_cndmask_b32_e32 v182, v40, v182, vcc_lo
	v_lshl_add_u32 v40, 0x100000, v183, -1
	v_lshlrev_b32_e64 v43, v183, 0x80000
	s_delay_alu instid0(VALU_DEP_3) | instskip(SKIP_1) | instid1(VALU_DEP_4)
	v_lshrrev_b32_e32 v41, v183, v182
	v_add_nc_u32_e32 v183, v183, v180
	v_and_b32_e32 v182, v40, v182
	s_delay_alu instid0(VALU_DEP_3) | instskip(NEXT) | instid1(VALU_DEP_2)
	v_bfe_u32 v42, v41, 20, 1
	v_cmp_eq_u32_e64 s13, v182, v43
	s_delay_alu instid0(VALU_DEP_2) | instskip(NEXT) | instid1(VALU_DEP_1)
	v_add_nc_u32_e32 v40, -1, v42
	v_cndmask_b32_e64 v182, 0, v40, s13
	v_lshrrev_b32_e32 v40, 23, v41
	s_mov_b32 s13, exec_lo
	s_delay_alu instid0(VALU_DEP_2) | instskip(NEXT) | instid1(VALU_DEP_2)
	v_add_nc_u32_e32 v182, v182, v41
	v_xor_b32_e32 v40, 1, v40
	s_delay_alu instid0(VALU_DEP_2) | instskip(NEXT) | instid1(VALU_DEP_1)
	v_and_b32_e32 v180, 0xfffff, v182
	v_add_nc_u32_e32 v182, v180, v41
                                        ; implicit-def: $vgpr180
	s_delay_alu instid0(VALU_DEP_3)
	v_cmpx_ne_u32_e64 v183, v40
	s_xor_b32 s13, exec_lo, s13
; %bb.2636:                             ;   in Loop: Header=BB4_2209 Depth=3
	s_delay_alu instid0(VALU_DEP_2) | instskip(SKIP_2) | instid1(VALU_DEP_2)
	v_cmp_lt_u32_e32 vcc_lo, 0xffffff, v182
	v_sub_nc_u32_e32 v180, v183, v40
	v_cndmask_b32_e64 v183, 0, 1, vcc_lo
	v_add_co_ci_u32_e32 v180, vcc_lo, 0, v180, vcc_lo
	s_delay_alu instid0(VALU_DEP_2)
	v_lshrrev_b32_e32 v182, v183, v182
; %bb.2637:                             ;   in Loop: Header=BB4_2209 Depth=3
	s_and_not1_saveexec_b32 s13, s13
; %bb.2638:                             ;   in Loop: Header=BB4_2209 Depth=3
	s_delay_alu instid0(VALU_DEP_1)
	v_bfe_u32 v180, v182, 23, 1
; %bb.2639:                             ;   in Loop: Header=BB4_2209 Depth=3
	s_or_b32 exec_lo, exec_lo, s13
	v_lshrrev_b32_e32 v182, 20, v182
	s_delay_alu instid0(VALU_DEP_2) | instskip(SKIP_2) | instid1(VALU_DEP_2)
	v_cmp_gt_i32_e32 vcc_lo, 16, v180
	v_lshrrev_b32_e32 v181, 24, v181
	v_min_i32_e32 v183, 15, v180
	v_dual_cndmask_b32 v182, 7, v182 :: v_dual_and_b32 v181, 0x80, v181
	s_delay_alu instid0(VALU_DEP_1) | instskip(SKIP_1) | instid1(VALU_DEP_2)
	v_or_b32_e32 v180, v180, v182
	v_and_b32_e32 v40, 7, v182
	v_cmp_ne_u32_e32 vcc_lo, 0, v180
	v_lshlrev_b32_e32 v183, 3, v183
	s_delay_alu instid0(VALU_DEP_1) | instskip(NEXT) | instid1(VALU_DEP_1)
	v_or3_b32 v181, v183, v181, v40
	v_cndmask_b32_e32 v180, 0, v181, vcc_lo
.LBB4_2640:                             ;   in Loop: Header=BB4_2209 Depth=3
	s_or_b32 exec_lo, exec_lo, s17
.LBB4_2641:                             ;   in Loop: Header=BB4_2209 Depth=3
	s_delay_alu instid0(SALU_CYCLE_1) | instskip(SKIP_3) | instid1(VALU_DEP_1)
	s_or_b32 exec_lo, exec_lo, s16
	v_lshrrev_b32_e32 v182, 24, v14
	s_mov_b32 s13, 0
	s_mov_b32 s17, exec_lo
                                        ; implicit-def: $sgpr16
	v_cmpx_lt_i16_e64 0x7f, v182
	s_xor_b32 s17, exec_lo, s17
	s_cbranch_execnz .LBB4_2935
; %bb.2642:                             ;   in Loop: Header=BB4_2209 Depth=3
	s_or_saveexec_b32 s17, s17
	v_mov_b32_e32 v181, s16
	s_xor_b32 exec_lo, exec_lo, s17
	s_cbranch_execnz .LBB4_2938
.LBB4_2643:                             ;   in Loop: Header=BB4_2209 Depth=3
	s_or_b32 exec_lo, exec_lo, s17
	s_and_saveexec_b32 s16, s13
	s_cbranch_execz .LBB4_2645
.LBB4_2644:                             ;   in Loop: Header=BB4_2209 Depth=3
	v_bfe_u32 v181, v14, 24, 3
	s_delay_alu instid0(VALU_DEP_1) | instskip(NEXT) | instid1(VALU_DEP_1)
	v_clz_i32_u32_e32 v183, v181
	v_min_u32_e32 v183, 32, v183
	s_delay_alu instid0(VALU_DEP_1) | instskip(SKIP_1) | instid1(VALU_DEP_2)
	v_subrev_nc_u32_e32 v40, 28, v183
	v_sub_nc_u32_e32 v183, 29, v183
	v_lshlrev_b32_e32 v182, v40, v182
	v_bfe_u32 v40, v14, 27, 4
	v_and_b32_e32 v14, 0x80000000, v14
	s_delay_alu instid0(VALU_DEP_2) | instskip(NEXT) | instid1(VALU_DEP_4)
	v_cmp_eq_u32_e32 vcc_lo, 0, v40
	v_dual_cndmask_b32 v183, v40, v183 :: v_dual_and_b32 v182, 7, v182
	s_delay_alu instid0(VALU_DEP_1) | instskip(NEXT) | instid1(VALU_DEP_2)
	v_cndmask_b32_e32 v181, v181, v182, vcc_lo
	v_lshl_add_u32 v182, v183, 23, 0x3b800000
	s_delay_alu instid0(VALU_DEP_2) | instskip(NEXT) | instid1(VALU_DEP_1)
	v_lshlrev_b32_e32 v181, 20, v181
	v_or3_b32 v181, v14, v182, v181
.LBB4_2645:                             ;   in Loop: Header=BB4_2209 Depth=3
	s_or_b32 exec_lo, exec_lo, s16
	v_lshrrev_b32_e32 v14, 24, v10
	s_mov_b32 s13, 0
	s_mov_b32 s17, exec_lo
                                        ; implicit-def: $sgpr16
	s_delay_alu instid0(VALU_DEP_1)
	v_cmpx_lt_i16_e32 0x7f, v14
	s_xor_b32 s17, exec_lo, s17
	s_cbranch_execnz .LBB4_2939
; %bb.2646:                             ;   in Loop: Header=BB4_2209 Depth=3
	s_or_saveexec_b32 s17, s17
	v_mov_b32_e32 v182, s16
	s_xor_b32 exec_lo, exec_lo, s17
	s_cbranch_execnz .LBB4_2942
.LBB4_2647:                             ;   in Loop: Header=BB4_2209 Depth=3
	s_or_b32 exec_lo, exec_lo, s17
	s_and_saveexec_b32 s16, s13
	s_cbranch_execz .LBB4_2649
.LBB4_2648:                             ;   in Loop: Header=BB4_2209 Depth=3
	v_bfe_u32 v182, v10, 24, 3
	s_delay_alu instid0(VALU_DEP_1) | instskip(NEXT) | instid1(VALU_DEP_1)
	v_clz_i32_u32_e32 v183, v182
	v_min_u32_e32 v183, 32, v183
	s_delay_alu instid0(VALU_DEP_1) | instskip(SKIP_1) | instid1(VALU_DEP_2)
	v_subrev_nc_u32_e32 v40, 28, v183
	v_sub_nc_u32_e32 v183, 29, v183
	v_lshlrev_b32_e32 v14, v40, v14
	v_bfe_u32 v40, v10, 27, 4
	v_and_b32_e32 v10, 0x80000000, v10
	s_delay_alu instid0(VALU_DEP_2) | instskip(NEXT) | instid1(VALU_DEP_4)
	v_cmp_eq_u32_e32 vcc_lo, 0, v40
	v_dual_cndmask_b32 v183, v40, v183 :: v_dual_and_b32 v14, 7, v14
	s_delay_alu instid0(VALU_DEP_1) | instskip(NEXT) | instid1(VALU_DEP_2)
	v_cndmask_b32_e32 v14, v182, v14, vcc_lo
	v_lshl_add_u32 v182, v183, 23, 0x3b800000
	s_delay_alu instid0(VALU_DEP_2) | instskip(NEXT) | instid1(VALU_DEP_1)
	v_lshlrev_b32_e32 v14, 20, v14
	v_or3_b32 v182, v10, v182, v14
.LBB4_2649:                             ;   in Loop: Header=BB4_2209 Depth=3
	s_or_b32 exec_lo, exec_lo, s16
	s_delay_alu instid0(VALU_DEP_1) | instskip(NEXT) | instid1(VALU_DEP_1)
	v_add_f32_e32 v14, v181, v182
	v_and_b32_e32 v10, 0x7f800000, v14
	s_delay_alu instid0(VALU_DEP_1)
	v_cmp_ne_u32_e32 vcc_lo, 0x7f800000, v10
	v_mov_b32_e32 v10, 0x80
	s_and_saveexec_b32 s16, vcc_lo
	s_cbranch_execz .LBB4_2657
; %bb.2650:                             ;   in Loop: Header=BB4_2209 Depth=3
	v_mov_b32_e32 v10, 0
	s_mov_b32 s17, exec_lo
	v_cmpx_ne_u32_e32 0, v14
	s_cbranch_execz .LBB4_2656
; %bb.2651:                             ;   in Loop: Header=BB4_2209 Depth=3
	v_bfe_u32 v10, v14, 23, 8
	v_and_b32_e32 v181, 0x7fffff, v14
	s_delay_alu instid0(VALU_DEP_2) | instskip(SKIP_1) | instid1(VALU_DEP_3)
	v_sub_nc_u32_e32 v182, 0x78, v10
	v_cmp_gt_u32_e32 vcc_lo, 0x79, v10
	v_or_b32_e32 v183, 0x800000, v181
	s_delay_alu instid0(VALU_DEP_3) | instskip(SKIP_1) | instid1(VALU_DEP_3)
	v_cndmask_b32_e32 v182, 0, v182, vcc_lo
	v_cmp_eq_u32_e32 vcc_lo, 0, v10
	v_dual_cndmask_b32 v181, v183, v181 :: v_dual_add_nc_u32 v10, 0xffffff89, v10
	s_delay_alu instid0(VALU_DEP_3) | instskip(NEXT) | instid1(VALU_DEP_2)
	v_cndmask_b32_e64 v182, v182, 0x77, vcc_lo
	v_cndmask_b32_e64 v10, v10, 0xffffff8a, vcc_lo
	s_delay_alu instid0(VALU_DEP_2) | instskip(SKIP_2) | instid1(VALU_DEP_4)
	v_lshrrev_b32_e32 v40, v182, v181
	v_lshl_add_u32 v183, 0x100000, v182, -1
	v_lshlrev_b32_e64 v42, v182, 0x80000
	v_add_nc_u32_e32 v182, v182, v10
	s_delay_alu instid0(VALU_DEP_4) | instskip(NEXT) | instid1(VALU_DEP_4)
	v_bfe_u32 v41, v40, 20, 1
	v_and_b32_e32 v181, v183, v181
	s_delay_alu instid0(VALU_DEP_2) | instskip(NEXT) | instid1(VALU_DEP_2)
	v_add_nc_u32_e32 v183, -1, v41
	v_cmp_eq_u32_e64 s13, v181, v42
	s_delay_alu instid0(VALU_DEP_1) | instskip(SKIP_2) | instid1(VALU_DEP_2)
	v_cndmask_b32_e64 v181, 0, v183, s13
	v_lshrrev_b32_e32 v183, 23, v40
	s_mov_b32 s13, exec_lo
	v_add_nc_u32_e32 v181, v181, v40
	s_delay_alu instid0(VALU_DEP_2) | instskip(NEXT) | instid1(VALU_DEP_2)
	v_xor_b32_e32 v183, 1, v183
	v_and_b32_e32 v10, 0xfffff, v181
	s_delay_alu instid0(VALU_DEP_1) | instskip(NEXT) | instid1(VALU_DEP_3)
	v_add_nc_u32_e32 v181, v10, v40
                                        ; implicit-def: $vgpr10
	v_cmpx_ne_u32_e64 v182, v183
	s_xor_b32 s13, exec_lo, s13
; %bb.2652:                             ;   in Loop: Header=BB4_2209 Depth=3
	s_delay_alu instid0(VALU_DEP_2) | instskip(SKIP_2) | instid1(VALU_DEP_2)
	v_cmp_lt_u32_e32 vcc_lo, 0xffffff, v181
	v_sub_nc_u32_e32 v10, v182, v183
	v_cndmask_b32_e64 v182, 0, 1, vcc_lo
	v_add_co_ci_u32_e32 v10, vcc_lo, 0, v10, vcc_lo
	s_delay_alu instid0(VALU_DEP_2)
	v_lshrrev_b32_e32 v181, v182, v181
; %bb.2653:                             ;   in Loop: Header=BB4_2209 Depth=3
	s_and_not1_saveexec_b32 s13, s13
; %bb.2654:                             ;   in Loop: Header=BB4_2209 Depth=3
	s_delay_alu instid0(VALU_DEP_1)
	v_bfe_u32 v10, v181, 23, 1
; %bb.2655:                             ;   in Loop: Header=BB4_2209 Depth=3
	s_or_b32 exec_lo, exec_lo, s13
	v_lshrrev_b32_e32 v181, 20, v181
	s_delay_alu instid0(VALU_DEP_2) | instskip(SKIP_2) | instid1(VALU_DEP_2)
	v_cmp_gt_i32_e32 vcc_lo, 16, v10
	v_lshrrev_b32_e32 v14, 24, v14
	v_min_i32_e32 v182, 15, v10
	v_dual_cndmask_b32 v181, 7, v181 :: v_dual_and_b32 v14, 0x80, v14
	s_delay_alu instid0(VALU_DEP_2) | instskip(NEXT) | instid1(VALU_DEP_2)
	v_lshlrev_b32_e32 v182, 3, v182
	v_or_b32_e32 v10, v10, v181
	s_delay_alu instid0(VALU_DEP_1) | instskip(SKIP_1) | instid1(VALU_DEP_1)
	v_cmp_ne_u32_e32 vcc_lo, 0, v10
	v_and_b32_e32 v183, 7, v181
	v_or3_b32 v14, v182, v14, v183
	s_delay_alu instid0(VALU_DEP_1)
	v_cndmask_b32_e32 v10, 0, v14, vcc_lo
.LBB4_2656:                             ;   in Loop: Header=BB4_2209 Depth=3
	s_or_b32 exec_lo, exec_lo, s17
.LBB4_2657:                             ;   in Loop: Header=BB4_2209 Depth=3
	s_delay_alu instid0(SALU_CYCLE_1) | instskip(SKIP_3) | instid1(VALU_DEP_1)
	s_or_b32 exec_lo, exec_lo, s16
	v_and_b32_e32 v181, 0xff, v15
	s_mov_b32 s13, 0
	s_mov_b32 s17, exec_lo
                                        ; implicit-def: $sgpr16
	v_cmpx_lt_i16_e64 0x7f, v181
	s_xor_b32 s17, exec_lo, s17
	s_cbranch_execnz .LBB4_2943
; %bb.2658:                             ;   in Loop: Header=BB4_2209 Depth=3
	s_or_saveexec_b32 s17, s17
	v_mov_b32_e32 v14, s16
	s_xor_b32 exec_lo, exec_lo, s17
	s_cbranch_execnz .LBB4_2946
.LBB4_2659:                             ;   in Loop: Header=BB4_2209 Depth=3
	s_or_b32 exec_lo, exec_lo, s17
	s_and_saveexec_b32 s16, s13
	s_cbranch_execz .LBB4_2661
.LBB4_2660:                             ;   in Loop: Header=BB4_2209 Depth=3
	v_bfe_u32 v183, v15, 3, 4
	v_lshlrev_b32_e32 v40, 24, v15
	s_delay_alu instid0(VALU_DEP_2) | instskip(SKIP_1) | instid1(VALU_DEP_1)
	v_cmp_eq_u32_e32 vcc_lo, 0, v183
	v_and_b32_e32 v14, 7, v15
	v_clz_i32_u32_e32 v181, v14
	s_delay_alu instid0(VALU_DEP_1) | instskip(NEXT) | instid1(VALU_DEP_1)
	v_min_u32_e32 v181, 32, v181
	v_subrev_nc_u32_e32 v182, 28, v181
	v_sub_nc_u32_e32 v181, 29, v181
	s_delay_alu instid0(VALU_DEP_1) | instskip(NEXT) | instid1(VALU_DEP_1)
	v_dual_cndmask_b32 v181, v183, v181 :: v_dual_lshlrev_b32 v182, v182, v15
	v_and_b32_e32 v182, 7, v182
	s_delay_alu instid0(VALU_DEP_2) | instskip(NEXT) | instid1(VALU_DEP_2)
	v_lshl_add_u32 v181, v181, 23, 0x3b800000
	v_cndmask_b32_e32 v14, v14, v182, vcc_lo
	v_and_b32_e32 v182, 0x80000000, v40
	s_delay_alu instid0(VALU_DEP_2) | instskip(NEXT) | instid1(VALU_DEP_1)
	v_lshlrev_b32_e32 v14, 20, v14
	v_or3_b32 v14, v182, v181, v14
.LBB4_2661:                             ;   in Loop: Header=BB4_2209 Depth=3
	s_or_b32 exec_lo, exec_lo, s16
	v_and_b32_e32 v182, 0xff, v11
	s_mov_b32 s13, 0
	s_mov_b32 s17, exec_lo
                                        ; implicit-def: $sgpr16
	s_delay_alu instid0(VALU_DEP_1)
	v_cmpx_lt_i16_e64 0x7f, v182
	s_xor_b32 s17, exec_lo, s17
	s_cbranch_execnz .LBB4_2947
; %bb.2662:                             ;   in Loop: Header=BB4_2209 Depth=3
	s_or_saveexec_b32 s17, s17
	v_mov_b32_e32 v181, s16
	s_xor_b32 exec_lo, exec_lo, s17
	s_cbranch_execnz .LBB4_2950
.LBB4_2663:                             ;   in Loop: Header=BB4_2209 Depth=3
	s_or_b32 exec_lo, exec_lo, s17
	s_and_saveexec_b32 s16, s13
	s_cbranch_execz .LBB4_2665
.LBB4_2664:                             ;   in Loop: Header=BB4_2209 Depth=3
	v_bfe_u32 v40, v11, 3, 4
	v_lshlrev_b32_e32 v41, 24, v11
	s_delay_alu instid0(VALU_DEP_2) | instskip(SKIP_1) | instid1(VALU_DEP_1)
	v_cmp_eq_u32_e32 vcc_lo, 0, v40
	v_and_b32_e32 v181, 7, v11
	v_clz_i32_u32_e32 v182, v181
	s_delay_alu instid0(VALU_DEP_1) | instskip(NEXT) | instid1(VALU_DEP_1)
	v_min_u32_e32 v182, 32, v182
	v_subrev_nc_u32_e32 v183, 28, v182
	v_sub_nc_u32_e32 v182, 29, v182
	s_delay_alu instid0(VALU_DEP_1) | instskip(NEXT) | instid1(VALU_DEP_1)
	v_dual_cndmask_b32 v182, v40, v182 :: v_dual_lshlrev_b32 v183, v183, v11
	v_and_b32_e32 v183, 7, v183
	s_delay_alu instid0(VALU_DEP_2) | instskip(NEXT) | instid1(VALU_DEP_2)
	v_lshl_add_u32 v182, v182, 23, 0x3b800000
	v_cndmask_b32_e32 v181, v181, v183, vcc_lo
	v_and_b32_e32 v183, 0x80000000, v41
	s_delay_alu instid0(VALU_DEP_2) | instskip(NEXT) | instid1(VALU_DEP_1)
	v_lshlrev_b32_e32 v181, 20, v181
	v_or3_b32 v181, v183, v182, v181
.LBB4_2665:                             ;   in Loop: Header=BB4_2209 Depth=3
	s_or_b32 exec_lo, exec_lo, s16
	s_delay_alu instid0(VALU_DEP_1) | instskip(NEXT) | instid1(VALU_DEP_1)
	v_add_f32_e32 v181, v14, v181
	v_and_b32_e32 v14, 0x7f800000, v181
	s_delay_alu instid0(VALU_DEP_1)
	v_cmp_ne_u32_e32 vcc_lo, 0x7f800000, v14
	v_mov_b32_e32 v14, 0x80
	s_and_saveexec_b32 s16, vcc_lo
	s_cbranch_execz .LBB4_2673
; %bb.2666:                             ;   in Loop: Header=BB4_2209 Depth=3
	v_mov_b32_e32 v14, 0
	s_mov_b32 s17, exec_lo
	v_cmpx_ne_u32_e32 0, v181
	s_cbranch_execz .LBB4_2672
; %bb.2667:                             ;   in Loop: Header=BB4_2209 Depth=3
	v_bfe_u32 v14, v181, 23, 8
	s_delay_alu instid0(VALU_DEP_1) | instskip(SKIP_1) | instid1(VALU_DEP_2)
	v_sub_nc_u32_e32 v183, 0x78, v14
	v_cmp_gt_u32_e32 vcc_lo, 0x79, v14
	v_dual_cndmask_b32 v183, 0, v183 :: v_dual_and_b32 v182, 0x7fffff, v181
	s_delay_alu instid0(VALU_DEP_1) | instskip(SKIP_2) | instid1(VALU_DEP_4)
	v_or_b32_e32 v40, 0x800000, v182
	v_cmp_eq_u32_e32 vcc_lo, 0, v14
	v_add_nc_u32_e32 v14, 0xffffff89, v14
	v_cndmask_b32_e64 v183, v183, 0x77, vcc_lo
	s_delay_alu instid0(VALU_DEP_4) | instskip(NEXT) | instid1(VALU_DEP_3)
	v_cndmask_b32_e32 v182, v40, v182, vcc_lo
	v_cndmask_b32_e64 v14, v14, 0xffffff8a, vcc_lo
	s_delay_alu instid0(VALU_DEP_3) | instskip(NEXT) | instid1(VALU_DEP_3)
	v_lshl_add_u32 v40, 0x100000, v183, -1
	v_lshrrev_b32_e32 v41, v183, v182
	v_lshlrev_b32_e64 v43, v183, 0x80000
	s_delay_alu instid0(VALU_DEP_4) | instskip(NEXT) | instid1(VALU_DEP_4)
	v_add_nc_u32_e32 v183, v183, v14
	v_and_b32_e32 v182, v40, v182
	s_delay_alu instid0(VALU_DEP_4) | instskip(NEXT) | instid1(VALU_DEP_2)
	v_bfe_u32 v42, v41, 20, 1
	v_cmp_eq_u32_e64 s13, v182, v43
	s_delay_alu instid0(VALU_DEP_2) | instskip(NEXT) | instid1(VALU_DEP_1)
	v_add_nc_u32_e32 v40, -1, v42
	v_cndmask_b32_e64 v182, 0, v40, s13
	v_lshrrev_b32_e32 v40, 23, v41
	s_mov_b32 s13, exec_lo
	s_delay_alu instid0(VALU_DEP_2) | instskip(NEXT) | instid1(VALU_DEP_2)
	v_add_nc_u32_e32 v182, v182, v41
	v_xor_b32_e32 v40, 1, v40
	s_delay_alu instid0(VALU_DEP_2) | instskip(NEXT) | instid1(VALU_DEP_1)
	v_and_b32_e32 v14, 0xfffff, v182
	v_add_nc_u32_e32 v182, v14, v41
                                        ; implicit-def: $vgpr14
	s_delay_alu instid0(VALU_DEP_3)
	v_cmpx_ne_u32_e64 v183, v40
	s_xor_b32 s13, exec_lo, s13
; %bb.2668:                             ;   in Loop: Header=BB4_2209 Depth=3
	s_delay_alu instid0(VALU_DEP_2) | instskip(SKIP_2) | instid1(VALU_DEP_2)
	v_cmp_lt_u32_e32 vcc_lo, 0xffffff, v182
	v_sub_nc_u32_e32 v14, v183, v40
	v_cndmask_b32_e64 v183, 0, 1, vcc_lo
	v_add_co_ci_u32_e32 v14, vcc_lo, 0, v14, vcc_lo
	s_delay_alu instid0(VALU_DEP_2)
	v_lshrrev_b32_e32 v182, v183, v182
; %bb.2669:                             ;   in Loop: Header=BB4_2209 Depth=3
	s_and_not1_saveexec_b32 s13, s13
; %bb.2670:                             ;   in Loop: Header=BB4_2209 Depth=3
	s_delay_alu instid0(VALU_DEP_1)
	v_bfe_u32 v14, v182, 23, 1
; %bb.2671:                             ;   in Loop: Header=BB4_2209 Depth=3
	s_or_b32 exec_lo, exec_lo, s13
	v_lshrrev_b32_e32 v182, 20, v182
	s_delay_alu instid0(VALU_DEP_2) | instskip(SKIP_2) | instid1(VALU_DEP_2)
	v_cmp_gt_i32_e32 vcc_lo, 16, v14
	v_lshrrev_b32_e32 v181, 24, v181
	v_min_i32_e32 v183, 15, v14
	v_dual_cndmask_b32 v182, 7, v182 :: v_dual_and_b32 v181, 0x80, v181
	s_delay_alu instid0(VALU_DEP_1) | instskip(SKIP_1) | instid1(VALU_DEP_2)
	v_or_b32_e32 v14, v14, v182
	v_and_b32_e32 v40, 7, v182
	v_cmp_ne_u32_e32 vcc_lo, 0, v14
	v_lshlrev_b32_e32 v183, 3, v183
	s_delay_alu instid0(VALU_DEP_1) | instskip(NEXT) | instid1(VALU_DEP_1)
	v_or3_b32 v181, v183, v181, v40
	v_cndmask_b32_e32 v14, 0, v181, vcc_lo
.LBB4_2672:                             ;   in Loop: Header=BB4_2209 Depth=3
	s_or_b32 exec_lo, exec_lo, s17
.LBB4_2673:                             ;   in Loop: Header=BB4_2209 Depth=3
	s_delay_alu instid0(SALU_CYCLE_1) | instskip(SKIP_3) | instid1(VALU_DEP_1)
	s_or_b32 exec_lo, exec_lo, s16
	v_lshrrev_b16 v182, 8, v15
	s_mov_b32 s13, 0
	s_mov_b32 s17, exec_lo
                                        ; implicit-def: $sgpr16
	v_cmpx_lt_i16_e64 0x7f, v182
	s_xor_b32 s17, exec_lo, s17
	s_cbranch_execnz .LBB4_2951
; %bb.2674:                             ;   in Loop: Header=BB4_2209 Depth=3
	s_or_saveexec_b32 s17, s17
	v_mov_b32_e32 v181, s16
	s_xor_b32 exec_lo, exec_lo, s17
	s_cbranch_execnz .LBB4_2954
.LBB4_2675:                             ;   in Loop: Header=BB4_2209 Depth=3
	s_or_b32 exec_lo, exec_lo, s17
	s_and_saveexec_b32 s16, s13
	s_cbranch_execz .LBB4_2677
.LBB4_2676:                             ;   in Loop: Header=BB4_2209 Depth=3
	v_and_b32_e32 v181, 0xffff, v182
	s_delay_alu instid0(VALU_DEP_1) | instskip(NEXT) | instid1(VALU_DEP_1)
	v_and_b32_e32 v183, 7, v181
	v_clz_i32_u32_e32 v40, v183
	s_delay_alu instid0(VALU_DEP_1) | instskip(NEXT) | instid1(VALU_DEP_1)
	v_min_u32_e32 v40, 32, v40
	v_subrev_nc_u32_e32 v41, 28, v40
	v_sub_nc_u32_e32 v40, 29, v40
	s_delay_alu instid0(VALU_DEP_2) | instskip(SKIP_1) | instid1(VALU_DEP_2)
	v_lshlrev_b32_e32 v41, v41, v181
	v_bfe_u32 v181, v181, 3, 4
	v_and_b32_e32 v41, 7, v41
	s_delay_alu instid0(VALU_DEP_2) | instskip(SKIP_1) | instid1(VALU_DEP_1)
	v_cmp_eq_u32_e32 vcc_lo, 0, v181
	v_dual_cndmask_b32 v181, v181, v40 :: v_dual_lshlrev_b32 v182, 24, v182
	v_dual_cndmask_b32 v183, v183, v41 :: v_dual_and_b32 v182, 0x80000000, v182
	s_delay_alu instid0(VALU_DEP_2) | instskip(NEXT) | instid1(VALU_DEP_2)
	v_lshl_add_u32 v181, v181, 23, 0x3b800000
	v_lshlrev_b32_e32 v183, 20, v183
	s_delay_alu instid0(VALU_DEP_1)
	v_or3_b32 v181, v182, v181, v183
.LBB4_2677:                             ;   in Loop: Header=BB4_2209 Depth=3
	s_or_b32 exec_lo, exec_lo, s16
	v_lshrrev_b16 v182, 8, v11
	s_mov_b32 s13, 0
	s_mov_b32 s17, exec_lo
                                        ; implicit-def: $sgpr16
	s_delay_alu instid0(VALU_DEP_1)
	v_cmpx_lt_i16_e64 0x7f, v182
	s_xor_b32 s17, exec_lo, s17
	s_cbranch_execnz .LBB4_2955
; %bb.2678:                             ;   in Loop: Header=BB4_2209 Depth=3
	s_or_saveexec_b32 s17, s17
	v_mov_b32_e32 v183, s16
	s_xor_b32 exec_lo, exec_lo, s17
	s_cbranch_execnz .LBB4_2958
.LBB4_2679:                             ;   in Loop: Header=BB4_2209 Depth=3
	s_or_b32 exec_lo, exec_lo, s17
	s_and_saveexec_b32 s16, s13
	s_cbranch_execz .LBB4_2681
.LBB4_2680:                             ;   in Loop: Header=BB4_2209 Depth=3
	v_and_b32_e32 v183, 0xffff, v182
	v_lshlrev_b32_e32 v182, 24, v182
	s_delay_alu instid0(VALU_DEP_2) | instskip(NEXT) | instid1(VALU_DEP_2)
	v_and_b32_e32 v40, 7, v183
	v_and_b32_e32 v182, 0x80000000, v182
	s_delay_alu instid0(VALU_DEP_2) | instskip(NEXT) | instid1(VALU_DEP_1)
	v_clz_i32_u32_e32 v41, v40
	v_min_u32_e32 v41, 32, v41
	s_delay_alu instid0(VALU_DEP_1) | instskip(SKIP_1) | instid1(VALU_DEP_2)
	v_subrev_nc_u32_e32 v42, 28, v41
	v_sub_nc_u32_e32 v41, 29, v41
	v_lshlrev_b32_e32 v42, v42, v183
	v_bfe_u32 v183, v183, 3, 4
	s_delay_alu instid0(VALU_DEP_2) | instskip(NEXT) | instid1(VALU_DEP_2)
	v_and_b32_e32 v42, 7, v42
	v_cmp_eq_u32_e32 vcc_lo, 0, v183
	s_delay_alu instid0(VALU_DEP_2) | instskip(NEXT) | instid1(VALU_DEP_1)
	v_dual_cndmask_b32 v183, v183, v41 :: v_dual_cndmask_b32 v40, v40, v42
	v_lshl_add_u32 v183, v183, 23, 0x3b800000
	s_delay_alu instid0(VALU_DEP_2) | instskip(NEXT) | instid1(VALU_DEP_1)
	v_lshlrev_b32_e32 v40, 20, v40
	v_or3_b32 v183, v182, v183, v40
.LBB4_2681:                             ;   in Loop: Header=BB4_2209 Depth=3
	s_or_b32 exec_lo, exec_lo, s16
	s_delay_alu instid0(VALU_DEP_1) | instskip(NEXT) | instid1(VALU_DEP_1)
	v_add_f32_e32 v182, v181, v183
	v_and_b32_e32 v181, 0x7f800000, v182
	s_delay_alu instid0(VALU_DEP_1)
	v_cmp_ne_u32_e32 vcc_lo, 0x7f800000, v181
	v_mov_b32_e32 v181, 0x8000
	s_and_saveexec_b32 s16, vcc_lo
	s_cbranch_execz .LBB4_2689
; %bb.2682:                             ;   in Loop: Header=BB4_2209 Depth=3
	v_mov_b32_e32 v181, 0
	s_mov_b32 s17, exec_lo
	v_cmpx_ne_u32_e32 0, v182
	s_cbranch_execz .LBB4_2688
; %bb.2683:                             ;   in Loop: Header=BB4_2209 Depth=3
	v_bfe_u32 v181, v182, 23, 8
	s_delay_alu instid0(VALU_DEP_1) | instskip(SKIP_1) | instid1(VALU_DEP_2)
	v_sub_nc_u32_e32 v40, 0x78, v181
	v_cmp_gt_u32_e32 vcc_lo, 0x79, v181
	v_dual_cndmask_b32 v40, 0, v40 :: v_dual_and_b32 v183, 0x7fffff, v182
	s_delay_alu instid0(VALU_DEP_1) | instskip(SKIP_2) | instid1(VALU_DEP_4)
	v_or_b32_e32 v41, 0x800000, v183
	v_cmp_eq_u32_e32 vcc_lo, 0, v181
	v_add_nc_u32_e32 v181, 0xffffff89, v181
	v_cndmask_b32_e64 v40, v40, 0x77, vcc_lo
	s_delay_alu instid0(VALU_DEP_2) | instskip(SKIP_1) | instid1(VALU_DEP_3)
	v_cndmask_b32_e64 v181, v181, 0xffffff8a, vcc_lo
	v_cndmask_b32_e32 v183, v41, v183, vcc_lo
	v_lshl_add_u32 v41, 0x100000, v40, -1
	v_lshlrev_b32_e64 v44, v40, 0x80000
	s_delay_alu instid0(VALU_DEP_3) | instskip(SKIP_1) | instid1(VALU_DEP_4)
	v_lshrrev_b32_e32 v42, v40, v183
	v_add_nc_u32_e32 v40, v40, v181
	v_and_b32_e32 v183, v41, v183
	s_delay_alu instid0(VALU_DEP_3) | instskip(NEXT) | instid1(VALU_DEP_2)
	v_bfe_u32 v43, v42, 20, 1
	v_cmp_eq_u32_e64 s13, v183, v44
	s_delay_alu instid0(VALU_DEP_2) | instskip(NEXT) | instid1(VALU_DEP_1)
	v_add_nc_u32_e32 v41, -1, v43
	v_cndmask_b32_e64 v183, 0, v41, s13
	v_lshrrev_b32_e32 v41, 23, v42
	s_mov_b32 s13, exec_lo
	s_delay_alu instid0(VALU_DEP_2) | instskip(NEXT) | instid1(VALU_DEP_2)
	v_add_nc_u32_e32 v183, v183, v42
	v_xor_b32_e32 v41, 1, v41
	s_delay_alu instid0(VALU_DEP_2) | instskip(NEXT) | instid1(VALU_DEP_1)
	v_and_b32_e32 v181, 0xfffff, v183
	v_add_nc_u32_e32 v183, v181, v42
                                        ; implicit-def: $vgpr181
	s_delay_alu instid0(VALU_DEP_3)
	v_cmpx_ne_u32_e64 v40, v41
	s_xor_b32 s13, exec_lo, s13
; %bb.2684:                             ;   in Loop: Header=BB4_2209 Depth=3
	s_delay_alu instid0(VALU_DEP_2) | instskip(SKIP_2) | instid1(VALU_DEP_2)
	v_cmp_lt_u32_e32 vcc_lo, 0xffffff, v183
	v_sub_nc_u32_e32 v181, v40, v41
	v_cndmask_b32_e64 v40, 0, 1, vcc_lo
	v_add_co_ci_u32_e32 v181, vcc_lo, 0, v181, vcc_lo
	s_delay_alu instid0(VALU_DEP_2)
	v_lshrrev_b32_e32 v183, v40, v183
; %bb.2685:                             ;   in Loop: Header=BB4_2209 Depth=3
	s_and_not1_saveexec_b32 s13, s13
; %bb.2686:                             ;   in Loop: Header=BB4_2209 Depth=3
	s_delay_alu instid0(VALU_DEP_1)
	v_bfe_u32 v181, v183, 23, 1
; %bb.2687:                             ;   in Loop: Header=BB4_2209 Depth=3
	s_or_b32 exec_lo, exec_lo, s13
	v_lshrrev_b32_e32 v183, 20, v183
	s_delay_alu instid0(VALU_DEP_2) | instskip(SKIP_2) | instid1(VALU_DEP_2)
	v_cmp_gt_i32_e32 vcc_lo, 16, v181
	v_min_i32_e32 v40, 15, v181
	v_lshrrev_b32_e32 v182, 24, v182
	v_dual_cndmask_b32 v183, 7, v183 :: v_dual_lshlrev_b32 v40, 3, v40
	s_delay_alu instid0(VALU_DEP_2) | instskip(NEXT) | instid1(VALU_DEP_2)
	v_and_b32_e32 v182, 0x80, v182
	v_or_b32_e32 v181, v181, v183
	v_and_b32_e32 v41, 7, v183
	s_delay_alu instid0(VALU_DEP_2) | instskip(SKIP_1) | instid1(VALU_DEP_1)
	v_cmp_ne_u32_e32 vcc_lo, 0, v181
	v_and_b32_e32 v40, 0xf8, v40
	v_or3_b32 v182, v182, v40, v41
	s_delay_alu instid0(VALU_DEP_1) | instskip(NEXT) | instid1(VALU_DEP_1)
	v_lshlrev_b32_e32 v182, 8, v182
	v_cndmask_b32_e32 v181, 0, v182, vcc_lo
.LBB4_2688:                             ;   in Loop: Header=BB4_2209 Depth=3
	s_or_b32 exec_lo, exec_lo, s17
.LBB4_2689:                             ;   in Loop: Header=BB4_2209 Depth=3
	s_delay_alu instid0(SALU_CYCLE_1) | instskip(SKIP_3) | instid1(VALU_DEP_1)
	s_or_b32 exec_lo, exec_lo, s16
	v_lshrrev_b32_e32 v183, 16, v15
	s_mov_b32 s13, 0
	s_mov_b32 s17, exec_lo
                                        ; implicit-def: $sgpr16
	v_and_b32_e32 v40, 0xff, v183
	s_delay_alu instid0(VALU_DEP_1)
	v_cmpx_lt_i16_e32 0x7f, v40
	s_xor_b32 s17, exec_lo, s17
	s_cbranch_execnz .LBB4_2959
; %bb.2690:                             ;   in Loop: Header=BB4_2209 Depth=3
	s_or_saveexec_b32 s17, s17
	v_mov_b32_e32 v182, s16
	s_xor_b32 exec_lo, exec_lo, s17
	s_cbranch_execnz .LBB4_2962
.LBB4_2691:                             ;   in Loop: Header=BB4_2209 Depth=3
	s_or_b32 exec_lo, exec_lo, s17
	s_and_saveexec_b32 s16, s13
	s_cbranch_execz .LBB4_2693
.LBB4_2692:                             ;   in Loop: Header=BB4_2209 Depth=3
	v_bfe_u32 v182, v15, 16, 3
	v_lshlrev_b32_e32 v42, 8, v15
	s_delay_alu instid0(VALU_DEP_2) | instskip(NEXT) | instid1(VALU_DEP_1)
	v_clz_i32_u32_e32 v40, v182
	v_min_u32_e32 v40, 32, v40
	s_delay_alu instid0(VALU_DEP_1) | instskip(SKIP_1) | instid1(VALU_DEP_2)
	v_subrev_nc_u32_e32 v41, 28, v40
	v_sub_nc_u32_e32 v40, 29, v40
	v_lshlrev_b32_e32 v183, v41, v183
	v_bfe_u32 v41, v15, 19, 4
	s_delay_alu instid0(VALU_DEP_1) | instskip(NEXT) | instid1(VALU_DEP_3)
	v_cmp_eq_u32_e32 vcc_lo, 0, v41
	v_dual_cndmask_b32 v40, v41, v40 :: v_dual_and_b32 v183, 7, v183
	s_delay_alu instid0(VALU_DEP_1) | instskip(NEXT) | instid1(VALU_DEP_2)
	v_dual_cndmask_b32 v182, v182, v183 :: v_dual_and_b32 v183, 0x80000000, v42
	v_lshl_add_u32 v40, v40, 23, 0x3b800000
	s_delay_alu instid0(VALU_DEP_2) | instskip(NEXT) | instid1(VALU_DEP_1)
	v_lshlrev_b32_e32 v182, 20, v182
	v_or3_b32 v182, v183, v40, v182
.LBB4_2693:                             ;   in Loop: Header=BB4_2209 Depth=3
	s_or_b32 exec_lo, exec_lo, s16
	v_lshrrev_b32_e32 v183, 16, v11
	s_mov_b32 s13, 0
	s_mov_b32 s17, exec_lo
                                        ; implicit-def: $sgpr16
	s_delay_alu instid0(VALU_DEP_1) | instskip(NEXT) | instid1(VALU_DEP_1)
	v_and_b32_e32 v41, 0xff, v183
	v_cmpx_lt_i16_e32 0x7f, v41
	s_xor_b32 s17, exec_lo, s17
	s_cbranch_execnz .LBB4_2963
; %bb.2694:                             ;   in Loop: Header=BB4_2209 Depth=3
	s_or_saveexec_b32 s17, s17
	v_mov_b32_e32 v40, s16
	s_xor_b32 exec_lo, exec_lo, s17
	s_cbranch_execnz .LBB4_2966
.LBB4_2695:                             ;   in Loop: Header=BB4_2209 Depth=3
	s_or_b32 exec_lo, exec_lo, s17
	s_and_saveexec_b32 s16, s13
	s_cbranch_execz .LBB4_2697
.LBB4_2696:                             ;   in Loop: Header=BB4_2209 Depth=3
	v_bfe_u32 v40, v11, 16, 3
	v_lshlrev_b32_e32 v43, 8, v11
	s_delay_alu instid0(VALU_DEP_2) | instskip(NEXT) | instid1(VALU_DEP_1)
	v_clz_i32_u32_e32 v41, v40
	v_min_u32_e32 v41, 32, v41
	s_delay_alu instid0(VALU_DEP_1) | instskip(SKIP_1) | instid1(VALU_DEP_2)
	v_subrev_nc_u32_e32 v42, 28, v41
	v_sub_nc_u32_e32 v41, 29, v41
	v_lshlrev_b32_e32 v183, v42, v183
	v_bfe_u32 v42, v11, 19, 4
	s_delay_alu instid0(VALU_DEP_2) | instskip(NEXT) | instid1(VALU_DEP_2)
	v_and_b32_e32 v183, 7, v183
	v_cmp_eq_u32_e32 vcc_lo, 0, v42
	v_cndmask_b32_e32 v41, v42, v41, vcc_lo
	s_delay_alu instid0(VALU_DEP_3) | instskip(SKIP_1) | instid1(VALU_DEP_3)
	v_cndmask_b32_e32 v183, v40, v183, vcc_lo
	v_and_b32_e32 v40, 0x80000000, v43
	v_lshl_add_u32 v41, v41, 23, 0x3b800000
	s_delay_alu instid0(VALU_DEP_3) | instskip(NEXT) | instid1(VALU_DEP_1)
	v_lshlrev_b32_e32 v183, 20, v183
	v_or3_b32 v40, v40, v41, v183
.LBB4_2697:                             ;   in Loop: Header=BB4_2209 Depth=3
	s_or_b32 exec_lo, exec_lo, s16
	s_delay_alu instid0(VALU_DEP_1) | instskip(NEXT) | instid1(VALU_DEP_1)
	v_add_f32_e32 v183, v182, v40
	v_and_b32_e32 v182, 0x7f800000, v183
	s_delay_alu instid0(VALU_DEP_1)
	v_cmp_ne_u32_e32 vcc_lo, 0x7f800000, v182
	v_mov_b32_e32 v182, 0x80
	s_and_saveexec_b32 s16, vcc_lo
	s_cbranch_execz .LBB4_2705
; %bb.2698:                             ;   in Loop: Header=BB4_2209 Depth=3
	v_mov_b32_e32 v182, 0
	s_mov_b32 s17, exec_lo
	v_cmpx_ne_u32_e32 0, v183
	s_cbranch_execz .LBB4_2704
; %bb.2699:                             ;   in Loop: Header=BB4_2209 Depth=3
	v_bfe_u32 v182, v183, 23, 8
	s_delay_alu instid0(VALU_DEP_1) | instskip(SKIP_1) | instid1(VALU_DEP_2)
	v_sub_nc_u32_e32 v41, 0x78, v182
	v_cmp_gt_u32_e32 vcc_lo, 0x79, v182
	v_dual_cndmask_b32 v41, 0, v41 :: v_dual_and_b32 v40, 0x7fffff, v183
	s_delay_alu instid0(VALU_DEP_1) | instskip(SKIP_2) | instid1(VALU_DEP_4)
	v_or_b32_e32 v42, 0x800000, v40
	v_cmp_eq_u32_e32 vcc_lo, 0, v182
	v_add_nc_u32_e32 v182, 0xffffff89, v182
	v_cndmask_b32_e64 v41, v41, 0x77, vcc_lo
	s_delay_alu instid0(VALU_DEP_2) | instskip(SKIP_1) | instid1(VALU_DEP_3)
	v_cndmask_b32_e64 v182, v182, 0xffffff8a, vcc_lo
	v_cndmask_b32_e32 v40, v42, v40, vcc_lo
	v_lshl_add_u32 v42, 0x100000, v41, -1
	v_lshlrev_b32_e64 v45, v41, 0x80000
	s_delay_alu instid0(VALU_DEP_3) | instskip(SKIP_1) | instid1(VALU_DEP_4)
	v_lshrrev_b32_e32 v43, v41, v40
	v_add_nc_u32_e32 v41, v41, v182
	v_and_b32_e32 v40, v42, v40
	s_delay_alu instid0(VALU_DEP_3) | instskip(NEXT) | instid1(VALU_DEP_2)
	v_bfe_u32 v44, v43, 20, 1
	v_cmp_eq_u32_e64 s13, v40, v45
	s_delay_alu instid0(VALU_DEP_2) | instskip(NEXT) | instid1(VALU_DEP_1)
	v_add_nc_u32_e32 v42, -1, v44
	v_cndmask_b32_e64 v40, 0, v42, s13
	v_lshrrev_b32_e32 v42, 23, v43
	s_mov_b32 s13, exec_lo
	s_delay_alu instid0(VALU_DEP_2) | instskip(NEXT) | instid1(VALU_DEP_2)
	v_add_nc_u32_e32 v40, v40, v43
	v_xor_b32_e32 v42, 1, v42
	s_delay_alu instid0(VALU_DEP_2) | instskip(NEXT) | instid1(VALU_DEP_1)
	v_and_b32_e32 v182, 0xfffff, v40
	v_add_nc_u32_e32 v40, v182, v43
                                        ; implicit-def: $vgpr182
	s_delay_alu instid0(VALU_DEP_3)
	v_cmpx_ne_u32_e64 v41, v42
	s_xor_b32 s13, exec_lo, s13
; %bb.2700:                             ;   in Loop: Header=BB4_2209 Depth=3
	s_delay_alu instid0(VALU_DEP_2) | instskip(SKIP_2) | instid1(VALU_DEP_2)
	v_cmp_lt_u32_e32 vcc_lo, 0xffffff, v40
	v_sub_nc_u32_e32 v182, v41, v42
	v_cndmask_b32_e64 v41, 0, 1, vcc_lo
	v_add_co_ci_u32_e32 v182, vcc_lo, 0, v182, vcc_lo
	s_delay_alu instid0(VALU_DEP_2)
	v_lshrrev_b32_e32 v40, v41, v40
; %bb.2701:                             ;   in Loop: Header=BB4_2209 Depth=3
	s_and_not1_saveexec_b32 s13, s13
; %bb.2702:                             ;   in Loop: Header=BB4_2209 Depth=3
	s_delay_alu instid0(VALU_DEP_1)
	v_bfe_u32 v182, v40, 23, 1
; %bb.2703:                             ;   in Loop: Header=BB4_2209 Depth=3
	s_or_b32 exec_lo, exec_lo, s13
	v_lshrrev_b32_e32 v40, 20, v40
	s_delay_alu instid0(VALU_DEP_2) | instskip(SKIP_2) | instid1(VALU_DEP_2)
	v_cmp_gt_i32_e32 vcc_lo, 16, v182
	v_min_i32_e32 v41, 15, v182
	v_lshrrev_b32_e32 v183, 24, v183
	v_dual_cndmask_b32 v40, 7, v40 :: v_dual_lshlrev_b32 v41, 3, v41
	s_delay_alu instid0(VALU_DEP_2) | instskip(NEXT) | instid1(VALU_DEP_2)
	v_and_b32_e32 v183, 0x80, v183
	v_or_b32_e32 v182, v182, v40
	v_and_b32_e32 v42, 7, v40
	s_delay_alu instid0(VALU_DEP_2) | instskip(SKIP_1) | instid1(VALU_DEP_1)
	v_cmp_ne_u32_e32 vcc_lo, 0, v182
	v_and_b32_e32 v41, 0xf8, v41
	v_or3_b32 v183, v41, v183, v42
	s_delay_alu instid0(VALU_DEP_1)
	v_cndmask_b32_e32 v182, 0, v183, vcc_lo
.LBB4_2704:                             ;   in Loop: Header=BB4_2209 Depth=3
	s_or_b32 exec_lo, exec_lo, s17
.LBB4_2705:                             ;   in Loop: Header=BB4_2209 Depth=3
	s_delay_alu instid0(SALU_CYCLE_1) | instskip(SKIP_3) | instid1(VALU_DEP_1)
	s_or_b32 exec_lo, exec_lo, s16
	v_lshrrev_b32_e32 v40, 24, v15
	s_mov_b32 s13, 0
	s_mov_b32 s17, exec_lo
                                        ; implicit-def: $sgpr16
	v_cmpx_lt_i16_e32 0x7f, v40
	s_xor_b32 s17, exec_lo, s17
	s_cbranch_execnz .LBB4_2967
; %bb.2706:                             ;   in Loop: Header=BB4_2209 Depth=3
	s_or_saveexec_b32 s17, s17
	v_mov_b32_e32 v183, s16
	s_xor_b32 exec_lo, exec_lo, s17
	s_cbranch_execnz .LBB4_2970
.LBB4_2707:                             ;   in Loop: Header=BB4_2209 Depth=3
	s_or_b32 exec_lo, exec_lo, s17
	s_and_saveexec_b32 s16, s13
	s_cbranch_execz .LBB4_2709
.LBB4_2708:                             ;   in Loop: Header=BB4_2209 Depth=3
	v_bfe_u32 v183, v15, 24, 3
	s_delay_alu instid0(VALU_DEP_1) | instskip(NEXT) | instid1(VALU_DEP_1)
	v_clz_i32_u32_e32 v41, v183
	v_min_u32_e32 v41, 32, v41
	s_delay_alu instid0(VALU_DEP_1) | instskip(SKIP_1) | instid1(VALU_DEP_2)
	v_subrev_nc_u32_e32 v42, 28, v41
	v_sub_nc_u32_e32 v41, 29, v41
	v_lshlrev_b32_e32 v40, v42, v40
	v_bfe_u32 v42, v15, 27, 4
	v_and_b32_e32 v15, 0x80000000, v15
	s_delay_alu instid0(VALU_DEP_2) | instskip(NEXT) | instid1(VALU_DEP_4)
	v_cmp_eq_u32_e32 vcc_lo, 0, v42
	v_dual_cndmask_b32 v41, v42, v41 :: v_dual_and_b32 v40, 7, v40
	s_delay_alu instid0(VALU_DEP_1) | instskip(NEXT) | instid1(VALU_DEP_2)
	v_cndmask_b32_e32 v183, v183, v40, vcc_lo
	v_lshl_add_u32 v40, v41, 23, 0x3b800000
	s_delay_alu instid0(VALU_DEP_2) | instskip(NEXT) | instid1(VALU_DEP_1)
	v_lshlrev_b32_e32 v183, 20, v183
	v_or3_b32 v183, v15, v40, v183
.LBB4_2709:                             ;   in Loop: Header=BB4_2209 Depth=3
	s_or_b32 exec_lo, exec_lo, s16
	v_lshrrev_b32_e32 v15, 24, v11
	s_mov_b32 s13, 0
	s_mov_b32 s17, exec_lo
                                        ; implicit-def: $sgpr16
	s_delay_alu instid0(VALU_DEP_1)
	v_cmpx_lt_i16_e32 0x7f, v15
	s_xor_b32 s17, exec_lo, s17
	s_cbranch_execnz .LBB4_2971
; %bb.2710:                             ;   in Loop: Header=BB4_2209 Depth=3
	s_or_saveexec_b32 s17, s17
	v_mov_b32_e32 v40, s16
	s_xor_b32 exec_lo, exec_lo, s17
	s_cbranch_execnz .LBB4_2974
.LBB4_2711:                             ;   in Loop: Header=BB4_2209 Depth=3
	s_or_b32 exec_lo, exec_lo, s17
	s_and_saveexec_b32 s16, s13
	s_cbranch_execz .LBB4_2713
.LBB4_2712:                             ;   in Loop: Header=BB4_2209 Depth=3
	v_bfe_u32 v40, v11, 24, 3
	s_delay_alu instid0(VALU_DEP_1) | instskip(NEXT) | instid1(VALU_DEP_1)
	v_clz_i32_u32_e32 v41, v40
	v_min_u32_e32 v41, 32, v41
	s_delay_alu instid0(VALU_DEP_1) | instskip(SKIP_1) | instid1(VALU_DEP_2)
	v_subrev_nc_u32_e32 v42, 28, v41
	v_sub_nc_u32_e32 v41, 29, v41
	v_lshlrev_b32_e32 v15, v42, v15
	v_bfe_u32 v42, v11, 27, 4
	v_and_b32_e32 v11, 0x80000000, v11
	s_delay_alu instid0(VALU_DEP_3) | instskip(NEXT) | instid1(VALU_DEP_3)
	v_and_b32_e32 v15, 7, v15
	v_cmp_eq_u32_e32 vcc_lo, 0, v42
	v_cndmask_b32_e32 v41, v42, v41, vcc_lo
	s_delay_alu instid0(VALU_DEP_3) | instskip(NEXT) | instid1(VALU_DEP_2)
	v_cndmask_b32_e32 v15, v40, v15, vcc_lo
	v_lshl_add_u32 v40, v41, 23, 0x3b800000
	s_delay_alu instid0(VALU_DEP_2) | instskip(NEXT) | instid1(VALU_DEP_1)
	v_lshlrev_b32_e32 v15, 20, v15
	v_or3_b32 v40, v11, v40, v15
.LBB4_2713:                             ;   in Loop: Header=BB4_2209 Depth=3
	s_or_b32 exec_lo, exec_lo, s16
	s_delay_alu instid0(VALU_DEP_1) | instskip(NEXT) | instid1(VALU_DEP_1)
	v_add_f32_e32 v11, v183, v40
	v_and_b32_e32 v15, 0x7f800000, v11
	s_delay_alu instid0(VALU_DEP_1)
	v_cmp_ne_u32_e32 vcc_lo, 0x7f800000, v15
	v_mov_b32_e32 v15, 0x8000
	s_and_saveexec_b32 s16, vcc_lo
	s_cbranch_execz .LBB4_2208
; %bb.2714:                             ;   in Loop: Header=BB4_2209 Depth=3
	v_mov_b32_e32 v15, 0
	s_mov_b32 s17, exec_lo
	v_cmpx_ne_u32_e32 0, v11
	s_cbranch_execz .LBB4_2207
; %bb.2715:                             ;   in Loop: Header=BB4_2209 Depth=3
	v_bfe_u32 v15, v11, 23, 8
	s_delay_alu instid0(VALU_DEP_1) | instskip(SKIP_1) | instid1(VALU_DEP_2)
	v_sub_nc_u32_e32 v40, 0x78, v15
	v_cmp_gt_u32_e32 vcc_lo, 0x79, v15
	v_dual_cndmask_b32 v40, 0, v40 :: v_dual_and_b32 v183, 0x7fffff, v11
	s_delay_alu instid0(VALU_DEP_1) | instskip(SKIP_2) | instid1(VALU_DEP_4)
	v_or_b32_e32 v41, 0x800000, v183
	v_cmp_eq_u32_e32 vcc_lo, 0, v15
	v_add_nc_u32_e32 v15, 0xffffff89, v15
	v_cndmask_b32_e64 v40, v40, 0x77, vcc_lo
	s_delay_alu instid0(VALU_DEP_4) | instskip(NEXT) | instid1(VALU_DEP_3)
	v_cndmask_b32_e32 v183, v41, v183, vcc_lo
	v_cndmask_b32_e64 v15, v15, 0xffffff8a, vcc_lo
	s_delay_alu instid0(VALU_DEP_3) | instskip(NEXT) | instid1(VALU_DEP_3)
	v_lshl_add_u32 v41, 0x100000, v40, -1
	v_lshrrev_b32_e32 v42, v40, v183
	v_lshlrev_b32_e64 v44, v40, 0x80000
	s_delay_alu instid0(VALU_DEP_4) | instskip(NEXT) | instid1(VALU_DEP_4)
	v_add_nc_u32_e32 v40, v40, v15
	v_and_b32_e32 v183, v41, v183
	s_delay_alu instid0(VALU_DEP_4) | instskip(NEXT) | instid1(VALU_DEP_2)
	v_bfe_u32 v43, v42, 20, 1
	v_cmp_eq_u32_e64 s13, v183, v44
	s_delay_alu instid0(VALU_DEP_2) | instskip(NEXT) | instid1(VALU_DEP_1)
	v_add_nc_u32_e32 v41, -1, v43
	v_cndmask_b32_e64 v183, 0, v41, s13
	v_lshrrev_b32_e32 v41, 23, v42
	s_mov_b32 s13, exec_lo
	s_delay_alu instid0(VALU_DEP_2) | instskip(NEXT) | instid1(VALU_DEP_2)
	v_add_nc_u32_e32 v183, v183, v42
	v_xor_b32_e32 v41, 1, v41
	s_delay_alu instid0(VALU_DEP_2) | instskip(NEXT) | instid1(VALU_DEP_1)
	v_and_b32_e32 v15, 0xfffff, v183
	v_add_nc_u32_e32 v183, v15, v42
                                        ; implicit-def: $vgpr15
	s_delay_alu instid0(VALU_DEP_3)
	v_cmpx_ne_u32_e64 v40, v41
	s_xor_b32 s13, exec_lo, s13
; %bb.2716:                             ;   in Loop: Header=BB4_2209 Depth=3
	s_delay_alu instid0(VALU_DEP_2) | instskip(SKIP_2) | instid1(VALU_DEP_2)
	v_cmp_lt_u32_e32 vcc_lo, 0xffffff, v183
	v_sub_nc_u32_e32 v15, v40, v41
	v_cndmask_b32_e64 v40, 0, 1, vcc_lo
	v_add_co_ci_u32_e32 v15, vcc_lo, 0, v15, vcc_lo
	s_delay_alu instid0(VALU_DEP_2)
	v_lshrrev_b32_e32 v183, v40, v183
; %bb.2717:                             ;   in Loop: Header=BB4_2209 Depth=3
	s_and_not1_saveexec_b32 s13, s13
	s_cbranch_execz .LBB4_2206
; %bb.2718:                             ;   in Loop: Header=BB4_2209 Depth=3
	s_delay_alu instid0(VALU_DEP_1)
	v_bfe_u32 v15, v183, 23, 1
	s_branch .LBB4_2206
.LBB4_2719:                             ;   in Loop: Header=BB4_2209 Depth=3
	s_mov_b32 s13, -1
	s_mov_b32 s29, exec_lo
                                        ; implicit-def: $sgpr16
	v_cmpx_eq_u16_e64 0x80, v151
; %bb.2720:                             ;   in Loop: Header=BB4_2209 Depth=3
	s_mov_b32 s16, 0x7f800001
	s_xor_b32 s13, exec_lo, -1
; %bb.2721:                             ;   in Loop: Header=BB4_2209 Depth=3
	s_or_b32 exec_lo, exec_lo, s29
	s_delay_alu instid0(SALU_CYCLE_1)
	s_and_b32 s13, s13, exec_lo
                                        ; implicit-def: $vgpr151
	s_or_saveexec_b32 s17, s17
	v_mov_b32_e32 v150, s16
	s_xor_b32 exec_lo, exec_lo, s17
	s_cbranch_execz .LBB4_2211
.LBB4_2722:                             ;   in Loop: Header=BB4_2209 Depth=3
	v_cmp_ne_u16_e64 vcc_lo, 0, v151
	v_mov_b32_e32 v150, 0
	s_and_not1_b32 s13, s13, exec_lo
	s_delay_alu instid0(VALU_DEP_2) | instskip(NEXT) | instid1(SALU_CYCLE_1)
	s_and_b32 s16, vcc_lo, exec_lo
	s_or_b32 s13, s13, s16
	s_or_b32 exec_lo, exec_lo, s17
	s_and_saveexec_b32 s16, s13
	s_cbranch_execnz .LBB4_2212
	s_branch .LBB4_2213
.LBB4_2723:                             ;   in Loop: Header=BB4_2209 Depth=3
	s_mov_b32 s13, -1
	s_mov_b32 s29, exec_lo
                                        ; implicit-def: $sgpr16
	v_cmpx_eq_u16_e64 0x80, v160
; %bb.2724:                             ;   in Loop: Header=BB4_2209 Depth=3
	s_mov_b32 s16, 0x7f800001
	s_xor_b32 s13, exec_lo, -1
; %bb.2725:                             ;   in Loop: Header=BB4_2209 Depth=3
	s_or_b32 exec_lo, exec_lo, s29
	s_delay_alu instid0(SALU_CYCLE_1)
	s_and_b32 s13, s13, exec_lo
                                        ; implicit-def: $vgpr160
	s_or_saveexec_b32 s17, s17
	v_mov_b32_e32 v151, s16
	s_xor_b32 exec_lo, exec_lo, s17
	s_cbranch_execz .LBB4_2215
.LBB4_2726:                             ;   in Loop: Header=BB4_2209 Depth=3
	v_cmp_ne_u16_e64 vcc_lo, 0, v160
	v_mov_b32_e32 v151, 0
	s_and_not1_b32 s13, s13, exec_lo
	s_delay_alu instid0(VALU_DEP_2) | instskip(NEXT) | instid1(SALU_CYCLE_1)
	s_and_b32 s16, vcc_lo, exec_lo
	s_or_b32 s13, s13, s16
	s_or_b32 exec_lo, exec_lo, s17
	s_and_saveexec_b32 s16, s13
	s_cbranch_execnz .LBB4_2216
	s_branch .LBB4_2217
.LBB4_2727:                             ;   in Loop: Header=BB4_2209 Depth=3
	s_mov_b32 s13, -1
	s_mov_b32 s29, exec_lo
                                        ; implicit-def: $sgpr16
	v_cmpx_eq_u16_e64 0x80, v160
; %bb.2728:                             ;   in Loop: Header=BB4_2209 Depth=3
	s_mov_b32 s16, 0x7f800001
	s_xor_b32 s13, exec_lo, -1
; %bb.2729:                             ;   in Loop: Header=BB4_2209 Depth=3
	s_or_b32 exec_lo, exec_lo, s29
	s_delay_alu instid0(SALU_CYCLE_1)
	s_and_b32 s13, s13, exec_lo
	s_or_saveexec_b32 s17, s17
	v_mov_b32_e32 v151, s16
	s_xor_b32 exec_lo, exec_lo, s17
	s_cbranch_execz .LBB4_2227
.LBB4_2730:                             ;   in Loop: Header=BB4_2209 Depth=3
	v_cmp_ne_u16_e64 vcc_lo, 0, v160
	v_mov_b32_e32 v151, 0
	s_and_not1_b32 s13, s13, exec_lo
	s_delay_alu instid0(VALU_DEP_2) | instskip(NEXT) | instid1(SALU_CYCLE_1)
	s_and_b32 s16, vcc_lo, exec_lo
	s_or_b32 s13, s13, s16
	s_or_b32 exec_lo, exec_lo, s17
	s_and_saveexec_b32 s16, s13
	s_cbranch_execnz .LBB4_2228
	s_branch .LBB4_2229
.LBB4_2731:                             ;   in Loop: Header=BB4_2209 Depth=3
	s_mov_b32 s13, -1
	s_mov_b32 s29, exec_lo
                                        ; implicit-def: $sgpr16
	v_cmpx_eq_u16_e64 0x80, v160
; %bb.2732:                             ;   in Loop: Header=BB4_2209 Depth=3
	s_mov_b32 s16, 0x7f800001
	s_xor_b32 s13, exec_lo, -1
; %bb.2733:                             ;   in Loop: Header=BB4_2209 Depth=3
	s_or_b32 exec_lo, exec_lo, s29
	s_delay_alu instid0(SALU_CYCLE_1)
	s_and_b32 s13, s13, exec_lo
	s_or_saveexec_b32 s17, s17
	v_mov_b32_e32 v161, s16
	s_xor_b32 exec_lo, exec_lo, s17
	s_cbranch_execz .LBB4_2231
.LBB4_2734:                             ;   in Loop: Header=BB4_2209 Depth=3
	v_cmp_ne_u16_e64 vcc_lo, 0, v160
	v_mov_b32_e32 v161, 0
	s_and_not1_b32 s13, s13, exec_lo
	s_delay_alu instid0(VALU_DEP_2) | instskip(NEXT) | instid1(SALU_CYCLE_1)
	s_and_b32 s16, vcc_lo, exec_lo
	s_or_b32 s13, s13, s16
	s_or_b32 exec_lo, exec_lo, s17
	s_and_saveexec_b32 s16, s13
	s_cbranch_execnz .LBB4_2232
	s_branch .LBB4_2233
.LBB4_2735:                             ;   in Loop: Header=BB4_2209 Depth=3
	s_mov_b32 s13, -1
	s_mov_b32 s29, exec_lo
                                        ; implicit-def: $sgpr16
	v_cmpx_eq_u16_e64 0x80, v162
; %bb.2736:                             ;   in Loop: Header=BB4_2209 Depth=3
	s_mov_b32 s16, 0x7f800001
	s_xor_b32 s13, exec_lo, -1
; %bb.2737:                             ;   in Loop: Header=BB4_2209 Depth=3
	s_or_b32 exec_lo, exec_lo, s29
	s_delay_alu instid0(SALU_CYCLE_1)
	s_and_b32 s13, s13, exec_lo
                                        ; implicit-def: $vgpr162
	s_or_saveexec_b32 s17, s17
	v_mov_b32_e32 v160, s16
	s_xor_b32 exec_lo, exec_lo, s17
	s_cbranch_execz .LBB4_2243
.LBB4_2738:                             ;   in Loop: Header=BB4_2209 Depth=3
	v_cmp_ne_u16_e64 vcc_lo, 0, v162
	v_mov_b32_e32 v160, 0
	s_and_not1_b32 s13, s13, exec_lo
	s_delay_alu instid0(VALU_DEP_2) | instskip(NEXT) | instid1(SALU_CYCLE_1)
	s_and_b32 s16, vcc_lo, exec_lo
	s_or_b32 s13, s13, s16
	s_or_b32 exec_lo, exec_lo, s17
	s_and_saveexec_b32 s16, s13
	s_cbranch_execnz .LBB4_2244
	s_branch .LBB4_2245
.LBB4_2739:                             ;   in Loop: Header=BB4_2209 Depth=3
	s_mov_b32 s13, -1
	s_mov_b32 s29, exec_lo
                                        ; implicit-def: $sgpr16
	v_cmpx_eq_u16_e64 0x80, v163
; %bb.2740:                             ;   in Loop: Header=BB4_2209 Depth=3
	s_mov_b32 s16, 0x7f800001
	s_xor_b32 s13, exec_lo, -1
; %bb.2741:                             ;   in Loop: Header=BB4_2209 Depth=3
	s_or_b32 exec_lo, exec_lo, s29
	s_delay_alu instid0(SALU_CYCLE_1)
	s_and_b32 s13, s13, exec_lo
                                        ; implicit-def: $vgpr163
	s_or_saveexec_b32 s17, s17
	v_mov_b32_e32 v162, s16
	s_xor_b32 exec_lo, exec_lo, s17
	s_cbranch_execz .LBB4_2247
.LBB4_2742:                             ;   in Loop: Header=BB4_2209 Depth=3
	v_cmp_ne_u16_e64 vcc_lo, 0, v163
	v_mov_b32_e32 v162, 0
	s_and_not1_b32 s13, s13, exec_lo
	s_delay_alu instid0(VALU_DEP_2) | instskip(NEXT) | instid1(SALU_CYCLE_1)
	s_and_b32 s16, vcc_lo, exec_lo
	s_or_b32 s13, s13, s16
	s_or_b32 exec_lo, exec_lo, s17
	s_and_saveexec_b32 s16, s13
	s_cbranch_execnz .LBB4_2248
	s_branch .LBB4_2249
.LBB4_2743:                             ;   in Loop: Header=BB4_2209 Depth=3
	s_mov_b32 s13, -1
	s_mov_b32 s29, exec_lo
                                        ; implicit-def: $sgpr16
	v_cmpx_eq_u16_e64 0x80, v162
; %bb.2744:                             ;   in Loop: Header=BB4_2209 Depth=3
	s_mov_b32 s16, 0x7f800001
	s_xor_b32 s13, exec_lo, -1
; %bb.2745:                             ;   in Loop: Header=BB4_2209 Depth=3
	s_or_b32 exec_lo, exec_lo, s29
	s_delay_alu instid0(SALU_CYCLE_1)
	s_and_b32 s13, s13, exec_lo
	s_or_saveexec_b32 s17, s17
	v_mov_b32_e32 v161, s16
	s_xor_b32 exec_lo, exec_lo, s17
	s_cbranch_execz .LBB4_2259
.LBB4_2746:                             ;   in Loop: Header=BB4_2209 Depth=3
	v_cmp_ne_u16_e64 vcc_lo, 0, v162
	v_mov_b32_e32 v161, 0
	s_and_not1_b32 s13, s13, exec_lo
	s_delay_alu instid0(VALU_DEP_2) | instskip(NEXT) | instid1(SALU_CYCLE_1)
	s_and_b32 s16, vcc_lo, exec_lo
	s_or_b32 s13, s13, s16
	s_or_b32 exec_lo, exec_lo, s17
	s_and_saveexec_b32 s16, s13
	s_cbranch_execnz .LBB4_2260
	s_branch .LBB4_2261
.LBB4_2747:                             ;   in Loop: Header=BB4_2209 Depth=3
	s_mov_b32 s13, -1
	s_mov_b32 s29, exec_lo
                                        ; implicit-def: $sgpr16
	v_cmpx_eq_u16_e32 0x80, v20
; %bb.2748:                             ;   in Loop: Header=BB4_2209 Depth=3
	s_mov_b32 s16, 0x7f800001
	s_xor_b32 s13, exec_lo, -1
; %bb.2749:                             ;   in Loop: Header=BB4_2209 Depth=3
	s_or_b32 exec_lo, exec_lo, s29
	s_delay_alu instid0(SALU_CYCLE_1)
	s_and_b32 s13, s13, exec_lo
	s_or_saveexec_b32 s17, s17
	v_mov_b32_e32 v162, s16
	s_xor_b32 exec_lo, exec_lo, s17
	s_cbranch_execz .LBB4_2263
.LBB4_2750:                             ;   in Loop: Header=BB4_2209 Depth=3
	v_cmp_ne_u16_e32 vcc_lo, 0, v20
	v_mov_b32_e32 v162, 0
	s_and_not1_b32 s13, s13, exec_lo
	s_and_b32 s16, vcc_lo, exec_lo
	s_delay_alu instid0(SALU_CYCLE_1)
	s_or_b32 s13, s13, s16
	s_or_b32 exec_lo, exec_lo, s17
	s_and_saveexec_b32 s16, s13
	s_cbranch_execnz .LBB4_2264
	s_branch .LBB4_2265
.LBB4_2751:                             ;   in Loop: Header=BB4_2209 Depth=3
	s_mov_b32 s13, -1
	s_mov_b32 s29, exec_lo
                                        ; implicit-def: $sgpr16
	v_cmpx_eq_u16_e64 0x80, v161
; %bb.2752:                             ;   in Loop: Header=BB4_2209 Depth=3
	s_mov_b32 s16, 0x7f800001
	s_xor_b32 s13, exec_lo, -1
; %bb.2753:                             ;   in Loop: Header=BB4_2209 Depth=3
	s_or_b32 exec_lo, exec_lo, s29
	s_delay_alu instid0(SALU_CYCLE_1)
	s_and_b32 s13, s13, exec_lo
                                        ; implicit-def: $vgpr161
	s_or_saveexec_b32 s17, s17
	v_mov_b32_e32 v20, s16
	s_xor_b32 exec_lo, exec_lo, s17
	s_cbranch_execz .LBB4_2275
.LBB4_2754:                             ;   in Loop: Header=BB4_2209 Depth=3
	v_cmp_ne_u16_e64 vcc_lo, 0, v161
	v_mov_b32_e32 v20, 0
	s_and_not1_b32 s13, s13, exec_lo
	s_delay_alu instid0(VALU_DEP_2) | instskip(NEXT) | instid1(SALU_CYCLE_1)
	s_and_b32 s16, vcc_lo, exec_lo
	s_or_b32 s13, s13, s16
	s_or_b32 exec_lo, exec_lo, s17
	s_and_saveexec_b32 s16, s13
	s_cbranch_execnz .LBB4_2276
	s_branch .LBB4_2277
.LBB4_2755:                             ;   in Loop: Header=BB4_2209 Depth=3
	s_mov_b32 s13, -1
	s_mov_b32 s29, exec_lo
                                        ; implicit-def: $sgpr16
	v_cmpx_eq_u16_e64 0x80, v162
; %bb.2756:                             ;   in Loop: Header=BB4_2209 Depth=3
	s_mov_b32 s16, 0x7f800001
	s_xor_b32 s13, exec_lo, -1
; %bb.2757:                             ;   in Loop: Header=BB4_2209 Depth=3
	s_or_b32 exec_lo, exec_lo, s29
	s_delay_alu instid0(SALU_CYCLE_1)
	s_and_b32 s13, s13, exec_lo
                                        ; implicit-def: $vgpr162
	s_or_saveexec_b32 s17, s17
	v_mov_b32_e32 v161, s16
	s_xor_b32 exec_lo, exec_lo, s17
	s_cbranch_execz .LBB4_2279
.LBB4_2758:                             ;   in Loop: Header=BB4_2209 Depth=3
	v_cmp_ne_u16_e64 vcc_lo, 0, v162
	v_mov_b32_e32 v161, 0
	s_and_not1_b32 s13, s13, exec_lo
	s_delay_alu instid0(VALU_DEP_2) | instskip(NEXT) | instid1(SALU_CYCLE_1)
	s_and_b32 s16, vcc_lo, exec_lo
	s_or_b32 s13, s13, s16
	s_or_b32 exec_lo, exec_lo, s17
	s_and_saveexec_b32 s16, s13
	s_cbranch_execnz .LBB4_2280
	s_branch .LBB4_2281
.LBB4_2759:                             ;   in Loop: Header=BB4_2209 Depth=3
	s_mov_b32 s13, -1
	s_mov_b32 s29, exec_lo
                                        ; implicit-def: $sgpr16
	v_cmpx_eq_u16_e64 0x80, v162
; %bb.2760:                             ;   in Loop: Header=BB4_2209 Depth=3
	s_mov_b32 s16, 0x7f800001
	s_xor_b32 s13, exec_lo, -1
; %bb.2761:                             ;   in Loop: Header=BB4_2209 Depth=3
	s_or_b32 exec_lo, exec_lo, s29
	s_delay_alu instid0(SALU_CYCLE_1)
	s_and_b32 s13, s13, exec_lo
	s_or_saveexec_b32 s17, s17
	v_mov_b32_e32 v161, s16
	s_xor_b32 exec_lo, exec_lo, s17
	s_cbranch_execz .LBB4_2291
.LBB4_2762:                             ;   in Loop: Header=BB4_2209 Depth=3
	v_cmp_ne_u16_e64 vcc_lo, 0, v162
	v_mov_b32_e32 v161, 0
	s_and_not1_b32 s13, s13, exec_lo
	s_delay_alu instid0(VALU_DEP_2) | instskip(NEXT) | instid1(SALU_CYCLE_1)
	s_and_b32 s16, vcc_lo, exec_lo
	s_or_b32 s13, s13, s16
	s_or_b32 exec_lo, exec_lo, s17
	s_and_saveexec_b32 s16, s13
	s_cbranch_execnz .LBB4_2292
	s_branch .LBB4_2293
.LBB4_2763:                             ;   in Loop: Header=BB4_2209 Depth=3
	s_mov_b32 s13, -1
	s_mov_b32 s29, exec_lo
                                        ; implicit-def: $sgpr16
	v_cmpx_eq_u16_e64 0x80, v162
; %bb.2764:                             ;   in Loop: Header=BB4_2209 Depth=3
	s_mov_b32 s16, 0x7f800001
	s_xor_b32 s13, exec_lo, -1
; %bb.2765:                             ;   in Loop: Header=BB4_2209 Depth=3
	s_or_b32 exec_lo, exec_lo, s29
	s_delay_alu instid0(SALU_CYCLE_1)
	s_and_b32 s13, s13, exec_lo
	s_or_saveexec_b32 s17, s17
	v_mov_b32_e32 v163, s16
	s_xor_b32 exec_lo, exec_lo, s17
	s_cbranch_execz .LBB4_2295
.LBB4_2766:                             ;   in Loop: Header=BB4_2209 Depth=3
	v_cmp_ne_u16_e64 vcc_lo, 0, v162
	v_mov_b32_e32 v163, 0
	s_and_not1_b32 s13, s13, exec_lo
	s_delay_alu instid0(VALU_DEP_2) | instskip(NEXT) | instid1(SALU_CYCLE_1)
	s_and_b32 s16, vcc_lo, exec_lo
	s_or_b32 s13, s13, s16
	s_or_b32 exec_lo, exec_lo, s17
	s_and_saveexec_b32 s16, s13
	s_cbranch_execnz .LBB4_2296
	s_branch .LBB4_2297
.LBB4_2767:                             ;   in Loop: Header=BB4_2209 Depth=3
	s_mov_b32 s13, -1
	s_mov_b32 s29, exec_lo
                                        ; implicit-def: $sgpr16
	v_cmpx_eq_u16_e64 0x80, v164
; %bb.2768:                             ;   in Loop: Header=BB4_2209 Depth=3
	s_mov_b32 s16, 0x7f800001
	s_xor_b32 s13, exec_lo, -1
; %bb.2769:                             ;   in Loop: Header=BB4_2209 Depth=3
	s_or_b32 exec_lo, exec_lo, s29
	s_delay_alu instid0(SALU_CYCLE_1)
	s_and_b32 s13, s13, exec_lo
                                        ; implicit-def: $vgpr164
	s_or_saveexec_b32 s17, s17
	v_mov_b32_e32 v162, s16
	s_xor_b32 exec_lo, exec_lo, s17
	s_cbranch_execz .LBB4_2307
.LBB4_2770:                             ;   in Loop: Header=BB4_2209 Depth=3
	v_cmp_ne_u16_e64 vcc_lo, 0, v164
	v_mov_b32_e32 v162, 0
	s_and_not1_b32 s13, s13, exec_lo
	s_delay_alu instid0(VALU_DEP_2) | instskip(NEXT) | instid1(SALU_CYCLE_1)
	s_and_b32 s16, vcc_lo, exec_lo
	s_or_b32 s13, s13, s16
	s_or_b32 exec_lo, exec_lo, s17
	s_and_saveexec_b32 s16, s13
	s_cbranch_execnz .LBB4_2308
	s_branch .LBB4_2309
.LBB4_2771:                             ;   in Loop: Header=BB4_2209 Depth=3
	s_mov_b32 s13, -1
	s_mov_b32 s29, exec_lo
                                        ; implicit-def: $sgpr16
	v_cmpx_eq_u16_e64 0x80, v165
; %bb.2772:                             ;   in Loop: Header=BB4_2209 Depth=3
	s_mov_b32 s16, 0x7f800001
	s_xor_b32 s13, exec_lo, -1
; %bb.2773:                             ;   in Loop: Header=BB4_2209 Depth=3
	s_or_b32 exec_lo, exec_lo, s29
	s_delay_alu instid0(SALU_CYCLE_1)
	s_and_b32 s13, s13, exec_lo
                                        ; implicit-def: $vgpr165
	s_or_saveexec_b32 s17, s17
	v_mov_b32_e32 v164, s16
	s_xor_b32 exec_lo, exec_lo, s17
	s_cbranch_execz .LBB4_2311
.LBB4_2774:                             ;   in Loop: Header=BB4_2209 Depth=3
	v_cmp_ne_u16_e64 vcc_lo, 0, v165
	v_mov_b32_e32 v164, 0
	s_and_not1_b32 s13, s13, exec_lo
	s_delay_alu instid0(VALU_DEP_2) | instskip(NEXT) | instid1(SALU_CYCLE_1)
	s_and_b32 s16, vcc_lo, exec_lo
	s_or_b32 s13, s13, s16
	s_or_b32 exec_lo, exec_lo, s17
	s_and_saveexec_b32 s16, s13
	s_cbranch_execnz .LBB4_2312
	s_branch .LBB4_2313
.LBB4_2775:                             ;   in Loop: Header=BB4_2209 Depth=3
	s_mov_b32 s13, -1
	s_mov_b32 s29, exec_lo
                                        ; implicit-def: $sgpr16
	v_cmpx_eq_u16_e64 0x80, v164
; %bb.2776:                             ;   in Loop: Header=BB4_2209 Depth=3
	s_mov_b32 s16, 0x7f800001
	s_xor_b32 s13, exec_lo, -1
; %bb.2777:                             ;   in Loop: Header=BB4_2209 Depth=3
	s_or_b32 exec_lo, exec_lo, s29
	s_delay_alu instid0(SALU_CYCLE_1)
	s_and_b32 s13, s13, exec_lo
	s_or_saveexec_b32 s17, s17
	v_mov_b32_e32 v163, s16
	s_xor_b32 exec_lo, exec_lo, s17
	s_cbranch_execz .LBB4_2323
.LBB4_2778:                             ;   in Loop: Header=BB4_2209 Depth=3
	v_cmp_ne_u16_e64 vcc_lo, 0, v164
	v_mov_b32_e32 v163, 0
	s_and_not1_b32 s13, s13, exec_lo
	s_delay_alu instid0(VALU_DEP_2) | instskip(NEXT) | instid1(SALU_CYCLE_1)
	s_and_b32 s16, vcc_lo, exec_lo
	s_or_b32 s13, s13, s16
	s_or_b32 exec_lo, exec_lo, s17
	s_and_saveexec_b32 s16, s13
	s_cbranch_execnz .LBB4_2324
	s_branch .LBB4_2325
.LBB4_2779:                             ;   in Loop: Header=BB4_2209 Depth=3
	s_mov_b32 s13, -1
	s_mov_b32 s29, exec_lo
                                        ; implicit-def: $sgpr16
	v_cmpx_eq_u16_e32 0x80, v21
; %bb.2780:                             ;   in Loop: Header=BB4_2209 Depth=3
	s_mov_b32 s16, 0x7f800001
	s_xor_b32 s13, exec_lo, -1
; %bb.2781:                             ;   in Loop: Header=BB4_2209 Depth=3
	s_or_b32 exec_lo, exec_lo, s29
	s_delay_alu instid0(SALU_CYCLE_1)
	s_and_b32 s13, s13, exec_lo
	s_or_saveexec_b32 s17, s17
	v_mov_b32_e32 v164, s16
	s_xor_b32 exec_lo, exec_lo, s17
	s_cbranch_execz .LBB4_2327
.LBB4_2782:                             ;   in Loop: Header=BB4_2209 Depth=3
	v_cmp_ne_u16_e32 vcc_lo, 0, v21
	v_mov_b32_e32 v164, 0
	s_and_not1_b32 s13, s13, exec_lo
	s_and_b32 s16, vcc_lo, exec_lo
	s_delay_alu instid0(SALU_CYCLE_1)
	s_or_b32 s13, s13, s16
	s_or_b32 exec_lo, exec_lo, s17
	s_and_saveexec_b32 s16, s13
	s_cbranch_execnz .LBB4_2328
	s_branch .LBB4_2329
.LBB4_2783:                             ;   in Loop: Header=BB4_2209 Depth=3
	s_mov_b32 s13, -1
	s_mov_b32 s29, exec_lo
                                        ; implicit-def: $sgpr16
	v_cmpx_eq_u16_e64 0x80, v163
; %bb.2784:                             ;   in Loop: Header=BB4_2209 Depth=3
	s_mov_b32 s16, 0x7f800001
	s_xor_b32 s13, exec_lo, -1
; %bb.2785:                             ;   in Loop: Header=BB4_2209 Depth=3
	s_or_b32 exec_lo, exec_lo, s29
	s_delay_alu instid0(SALU_CYCLE_1)
	s_and_b32 s13, s13, exec_lo
                                        ; implicit-def: $vgpr163
	s_or_saveexec_b32 s17, s17
	v_mov_b32_e32 v21, s16
	s_xor_b32 exec_lo, exec_lo, s17
	s_cbranch_execz .LBB4_2339
.LBB4_2786:                             ;   in Loop: Header=BB4_2209 Depth=3
	v_cmp_ne_u16_e64 vcc_lo, 0, v163
	v_mov_b32_e32 v21, 0
	s_and_not1_b32 s13, s13, exec_lo
	s_delay_alu instid0(VALU_DEP_2) | instskip(NEXT) | instid1(SALU_CYCLE_1)
	s_and_b32 s16, vcc_lo, exec_lo
	s_or_b32 s13, s13, s16
	s_or_b32 exec_lo, exec_lo, s17
	s_and_saveexec_b32 s16, s13
	s_cbranch_execnz .LBB4_2340
	s_branch .LBB4_2341
.LBB4_2787:                             ;   in Loop: Header=BB4_2209 Depth=3
	s_mov_b32 s13, -1
	s_mov_b32 s29, exec_lo
                                        ; implicit-def: $sgpr16
	v_cmpx_eq_u16_e64 0x80, v164
; %bb.2788:                             ;   in Loop: Header=BB4_2209 Depth=3
	s_mov_b32 s16, 0x7f800001
	s_xor_b32 s13, exec_lo, -1
; %bb.2789:                             ;   in Loop: Header=BB4_2209 Depth=3
	s_or_b32 exec_lo, exec_lo, s29
	s_delay_alu instid0(SALU_CYCLE_1)
	s_and_b32 s13, s13, exec_lo
                                        ; implicit-def: $vgpr164
	s_or_saveexec_b32 s17, s17
	v_mov_b32_e32 v163, s16
	s_xor_b32 exec_lo, exec_lo, s17
	s_cbranch_execz .LBB4_2343
.LBB4_2790:                             ;   in Loop: Header=BB4_2209 Depth=3
	v_cmp_ne_u16_e64 vcc_lo, 0, v164
	v_mov_b32_e32 v163, 0
	s_and_not1_b32 s13, s13, exec_lo
	s_delay_alu instid0(VALU_DEP_2) | instskip(NEXT) | instid1(SALU_CYCLE_1)
	s_and_b32 s16, vcc_lo, exec_lo
	s_or_b32 s13, s13, s16
	s_or_b32 exec_lo, exec_lo, s17
	s_and_saveexec_b32 s16, s13
	s_cbranch_execnz .LBB4_2344
	s_branch .LBB4_2345
.LBB4_2791:                             ;   in Loop: Header=BB4_2209 Depth=3
	s_mov_b32 s13, -1
	s_mov_b32 s29, exec_lo
                                        ; implicit-def: $sgpr16
	v_cmpx_eq_u16_e64 0x80, v164
; %bb.2792:                             ;   in Loop: Header=BB4_2209 Depth=3
	s_mov_b32 s16, 0x7f800001
	s_xor_b32 s13, exec_lo, -1
; %bb.2793:                             ;   in Loop: Header=BB4_2209 Depth=3
	s_or_b32 exec_lo, exec_lo, s29
	s_delay_alu instid0(SALU_CYCLE_1)
	s_and_b32 s13, s13, exec_lo
	s_or_saveexec_b32 s17, s17
	v_mov_b32_e32 v163, s16
	s_xor_b32 exec_lo, exec_lo, s17
	s_cbranch_execz .LBB4_2355
.LBB4_2794:                             ;   in Loop: Header=BB4_2209 Depth=3
	v_cmp_ne_u16_e64 vcc_lo, 0, v164
	v_mov_b32_e32 v163, 0
	s_and_not1_b32 s13, s13, exec_lo
	s_delay_alu instid0(VALU_DEP_2) | instskip(NEXT) | instid1(SALU_CYCLE_1)
	s_and_b32 s16, vcc_lo, exec_lo
	s_or_b32 s13, s13, s16
	s_or_b32 exec_lo, exec_lo, s17
	s_and_saveexec_b32 s16, s13
	s_cbranch_execnz .LBB4_2356
	s_branch .LBB4_2357
.LBB4_2795:                             ;   in Loop: Header=BB4_2209 Depth=3
	s_mov_b32 s13, -1
	s_mov_b32 s29, exec_lo
                                        ; implicit-def: $sgpr16
	v_cmpx_eq_u16_e64 0x80, v164
; %bb.2796:                             ;   in Loop: Header=BB4_2209 Depth=3
	s_mov_b32 s16, 0x7f800001
	s_xor_b32 s13, exec_lo, -1
; %bb.2797:                             ;   in Loop: Header=BB4_2209 Depth=3
	s_or_b32 exec_lo, exec_lo, s29
	s_delay_alu instid0(SALU_CYCLE_1)
	s_and_b32 s13, s13, exec_lo
	s_or_saveexec_b32 s17, s17
	v_mov_b32_e32 v165, s16
	s_xor_b32 exec_lo, exec_lo, s17
	s_cbranch_execz .LBB4_2359
.LBB4_2798:                             ;   in Loop: Header=BB4_2209 Depth=3
	v_cmp_ne_u16_e64 vcc_lo, 0, v164
	v_mov_b32_e32 v165, 0
	s_and_not1_b32 s13, s13, exec_lo
	s_delay_alu instid0(VALU_DEP_2) | instskip(NEXT) | instid1(SALU_CYCLE_1)
	s_and_b32 s16, vcc_lo, exec_lo
	s_or_b32 s13, s13, s16
	s_or_b32 exec_lo, exec_lo, s17
	s_and_saveexec_b32 s16, s13
	s_cbranch_execnz .LBB4_2360
	s_branch .LBB4_2361
.LBB4_2799:                             ;   in Loop: Header=BB4_2209 Depth=3
	s_mov_b32 s13, -1
	s_mov_b32 s29, exec_lo
                                        ; implicit-def: $sgpr16
	v_cmpx_eq_u16_e64 0x80, v166
; %bb.2800:                             ;   in Loop: Header=BB4_2209 Depth=3
	s_mov_b32 s16, 0x7f800001
	s_xor_b32 s13, exec_lo, -1
; %bb.2801:                             ;   in Loop: Header=BB4_2209 Depth=3
	s_or_b32 exec_lo, exec_lo, s29
	s_delay_alu instid0(SALU_CYCLE_1)
	s_and_b32 s13, s13, exec_lo
                                        ; implicit-def: $vgpr166
	s_or_saveexec_b32 s17, s17
	v_mov_b32_e32 v164, s16
	s_xor_b32 exec_lo, exec_lo, s17
	s_cbranch_execz .LBB4_2371
.LBB4_2802:                             ;   in Loop: Header=BB4_2209 Depth=3
	v_cmp_ne_u16_e64 vcc_lo, 0, v166
	v_mov_b32_e32 v164, 0
	s_and_not1_b32 s13, s13, exec_lo
	s_delay_alu instid0(VALU_DEP_2) | instskip(NEXT) | instid1(SALU_CYCLE_1)
	s_and_b32 s16, vcc_lo, exec_lo
	s_or_b32 s13, s13, s16
	s_or_b32 exec_lo, exec_lo, s17
	s_and_saveexec_b32 s16, s13
	s_cbranch_execnz .LBB4_2372
	s_branch .LBB4_2373
.LBB4_2803:                             ;   in Loop: Header=BB4_2209 Depth=3
	s_mov_b32 s13, -1
	s_mov_b32 s29, exec_lo
                                        ; implicit-def: $sgpr16
	v_cmpx_eq_u16_e64 0x80, v167
; %bb.2804:                             ;   in Loop: Header=BB4_2209 Depth=3
	s_mov_b32 s16, 0x7f800001
	s_xor_b32 s13, exec_lo, -1
; %bb.2805:                             ;   in Loop: Header=BB4_2209 Depth=3
	s_or_b32 exec_lo, exec_lo, s29
	s_delay_alu instid0(SALU_CYCLE_1)
	s_and_b32 s13, s13, exec_lo
                                        ; implicit-def: $vgpr167
	s_or_saveexec_b32 s17, s17
	v_mov_b32_e32 v166, s16
	s_xor_b32 exec_lo, exec_lo, s17
	s_cbranch_execz .LBB4_2375
.LBB4_2806:                             ;   in Loop: Header=BB4_2209 Depth=3
	v_cmp_ne_u16_e64 vcc_lo, 0, v167
	v_mov_b32_e32 v166, 0
	s_and_not1_b32 s13, s13, exec_lo
	s_delay_alu instid0(VALU_DEP_2) | instskip(NEXT) | instid1(SALU_CYCLE_1)
	s_and_b32 s16, vcc_lo, exec_lo
	s_or_b32 s13, s13, s16
	s_or_b32 exec_lo, exec_lo, s17
	s_and_saveexec_b32 s16, s13
	s_cbranch_execnz .LBB4_2376
	s_branch .LBB4_2377
.LBB4_2807:                             ;   in Loop: Header=BB4_2209 Depth=3
	s_mov_b32 s13, -1
	s_mov_b32 s29, exec_lo
                                        ; implicit-def: $sgpr16
	v_cmpx_eq_u16_e64 0x80, v166
; %bb.2808:                             ;   in Loop: Header=BB4_2209 Depth=3
	s_mov_b32 s16, 0x7f800001
	s_xor_b32 s13, exec_lo, -1
; %bb.2809:                             ;   in Loop: Header=BB4_2209 Depth=3
	s_or_b32 exec_lo, exec_lo, s29
	s_delay_alu instid0(SALU_CYCLE_1)
	s_and_b32 s13, s13, exec_lo
	s_or_saveexec_b32 s17, s17
	v_mov_b32_e32 v165, s16
	s_xor_b32 exec_lo, exec_lo, s17
	s_cbranch_execz .LBB4_2387
.LBB4_2810:                             ;   in Loop: Header=BB4_2209 Depth=3
	v_cmp_ne_u16_e64 vcc_lo, 0, v166
	v_mov_b32_e32 v165, 0
	s_and_not1_b32 s13, s13, exec_lo
	s_delay_alu instid0(VALU_DEP_2) | instskip(NEXT) | instid1(SALU_CYCLE_1)
	s_and_b32 s16, vcc_lo, exec_lo
	s_or_b32 s13, s13, s16
	s_or_b32 exec_lo, exec_lo, s17
	s_and_saveexec_b32 s16, s13
	s_cbranch_execnz .LBB4_2388
	s_branch .LBB4_2389
.LBB4_2811:                             ;   in Loop: Header=BB4_2209 Depth=3
	s_mov_b32 s13, -1
	s_mov_b32 s29, exec_lo
                                        ; implicit-def: $sgpr16
	v_cmpx_eq_u16_e32 0x80, v22
; %bb.2812:                             ;   in Loop: Header=BB4_2209 Depth=3
	s_mov_b32 s16, 0x7f800001
	s_xor_b32 s13, exec_lo, -1
; %bb.2813:                             ;   in Loop: Header=BB4_2209 Depth=3
	s_or_b32 exec_lo, exec_lo, s29
	s_delay_alu instid0(SALU_CYCLE_1)
	s_and_b32 s13, s13, exec_lo
	s_or_saveexec_b32 s17, s17
	v_mov_b32_e32 v166, s16
	s_xor_b32 exec_lo, exec_lo, s17
	s_cbranch_execz .LBB4_2391
.LBB4_2814:                             ;   in Loop: Header=BB4_2209 Depth=3
	v_cmp_ne_u16_e32 vcc_lo, 0, v22
	v_mov_b32_e32 v166, 0
	s_and_not1_b32 s13, s13, exec_lo
	s_and_b32 s16, vcc_lo, exec_lo
	s_delay_alu instid0(SALU_CYCLE_1)
	s_or_b32 s13, s13, s16
	s_or_b32 exec_lo, exec_lo, s17
	s_and_saveexec_b32 s16, s13
	s_cbranch_execnz .LBB4_2392
	s_branch .LBB4_2393
.LBB4_2815:                             ;   in Loop: Header=BB4_2209 Depth=3
	s_mov_b32 s13, -1
	s_mov_b32 s29, exec_lo
                                        ; implicit-def: $sgpr16
	v_cmpx_eq_u16_e64 0x80, v165
; %bb.2816:                             ;   in Loop: Header=BB4_2209 Depth=3
	s_mov_b32 s16, 0x7f800001
	s_xor_b32 s13, exec_lo, -1
; %bb.2817:                             ;   in Loop: Header=BB4_2209 Depth=3
	s_or_b32 exec_lo, exec_lo, s29
	s_delay_alu instid0(SALU_CYCLE_1)
	s_and_b32 s13, s13, exec_lo
                                        ; implicit-def: $vgpr165
	s_or_saveexec_b32 s17, s17
	v_mov_b32_e32 v22, s16
	s_xor_b32 exec_lo, exec_lo, s17
	s_cbranch_execz .LBB4_2403
.LBB4_2818:                             ;   in Loop: Header=BB4_2209 Depth=3
	v_cmp_ne_u16_e64 vcc_lo, 0, v165
	v_mov_b32_e32 v22, 0
	s_and_not1_b32 s13, s13, exec_lo
	s_delay_alu instid0(VALU_DEP_2) | instskip(NEXT) | instid1(SALU_CYCLE_1)
	s_and_b32 s16, vcc_lo, exec_lo
	s_or_b32 s13, s13, s16
	s_or_b32 exec_lo, exec_lo, s17
	s_and_saveexec_b32 s16, s13
	s_cbranch_execnz .LBB4_2404
	s_branch .LBB4_2405
.LBB4_2819:                             ;   in Loop: Header=BB4_2209 Depth=3
	s_mov_b32 s13, -1
	s_mov_b32 s29, exec_lo
                                        ; implicit-def: $sgpr16
	v_cmpx_eq_u16_e64 0x80, v166
; %bb.2820:                             ;   in Loop: Header=BB4_2209 Depth=3
	s_mov_b32 s16, 0x7f800001
	s_xor_b32 s13, exec_lo, -1
; %bb.2821:                             ;   in Loop: Header=BB4_2209 Depth=3
	s_or_b32 exec_lo, exec_lo, s29
	s_delay_alu instid0(SALU_CYCLE_1)
	s_and_b32 s13, s13, exec_lo
                                        ; implicit-def: $vgpr166
	s_or_saveexec_b32 s17, s17
	v_mov_b32_e32 v165, s16
	s_xor_b32 exec_lo, exec_lo, s17
	s_cbranch_execz .LBB4_2407
.LBB4_2822:                             ;   in Loop: Header=BB4_2209 Depth=3
	v_cmp_ne_u16_e64 vcc_lo, 0, v166
	v_mov_b32_e32 v165, 0
	s_and_not1_b32 s13, s13, exec_lo
	s_delay_alu instid0(VALU_DEP_2) | instskip(NEXT) | instid1(SALU_CYCLE_1)
	s_and_b32 s16, vcc_lo, exec_lo
	s_or_b32 s13, s13, s16
	s_or_b32 exec_lo, exec_lo, s17
	s_and_saveexec_b32 s16, s13
	s_cbranch_execnz .LBB4_2408
	s_branch .LBB4_2409
.LBB4_2823:                             ;   in Loop: Header=BB4_2209 Depth=3
	s_mov_b32 s13, -1
	s_mov_b32 s29, exec_lo
                                        ; implicit-def: $sgpr16
	v_cmpx_eq_u16_e64 0x80, v166
; %bb.2824:                             ;   in Loop: Header=BB4_2209 Depth=3
	s_mov_b32 s16, 0x7f800001
	s_xor_b32 s13, exec_lo, -1
; %bb.2825:                             ;   in Loop: Header=BB4_2209 Depth=3
	s_or_b32 exec_lo, exec_lo, s29
	s_delay_alu instid0(SALU_CYCLE_1)
	s_and_b32 s13, s13, exec_lo
	s_or_saveexec_b32 s17, s17
	v_mov_b32_e32 v165, s16
	s_xor_b32 exec_lo, exec_lo, s17
	s_cbranch_execz .LBB4_2419
.LBB4_2826:                             ;   in Loop: Header=BB4_2209 Depth=3
	v_cmp_ne_u16_e64 vcc_lo, 0, v166
	v_mov_b32_e32 v165, 0
	s_and_not1_b32 s13, s13, exec_lo
	s_delay_alu instid0(VALU_DEP_2) | instskip(NEXT) | instid1(SALU_CYCLE_1)
	s_and_b32 s16, vcc_lo, exec_lo
	s_or_b32 s13, s13, s16
	s_or_b32 exec_lo, exec_lo, s17
	s_and_saveexec_b32 s16, s13
	s_cbranch_execnz .LBB4_2420
	s_branch .LBB4_2421
.LBB4_2827:                             ;   in Loop: Header=BB4_2209 Depth=3
	s_mov_b32 s13, -1
	s_mov_b32 s29, exec_lo
                                        ; implicit-def: $sgpr16
	v_cmpx_eq_u16_e64 0x80, v166
; %bb.2828:                             ;   in Loop: Header=BB4_2209 Depth=3
	s_mov_b32 s16, 0x7f800001
	s_xor_b32 s13, exec_lo, -1
; %bb.2829:                             ;   in Loop: Header=BB4_2209 Depth=3
	s_or_b32 exec_lo, exec_lo, s29
	s_delay_alu instid0(SALU_CYCLE_1)
	s_and_b32 s13, s13, exec_lo
	s_or_saveexec_b32 s17, s17
	v_mov_b32_e32 v167, s16
	s_xor_b32 exec_lo, exec_lo, s17
	s_cbranch_execz .LBB4_2423
.LBB4_2830:                             ;   in Loop: Header=BB4_2209 Depth=3
	v_cmp_ne_u16_e64 vcc_lo, 0, v166
	v_mov_b32_e32 v167, 0
	s_and_not1_b32 s13, s13, exec_lo
	s_delay_alu instid0(VALU_DEP_2) | instskip(NEXT) | instid1(SALU_CYCLE_1)
	s_and_b32 s16, vcc_lo, exec_lo
	s_or_b32 s13, s13, s16
	s_or_b32 exec_lo, exec_lo, s17
	s_and_saveexec_b32 s16, s13
	s_cbranch_execnz .LBB4_2424
	s_branch .LBB4_2425
.LBB4_2831:                             ;   in Loop: Header=BB4_2209 Depth=3
	s_mov_b32 s13, -1
	s_mov_b32 s29, exec_lo
                                        ; implicit-def: $sgpr16
	v_cmpx_eq_u16_e64 0x80, v176
; %bb.2832:                             ;   in Loop: Header=BB4_2209 Depth=3
	s_mov_b32 s16, 0x7f800001
	s_xor_b32 s13, exec_lo, -1
; %bb.2833:                             ;   in Loop: Header=BB4_2209 Depth=3
	s_or_b32 exec_lo, exec_lo, s29
	s_delay_alu instid0(SALU_CYCLE_1)
	s_and_b32 s13, s13, exec_lo
                                        ; implicit-def: $vgpr176
	s_or_saveexec_b32 s17, s17
	v_mov_b32_e32 v166, s16
	s_xor_b32 exec_lo, exec_lo, s17
	s_cbranch_execz .LBB4_2435
.LBB4_2834:                             ;   in Loop: Header=BB4_2209 Depth=3
	v_cmp_ne_u16_e64 vcc_lo, 0, v176
	v_mov_b32_e32 v166, 0
	s_and_not1_b32 s13, s13, exec_lo
	s_delay_alu instid0(VALU_DEP_2) | instskip(NEXT) | instid1(SALU_CYCLE_1)
	s_and_b32 s16, vcc_lo, exec_lo
	s_or_b32 s13, s13, s16
	s_or_b32 exec_lo, exec_lo, s17
	s_and_saveexec_b32 s16, s13
	s_cbranch_execnz .LBB4_2436
	s_branch .LBB4_2437
.LBB4_2835:                             ;   in Loop: Header=BB4_2209 Depth=3
	s_mov_b32 s13, -1
	s_mov_b32 s29, exec_lo
                                        ; implicit-def: $sgpr16
	v_cmpx_eq_u16_e64 0x80, v177
; %bb.2836:                             ;   in Loop: Header=BB4_2209 Depth=3
	s_mov_b32 s16, 0x7f800001
	s_xor_b32 s13, exec_lo, -1
; %bb.2837:                             ;   in Loop: Header=BB4_2209 Depth=3
	s_or_b32 exec_lo, exec_lo, s29
	s_delay_alu instid0(SALU_CYCLE_1)
	s_and_b32 s13, s13, exec_lo
                                        ; implicit-def: $vgpr177
	s_or_saveexec_b32 s17, s17
	v_mov_b32_e32 v176, s16
	s_xor_b32 exec_lo, exec_lo, s17
	s_cbranch_execz .LBB4_2439
.LBB4_2838:                             ;   in Loop: Header=BB4_2209 Depth=3
	v_cmp_ne_u16_e64 vcc_lo, 0, v177
	v_mov_b32_e32 v176, 0
	s_and_not1_b32 s13, s13, exec_lo
	s_delay_alu instid0(VALU_DEP_2) | instskip(NEXT) | instid1(SALU_CYCLE_1)
	s_and_b32 s16, vcc_lo, exec_lo
	s_or_b32 s13, s13, s16
	s_or_b32 exec_lo, exec_lo, s17
	s_and_saveexec_b32 s16, s13
	s_cbranch_execnz .LBB4_2440
	s_branch .LBB4_2441
.LBB4_2839:                             ;   in Loop: Header=BB4_2209 Depth=3
	s_mov_b32 s13, -1
	s_mov_b32 s29, exec_lo
                                        ; implicit-def: $sgpr16
	v_cmpx_eq_u16_e64 0x80, v176
; %bb.2840:                             ;   in Loop: Header=BB4_2209 Depth=3
	s_mov_b32 s16, 0x7f800001
	s_xor_b32 s13, exec_lo, -1
; %bb.2841:                             ;   in Loop: Header=BB4_2209 Depth=3
	s_or_b32 exec_lo, exec_lo, s29
	s_delay_alu instid0(SALU_CYCLE_1)
	s_and_b32 s13, s13, exec_lo
	s_or_saveexec_b32 s17, s17
	v_mov_b32_e32 v167, s16
	s_xor_b32 exec_lo, exec_lo, s17
	s_cbranch_execz .LBB4_2451
.LBB4_2842:                             ;   in Loop: Header=BB4_2209 Depth=3
	v_cmp_ne_u16_e64 vcc_lo, 0, v176
	v_mov_b32_e32 v167, 0
	s_and_not1_b32 s13, s13, exec_lo
	s_delay_alu instid0(VALU_DEP_2) | instskip(NEXT) | instid1(SALU_CYCLE_1)
	s_and_b32 s16, vcc_lo, exec_lo
	s_or_b32 s13, s13, s16
	s_or_b32 exec_lo, exec_lo, s17
	s_and_saveexec_b32 s16, s13
	s_cbranch_execnz .LBB4_2452
	s_branch .LBB4_2453
.LBB4_2843:                             ;   in Loop: Header=BB4_2209 Depth=3
	s_mov_b32 s13, -1
	s_mov_b32 s29, exec_lo
                                        ; implicit-def: $sgpr16
	v_cmpx_eq_u16_e32 0x80, v23
; %bb.2844:                             ;   in Loop: Header=BB4_2209 Depth=3
	s_mov_b32 s16, 0x7f800001
	s_xor_b32 s13, exec_lo, -1
; %bb.2845:                             ;   in Loop: Header=BB4_2209 Depth=3
	s_or_b32 exec_lo, exec_lo, s29
	s_delay_alu instid0(SALU_CYCLE_1)
	s_and_b32 s13, s13, exec_lo
	s_or_saveexec_b32 s17, s17
	v_mov_b32_e32 v176, s16
	s_xor_b32 exec_lo, exec_lo, s17
	s_cbranch_execz .LBB4_2455
.LBB4_2846:                             ;   in Loop: Header=BB4_2209 Depth=3
	v_cmp_ne_u16_e32 vcc_lo, 0, v23
	v_mov_b32_e32 v176, 0
	s_and_not1_b32 s13, s13, exec_lo
	s_and_b32 s16, vcc_lo, exec_lo
	s_delay_alu instid0(SALU_CYCLE_1)
	s_or_b32 s13, s13, s16
	s_or_b32 exec_lo, exec_lo, s17
	s_and_saveexec_b32 s16, s13
	s_cbranch_execnz .LBB4_2456
	s_branch .LBB4_2457
.LBB4_2847:                             ;   in Loop: Header=BB4_2209 Depth=3
	s_mov_b32 s13, -1
	s_mov_b32 s29, exec_lo
                                        ; implicit-def: $sgpr16
	v_cmpx_eq_u16_e64 0x80, v167
; %bb.2848:                             ;   in Loop: Header=BB4_2209 Depth=3
	s_mov_b32 s16, 0x7f800001
	s_xor_b32 s13, exec_lo, -1
; %bb.2849:                             ;   in Loop: Header=BB4_2209 Depth=3
	s_or_b32 exec_lo, exec_lo, s29
	s_delay_alu instid0(SALU_CYCLE_1)
	s_and_b32 s13, s13, exec_lo
                                        ; implicit-def: $vgpr167
	s_or_saveexec_b32 s17, s17
	v_mov_b32_e32 v23, s16
	s_xor_b32 exec_lo, exec_lo, s17
	s_cbranch_execz .LBB4_2467
.LBB4_2850:                             ;   in Loop: Header=BB4_2209 Depth=3
	v_cmp_ne_u16_e64 vcc_lo, 0, v167
	v_mov_b32_e32 v23, 0
	s_and_not1_b32 s13, s13, exec_lo
	s_delay_alu instid0(VALU_DEP_2) | instskip(NEXT) | instid1(SALU_CYCLE_1)
	s_and_b32 s16, vcc_lo, exec_lo
	s_or_b32 s13, s13, s16
	s_or_b32 exec_lo, exec_lo, s17
	s_and_saveexec_b32 s16, s13
	s_cbranch_execnz .LBB4_2468
	s_branch .LBB4_2469
.LBB4_2851:                             ;   in Loop: Header=BB4_2209 Depth=3
	s_mov_b32 s13, -1
	s_mov_b32 s29, exec_lo
                                        ; implicit-def: $sgpr16
	v_cmpx_eq_u16_e64 0x80, v176
; %bb.2852:                             ;   in Loop: Header=BB4_2209 Depth=3
	s_mov_b32 s16, 0x7f800001
	s_xor_b32 s13, exec_lo, -1
; %bb.2853:                             ;   in Loop: Header=BB4_2209 Depth=3
	s_or_b32 exec_lo, exec_lo, s29
	s_delay_alu instid0(SALU_CYCLE_1)
	s_and_b32 s13, s13, exec_lo
                                        ; implicit-def: $vgpr176
	s_or_saveexec_b32 s17, s17
	v_mov_b32_e32 v167, s16
	s_xor_b32 exec_lo, exec_lo, s17
	s_cbranch_execz .LBB4_2471
.LBB4_2854:                             ;   in Loop: Header=BB4_2209 Depth=3
	v_cmp_ne_u16_e64 vcc_lo, 0, v176
	v_mov_b32_e32 v167, 0
	s_and_not1_b32 s13, s13, exec_lo
	s_delay_alu instid0(VALU_DEP_2) | instskip(NEXT) | instid1(SALU_CYCLE_1)
	s_and_b32 s16, vcc_lo, exec_lo
	s_or_b32 s13, s13, s16
	s_or_b32 exec_lo, exec_lo, s17
	s_and_saveexec_b32 s16, s13
	s_cbranch_execnz .LBB4_2472
	s_branch .LBB4_2473
.LBB4_2855:                             ;   in Loop: Header=BB4_2209 Depth=3
	s_mov_b32 s13, -1
	s_mov_b32 s29, exec_lo
                                        ; implicit-def: $sgpr16
	v_cmpx_eq_u16_e64 0x80, v176
; %bb.2856:                             ;   in Loop: Header=BB4_2209 Depth=3
	s_mov_b32 s16, 0x7f800001
	s_xor_b32 s13, exec_lo, -1
; %bb.2857:                             ;   in Loop: Header=BB4_2209 Depth=3
	s_or_b32 exec_lo, exec_lo, s29
	s_delay_alu instid0(SALU_CYCLE_1)
	s_and_b32 s13, s13, exec_lo
	s_or_saveexec_b32 s17, s17
	v_mov_b32_e32 v167, s16
	s_xor_b32 exec_lo, exec_lo, s17
	s_cbranch_execz .LBB4_2483
.LBB4_2858:                             ;   in Loop: Header=BB4_2209 Depth=3
	v_cmp_ne_u16_e64 vcc_lo, 0, v176
	v_mov_b32_e32 v167, 0
	s_and_not1_b32 s13, s13, exec_lo
	s_delay_alu instid0(VALU_DEP_2) | instskip(NEXT) | instid1(SALU_CYCLE_1)
	s_and_b32 s16, vcc_lo, exec_lo
	s_or_b32 s13, s13, s16
	s_or_b32 exec_lo, exec_lo, s17
	s_and_saveexec_b32 s16, s13
	s_cbranch_execnz .LBB4_2484
	s_branch .LBB4_2485
.LBB4_2859:                             ;   in Loop: Header=BB4_2209 Depth=3
	s_mov_b32 s13, -1
	s_mov_b32 s29, exec_lo
                                        ; implicit-def: $sgpr16
	v_cmpx_eq_u16_e64 0x80, v176
; %bb.2860:                             ;   in Loop: Header=BB4_2209 Depth=3
	s_mov_b32 s16, 0x7f800001
	s_xor_b32 s13, exec_lo, -1
; %bb.2861:                             ;   in Loop: Header=BB4_2209 Depth=3
	s_or_b32 exec_lo, exec_lo, s29
	s_delay_alu instid0(SALU_CYCLE_1)
	s_and_b32 s13, s13, exec_lo
	s_or_saveexec_b32 s17, s17
	v_mov_b32_e32 v177, s16
	s_xor_b32 exec_lo, exec_lo, s17
	s_cbranch_execz .LBB4_2487
.LBB4_2862:                             ;   in Loop: Header=BB4_2209 Depth=3
	v_cmp_ne_u16_e64 vcc_lo, 0, v176
	v_mov_b32_e32 v177, 0
	s_and_not1_b32 s13, s13, exec_lo
	s_delay_alu instid0(VALU_DEP_2) | instskip(NEXT) | instid1(SALU_CYCLE_1)
	s_and_b32 s16, vcc_lo, exec_lo
	s_or_b32 s13, s13, s16
	s_or_b32 exec_lo, exec_lo, s17
	s_and_saveexec_b32 s16, s13
	s_cbranch_execnz .LBB4_2488
	s_branch .LBB4_2489
.LBB4_2863:                             ;   in Loop: Header=BB4_2209 Depth=3
	s_mov_b32 s13, -1
	s_mov_b32 s29, exec_lo
                                        ; implicit-def: $sgpr16
	v_cmpx_eq_u16_e64 0x80, v178
; %bb.2864:                             ;   in Loop: Header=BB4_2209 Depth=3
	s_mov_b32 s16, 0x7f800001
	s_xor_b32 s13, exec_lo, -1
; %bb.2865:                             ;   in Loop: Header=BB4_2209 Depth=3
	s_or_b32 exec_lo, exec_lo, s29
	s_delay_alu instid0(SALU_CYCLE_1)
	s_and_b32 s13, s13, exec_lo
                                        ; implicit-def: $vgpr178
	s_or_saveexec_b32 s17, s17
	v_mov_b32_e32 v176, s16
	s_xor_b32 exec_lo, exec_lo, s17
	s_cbranch_execz .LBB4_2499
.LBB4_2866:                             ;   in Loop: Header=BB4_2209 Depth=3
	v_cmp_ne_u16_e64 vcc_lo, 0, v178
	v_mov_b32_e32 v176, 0
	s_and_not1_b32 s13, s13, exec_lo
	s_delay_alu instid0(VALU_DEP_2) | instskip(NEXT) | instid1(SALU_CYCLE_1)
	s_and_b32 s16, vcc_lo, exec_lo
	s_or_b32 s13, s13, s16
	s_or_b32 exec_lo, exec_lo, s17
	s_and_saveexec_b32 s16, s13
	s_cbranch_execnz .LBB4_2500
	s_branch .LBB4_2501
.LBB4_2867:                             ;   in Loop: Header=BB4_2209 Depth=3
	s_mov_b32 s13, -1
	s_mov_b32 s29, exec_lo
                                        ; implicit-def: $sgpr16
	v_cmpx_eq_u16_e64 0x80, v179
; %bb.2868:                             ;   in Loop: Header=BB4_2209 Depth=3
	s_mov_b32 s16, 0x7f800001
	s_xor_b32 s13, exec_lo, -1
; %bb.2869:                             ;   in Loop: Header=BB4_2209 Depth=3
	s_or_b32 exec_lo, exec_lo, s29
	s_delay_alu instid0(SALU_CYCLE_1)
	s_and_b32 s13, s13, exec_lo
                                        ; implicit-def: $vgpr179
	s_or_saveexec_b32 s17, s17
	v_mov_b32_e32 v178, s16
	s_xor_b32 exec_lo, exec_lo, s17
	s_cbranch_execz .LBB4_2503
.LBB4_2870:                             ;   in Loop: Header=BB4_2209 Depth=3
	v_cmp_ne_u16_e64 vcc_lo, 0, v179
	v_mov_b32_e32 v178, 0
	s_and_not1_b32 s13, s13, exec_lo
	s_delay_alu instid0(VALU_DEP_2) | instskip(NEXT) | instid1(SALU_CYCLE_1)
	s_and_b32 s16, vcc_lo, exec_lo
	s_or_b32 s13, s13, s16
	s_or_b32 exec_lo, exec_lo, s17
	s_and_saveexec_b32 s16, s13
	s_cbranch_execnz .LBB4_2504
	s_branch .LBB4_2505
.LBB4_2871:                             ;   in Loop: Header=BB4_2209 Depth=3
	s_mov_b32 s13, -1
	s_mov_b32 s29, exec_lo
                                        ; implicit-def: $sgpr16
	v_cmpx_eq_u16_e64 0x80, v178
; %bb.2872:                             ;   in Loop: Header=BB4_2209 Depth=3
	s_mov_b32 s16, 0x7f800001
	s_xor_b32 s13, exec_lo, -1
; %bb.2873:                             ;   in Loop: Header=BB4_2209 Depth=3
	s_or_b32 exec_lo, exec_lo, s29
	s_delay_alu instid0(SALU_CYCLE_1)
	s_and_b32 s13, s13, exec_lo
	s_or_saveexec_b32 s17, s17
	v_mov_b32_e32 v177, s16
	s_xor_b32 exec_lo, exec_lo, s17
	s_cbranch_execz .LBB4_2515
.LBB4_2874:                             ;   in Loop: Header=BB4_2209 Depth=3
	v_cmp_ne_u16_e64 vcc_lo, 0, v178
	v_mov_b32_e32 v177, 0
	s_and_not1_b32 s13, s13, exec_lo
	s_delay_alu instid0(VALU_DEP_2) | instskip(NEXT) | instid1(SALU_CYCLE_1)
	s_and_b32 s16, vcc_lo, exec_lo
	s_or_b32 s13, s13, s16
	s_or_b32 exec_lo, exec_lo, s17
	s_and_saveexec_b32 s16, s13
	s_cbranch_execnz .LBB4_2516
	s_branch .LBB4_2517
.LBB4_2875:                             ;   in Loop: Header=BB4_2209 Depth=3
	s_mov_b32 s13, -1
	s_mov_b32 s29, exec_lo
                                        ; implicit-def: $sgpr16
	v_cmpx_eq_u16_e32 0x80, v12
; %bb.2876:                             ;   in Loop: Header=BB4_2209 Depth=3
	s_mov_b32 s16, 0x7f800001
	s_xor_b32 s13, exec_lo, -1
; %bb.2877:                             ;   in Loop: Header=BB4_2209 Depth=3
	s_or_b32 exec_lo, exec_lo, s29
	s_delay_alu instid0(SALU_CYCLE_1)
	s_and_b32 s13, s13, exec_lo
	s_or_saveexec_b32 s17, s17
	v_mov_b32_e32 v178, s16
	s_xor_b32 exec_lo, exec_lo, s17
	s_cbranch_execz .LBB4_2519
.LBB4_2878:                             ;   in Loop: Header=BB4_2209 Depth=3
	v_cmp_ne_u16_e32 vcc_lo, 0, v12
	v_mov_b32_e32 v178, 0
	s_and_not1_b32 s13, s13, exec_lo
	s_and_b32 s16, vcc_lo, exec_lo
	s_delay_alu instid0(SALU_CYCLE_1)
	s_or_b32 s13, s13, s16
	s_or_b32 exec_lo, exec_lo, s17
	s_and_saveexec_b32 s16, s13
	s_cbranch_execnz .LBB4_2520
	s_branch .LBB4_2521
.LBB4_2879:                             ;   in Loop: Header=BB4_2209 Depth=3
	s_mov_b32 s13, -1
	s_mov_b32 s29, exec_lo
                                        ; implicit-def: $sgpr16
	v_cmpx_eq_u16_e64 0x80, v177
; %bb.2880:                             ;   in Loop: Header=BB4_2209 Depth=3
	s_mov_b32 s16, 0x7f800001
	s_xor_b32 s13, exec_lo, -1
; %bb.2881:                             ;   in Loop: Header=BB4_2209 Depth=3
	s_or_b32 exec_lo, exec_lo, s29
	s_delay_alu instid0(SALU_CYCLE_1)
	s_and_b32 s13, s13, exec_lo
                                        ; implicit-def: $vgpr177
	s_or_saveexec_b32 s17, s17
	v_mov_b32_e32 v12, s16
	s_xor_b32 exec_lo, exec_lo, s17
	s_cbranch_execz .LBB4_2531
.LBB4_2882:                             ;   in Loop: Header=BB4_2209 Depth=3
	v_cmp_ne_u16_e64 vcc_lo, 0, v177
	v_mov_b32_e32 v12, 0
	s_and_not1_b32 s13, s13, exec_lo
	s_delay_alu instid0(VALU_DEP_2) | instskip(NEXT) | instid1(SALU_CYCLE_1)
	s_and_b32 s16, vcc_lo, exec_lo
	s_or_b32 s13, s13, s16
	s_or_b32 exec_lo, exec_lo, s17
	s_and_saveexec_b32 s16, s13
	s_cbranch_execnz .LBB4_2532
	s_branch .LBB4_2533
.LBB4_2883:                             ;   in Loop: Header=BB4_2209 Depth=3
	s_mov_b32 s13, -1
	s_mov_b32 s29, exec_lo
                                        ; implicit-def: $sgpr16
	v_cmpx_eq_u16_e64 0x80, v178
; %bb.2884:                             ;   in Loop: Header=BB4_2209 Depth=3
	s_mov_b32 s16, 0x7f800001
	s_xor_b32 s13, exec_lo, -1
; %bb.2885:                             ;   in Loop: Header=BB4_2209 Depth=3
	s_or_b32 exec_lo, exec_lo, s29
	s_delay_alu instid0(SALU_CYCLE_1)
	s_and_b32 s13, s13, exec_lo
                                        ; implicit-def: $vgpr178
	s_or_saveexec_b32 s17, s17
	v_mov_b32_e32 v177, s16
	s_xor_b32 exec_lo, exec_lo, s17
	s_cbranch_execz .LBB4_2535
.LBB4_2886:                             ;   in Loop: Header=BB4_2209 Depth=3
	v_cmp_ne_u16_e64 vcc_lo, 0, v178
	v_mov_b32_e32 v177, 0
	s_and_not1_b32 s13, s13, exec_lo
	s_delay_alu instid0(VALU_DEP_2) | instskip(NEXT) | instid1(SALU_CYCLE_1)
	s_and_b32 s16, vcc_lo, exec_lo
	s_or_b32 s13, s13, s16
	s_or_b32 exec_lo, exec_lo, s17
	s_and_saveexec_b32 s16, s13
	s_cbranch_execnz .LBB4_2536
	s_branch .LBB4_2537
.LBB4_2887:                             ;   in Loop: Header=BB4_2209 Depth=3
	s_mov_b32 s13, -1
	s_mov_b32 s29, exec_lo
                                        ; implicit-def: $sgpr16
	v_cmpx_eq_u16_e64 0x80, v178
; %bb.2888:                             ;   in Loop: Header=BB4_2209 Depth=3
	s_mov_b32 s16, 0x7f800001
	s_xor_b32 s13, exec_lo, -1
; %bb.2889:                             ;   in Loop: Header=BB4_2209 Depth=3
	s_or_b32 exec_lo, exec_lo, s29
	s_delay_alu instid0(SALU_CYCLE_1)
	s_and_b32 s13, s13, exec_lo
	s_or_saveexec_b32 s17, s17
	v_mov_b32_e32 v177, s16
	s_xor_b32 exec_lo, exec_lo, s17
	s_cbranch_execz .LBB4_2547
.LBB4_2890:                             ;   in Loop: Header=BB4_2209 Depth=3
	v_cmp_ne_u16_e64 vcc_lo, 0, v178
	v_mov_b32_e32 v177, 0
	s_and_not1_b32 s13, s13, exec_lo
	s_delay_alu instid0(VALU_DEP_2) | instskip(NEXT) | instid1(SALU_CYCLE_1)
	s_and_b32 s16, vcc_lo, exec_lo
	s_or_b32 s13, s13, s16
	s_or_b32 exec_lo, exec_lo, s17
	s_and_saveexec_b32 s16, s13
	s_cbranch_execnz .LBB4_2548
	s_branch .LBB4_2549
.LBB4_2891:                             ;   in Loop: Header=BB4_2209 Depth=3
	s_mov_b32 s13, -1
	s_mov_b32 s29, exec_lo
                                        ; implicit-def: $sgpr16
	v_cmpx_eq_u16_e64 0x80, v178
; %bb.2892:                             ;   in Loop: Header=BB4_2209 Depth=3
	s_mov_b32 s16, 0x7f800001
	s_xor_b32 s13, exec_lo, -1
; %bb.2893:                             ;   in Loop: Header=BB4_2209 Depth=3
	s_or_b32 exec_lo, exec_lo, s29
	s_delay_alu instid0(SALU_CYCLE_1)
	s_and_b32 s13, s13, exec_lo
	s_or_saveexec_b32 s17, s17
	v_mov_b32_e32 v179, s16
	s_xor_b32 exec_lo, exec_lo, s17
	s_cbranch_execz .LBB4_2551
.LBB4_2894:                             ;   in Loop: Header=BB4_2209 Depth=3
	v_cmp_ne_u16_e64 vcc_lo, 0, v178
	v_mov_b32_e32 v179, 0
	s_and_not1_b32 s13, s13, exec_lo
	s_delay_alu instid0(VALU_DEP_2) | instskip(NEXT) | instid1(SALU_CYCLE_1)
	s_and_b32 s16, vcc_lo, exec_lo
	s_or_b32 s13, s13, s16
	s_or_b32 exec_lo, exec_lo, s17
	s_and_saveexec_b32 s16, s13
	s_cbranch_execnz .LBB4_2552
	s_branch .LBB4_2553
.LBB4_2895:                             ;   in Loop: Header=BB4_2209 Depth=3
	s_mov_b32 s13, -1
	s_mov_b32 s29, exec_lo
                                        ; implicit-def: $sgpr16
	v_cmpx_eq_u16_e64 0x80, v180
; %bb.2896:                             ;   in Loop: Header=BB4_2209 Depth=3
	s_mov_b32 s16, 0x7f800001
	s_xor_b32 s13, exec_lo, -1
; %bb.2897:                             ;   in Loop: Header=BB4_2209 Depth=3
	s_or_b32 exec_lo, exec_lo, s29
	s_delay_alu instid0(SALU_CYCLE_1)
	s_and_b32 s13, s13, exec_lo
                                        ; implicit-def: $vgpr180
	s_or_saveexec_b32 s17, s17
	v_mov_b32_e32 v178, s16
	s_xor_b32 exec_lo, exec_lo, s17
	s_cbranch_execz .LBB4_2563
.LBB4_2898:                             ;   in Loop: Header=BB4_2209 Depth=3
	v_cmp_ne_u16_e64 vcc_lo, 0, v180
	v_mov_b32_e32 v178, 0
	s_and_not1_b32 s13, s13, exec_lo
	s_delay_alu instid0(VALU_DEP_2) | instskip(NEXT) | instid1(SALU_CYCLE_1)
	s_and_b32 s16, vcc_lo, exec_lo
	s_or_b32 s13, s13, s16
	s_or_b32 exec_lo, exec_lo, s17
	s_and_saveexec_b32 s16, s13
	s_cbranch_execnz .LBB4_2564
	s_branch .LBB4_2565
.LBB4_2899:                             ;   in Loop: Header=BB4_2209 Depth=3
	s_mov_b32 s13, -1
	s_mov_b32 s29, exec_lo
                                        ; implicit-def: $sgpr16
	v_cmpx_eq_u16_e64 0x80, v181
; %bb.2900:                             ;   in Loop: Header=BB4_2209 Depth=3
	s_mov_b32 s16, 0x7f800001
	s_xor_b32 s13, exec_lo, -1
; %bb.2901:                             ;   in Loop: Header=BB4_2209 Depth=3
	s_or_b32 exec_lo, exec_lo, s29
	s_delay_alu instid0(SALU_CYCLE_1)
	s_and_b32 s13, s13, exec_lo
                                        ; implicit-def: $vgpr181
	s_or_saveexec_b32 s17, s17
	v_mov_b32_e32 v180, s16
	s_xor_b32 exec_lo, exec_lo, s17
	s_cbranch_execz .LBB4_2567
.LBB4_2902:                             ;   in Loop: Header=BB4_2209 Depth=3
	v_cmp_ne_u16_e64 vcc_lo, 0, v181
	v_mov_b32_e32 v180, 0
	s_and_not1_b32 s13, s13, exec_lo
	s_delay_alu instid0(VALU_DEP_2) | instskip(NEXT) | instid1(SALU_CYCLE_1)
	s_and_b32 s16, vcc_lo, exec_lo
	s_or_b32 s13, s13, s16
	s_or_b32 exec_lo, exec_lo, s17
	s_and_saveexec_b32 s16, s13
	s_cbranch_execnz .LBB4_2568
	s_branch .LBB4_2569
.LBB4_2903:                             ;   in Loop: Header=BB4_2209 Depth=3
	s_mov_b32 s13, -1
	s_mov_b32 s29, exec_lo
                                        ; implicit-def: $sgpr16
	v_cmpx_eq_u16_e64 0x80, v180
; %bb.2904:                             ;   in Loop: Header=BB4_2209 Depth=3
	s_mov_b32 s16, 0x7f800001
	s_xor_b32 s13, exec_lo, -1
; %bb.2905:                             ;   in Loop: Header=BB4_2209 Depth=3
	s_or_b32 exec_lo, exec_lo, s29
	s_delay_alu instid0(SALU_CYCLE_1)
	s_and_b32 s13, s13, exec_lo
	s_or_saveexec_b32 s17, s17
	v_mov_b32_e32 v179, s16
	s_xor_b32 exec_lo, exec_lo, s17
	s_cbranch_execz .LBB4_2579
.LBB4_2906:                             ;   in Loop: Header=BB4_2209 Depth=3
	v_cmp_ne_u16_e64 vcc_lo, 0, v180
	v_mov_b32_e32 v179, 0
	s_and_not1_b32 s13, s13, exec_lo
	s_delay_alu instid0(VALU_DEP_2) | instskip(NEXT) | instid1(SALU_CYCLE_1)
	s_and_b32 s16, vcc_lo, exec_lo
	s_or_b32 s13, s13, s16
	s_or_b32 exec_lo, exec_lo, s17
	s_and_saveexec_b32 s16, s13
	s_cbranch_execnz .LBB4_2580
	s_branch .LBB4_2581
.LBB4_2907:                             ;   in Loop: Header=BB4_2209 Depth=3
	s_mov_b32 s13, -1
	s_mov_b32 s29, exec_lo
                                        ; implicit-def: $sgpr16
	v_cmpx_eq_u16_e32 0x80, v13
; %bb.2908:                             ;   in Loop: Header=BB4_2209 Depth=3
	s_mov_b32 s16, 0x7f800001
	s_xor_b32 s13, exec_lo, -1
; %bb.2909:                             ;   in Loop: Header=BB4_2209 Depth=3
	s_or_b32 exec_lo, exec_lo, s29
	s_delay_alu instid0(SALU_CYCLE_1)
	s_and_b32 s13, s13, exec_lo
	s_or_saveexec_b32 s17, s17
	v_mov_b32_e32 v180, s16
	s_xor_b32 exec_lo, exec_lo, s17
	s_cbranch_execz .LBB4_2583
.LBB4_2910:                             ;   in Loop: Header=BB4_2209 Depth=3
	v_cmp_ne_u16_e32 vcc_lo, 0, v13
	v_mov_b32_e32 v180, 0
	s_and_not1_b32 s13, s13, exec_lo
	s_and_b32 s16, vcc_lo, exec_lo
	s_delay_alu instid0(SALU_CYCLE_1)
	s_or_b32 s13, s13, s16
	s_or_b32 exec_lo, exec_lo, s17
	s_and_saveexec_b32 s16, s13
	s_cbranch_execnz .LBB4_2584
	s_branch .LBB4_2585
.LBB4_2911:                             ;   in Loop: Header=BB4_2209 Depth=3
	s_mov_b32 s13, -1
	s_mov_b32 s29, exec_lo
                                        ; implicit-def: $sgpr16
	v_cmpx_eq_u16_e64 0x80, v179
; %bb.2912:                             ;   in Loop: Header=BB4_2209 Depth=3
	s_mov_b32 s16, 0x7f800001
	s_xor_b32 s13, exec_lo, -1
; %bb.2913:                             ;   in Loop: Header=BB4_2209 Depth=3
	s_or_b32 exec_lo, exec_lo, s29
	s_delay_alu instid0(SALU_CYCLE_1)
	s_and_b32 s13, s13, exec_lo
                                        ; implicit-def: $vgpr179
	s_or_saveexec_b32 s17, s17
	v_mov_b32_e32 v13, s16
	s_xor_b32 exec_lo, exec_lo, s17
	s_cbranch_execz .LBB4_2595
.LBB4_2914:                             ;   in Loop: Header=BB4_2209 Depth=3
	v_cmp_ne_u16_e64 vcc_lo, 0, v179
	v_mov_b32_e32 v13, 0
	s_and_not1_b32 s13, s13, exec_lo
	s_delay_alu instid0(VALU_DEP_2) | instskip(NEXT) | instid1(SALU_CYCLE_1)
	s_and_b32 s16, vcc_lo, exec_lo
	s_or_b32 s13, s13, s16
	s_or_b32 exec_lo, exec_lo, s17
	s_and_saveexec_b32 s16, s13
	s_cbranch_execnz .LBB4_2596
	s_branch .LBB4_2597
.LBB4_2915:                             ;   in Loop: Header=BB4_2209 Depth=3
	s_mov_b32 s13, -1
	s_mov_b32 s29, exec_lo
                                        ; implicit-def: $sgpr16
	v_cmpx_eq_u16_e64 0x80, v180
; %bb.2916:                             ;   in Loop: Header=BB4_2209 Depth=3
	s_mov_b32 s16, 0x7f800001
	s_xor_b32 s13, exec_lo, -1
; %bb.2917:                             ;   in Loop: Header=BB4_2209 Depth=3
	s_or_b32 exec_lo, exec_lo, s29
	s_delay_alu instid0(SALU_CYCLE_1)
	s_and_b32 s13, s13, exec_lo
                                        ; implicit-def: $vgpr180
	s_or_saveexec_b32 s17, s17
	v_mov_b32_e32 v179, s16
	s_xor_b32 exec_lo, exec_lo, s17
	s_cbranch_execz .LBB4_2599
.LBB4_2918:                             ;   in Loop: Header=BB4_2209 Depth=3
	v_cmp_ne_u16_e64 vcc_lo, 0, v180
	v_mov_b32_e32 v179, 0
	s_and_not1_b32 s13, s13, exec_lo
	s_delay_alu instid0(VALU_DEP_2) | instskip(NEXT) | instid1(SALU_CYCLE_1)
	s_and_b32 s16, vcc_lo, exec_lo
	s_or_b32 s13, s13, s16
	s_or_b32 exec_lo, exec_lo, s17
	s_and_saveexec_b32 s16, s13
	s_cbranch_execnz .LBB4_2600
	s_branch .LBB4_2601
.LBB4_2919:                             ;   in Loop: Header=BB4_2209 Depth=3
	s_mov_b32 s13, -1
	s_mov_b32 s29, exec_lo
                                        ; implicit-def: $sgpr16
	v_cmpx_eq_u16_e64 0x80, v180
; %bb.2920:                             ;   in Loop: Header=BB4_2209 Depth=3
	s_mov_b32 s16, 0x7f800001
	s_xor_b32 s13, exec_lo, -1
; %bb.2921:                             ;   in Loop: Header=BB4_2209 Depth=3
	s_or_b32 exec_lo, exec_lo, s29
	s_delay_alu instid0(SALU_CYCLE_1)
	s_and_b32 s13, s13, exec_lo
	s_or_saveexec_b32 s17, s17
	v_mov_b32_e32 v179, s16
	s_xor_b32 exec_lo, exec_lo, s17
	s_cbranch_execz .LBB4_2611
.LBB4_2922:                             ;   in Loop: Header=BB4_2209 Depth=3
	v_cmp_ne_u16_e64 vcc_lo, 0, v180
	v_mov_b32_e32 v179, 0
	s_and_not1_b32 s13, s13, exec_lo
	s_delay_alu instid0(VALU_DEP_2) | instskip(NEXT) | instid1(SALU_CYCLE_1)
	s_and_b32 s16, vcc_lo, exec_lo
	s_or_b32 s13, s13, s16
	s_or_b32 exec_lo, exec_lo, s17
	s_and_saveexec_b32 s16, s13
	s_cbranch_execnz .LBB4_2612
	s_branch .LBB4_2613
.LBB4_2923:                             ;   in Loop: Header=BB4_2209 Depth=3
	s_mov_b32 s13, -1
	s_mov_b32 s29, exec_lo
                                        ; implicit-def: $sgpr16
	v_cmpx_eq_u16_e64 0x80, v180
; %bb.2924:                             ;   in Loop: Header=BB4_2209 Depth=3
	s_mov_b32 s16, 0x7f800001
	s_xor_b32 s13, exec_lo, -1
; %bb.2925:                             ;   in Loop: Header=BB4_2209 Depth=3
	s_or_b32 exec_lo, exec_lo, s29
	s_delay_alu instid0(SALU_CYCLE_1)
	s_and_b32 s13, s13, exec_lo
	s_or_saveexec_b32 s17, s17
	v_mov_b32_e32 v181, s16
	s_xor_b32 exec_lo, exec_lo, s17
	s_cbranch_execz .LBB4_2615
.LBB4_2926:                             ;   in Loop: Header=BB4_2209 Depth=3
	v_cmp_ne_u16_e64 vcc_lo, 0, v180
	v_mov_b32_e32 v181, 0
	s_and_not1_b32 s13, s13, exec_lo
	s_delay_alu instid0(VALU_DEP_2) | instskip(NEXT) | instid1(SALU_CYCLE_1)
	s_and_b32 s16, vcc_lo, exec_lo
	s_or_b32 s13, s13, s16
	s_or_b32 exec_lo, exec_lo, s17
	s_and_saveexec_b32 s16, s13
	s_cbranch_execnz .LBB4_2616
	s_branch .LBB4_2617
.LBB4_2927:                             ;   in Loop: Header=BB4_2209 Depth=3
	s_mov_b32 s13, -1
	s_mov_b32 s29, exec_lo
                                        ; implicit-def: $sgpr16
	v_cmpx_eq_u16_e64 0x80, v182
; %bb.2928:                             ;   in Loop: Header=BB4_2209 Depth=3
	s_mov_b32 s16, 0x7f800001
	s_xor_b32 s13, exec_lo, -1
; %bb.2929:                             ;   in Loop: Header=BB4_2209 Depth=3
	s_or_b32 exec_lo, exec_lo, s29
	s_delay_alu instid0(SALU_CYCLE_1)
	s_and_b32 s13, s13, exec_lo
                                        ; implicit-def: $vgpr182
	s_or_saveexec_b32 s17, s17
	v_mov_b32_e32 v180, s16
	s_xor_b32 exec_lo, exec_lo, s17
	s_cbranch_execz .LBB4_2627
.LBB4_2930:                             ;   in Loop: Header=BB4_2209 Depth=3
	v_cmp_ne_u16_e64 vcc_lo, 0, v182
	v_mov_b32_e32 v180, 0
	s_and_not1_b32 s13, s13, exec_lo
	s_delay_alu instid0(VALU_DEP_2) | instskip(NEXT) | instid1(SALU_CYCLE_1)
	s_and_b32 s16, vcc_lo, exec_lo
	s_or_b32 s13, s13, s16
	s_or_b32 exec_lo, exec_lo, s17
	s_and_saveexec_b32 s16, s13
	s_cbranch_execnz .LBB4_2628
	s_branch .LBB4_2629
.LBB4_2931:                             ;   in Loop: Header=BB4_2209 Depth=3
	s_mov_b32 s13, -1
	s_mov_b32 s29, exec_lo
                                        ; implicit-def: $sgpr16
	v_cmpx_eq_u16_e64 0x80, v183
; %bb.2932:                             ;   in Loop: Header=BB4_2209 Depth=3
	s_mov_b32 s16, 0x7f800001
	s_xor_b32 s13, exec_lo, -1
; %bb.2933:                             ;   in Loop: Header=BB4_2209 Depth=3
	s_or_b32 exec_lo, exec_lo, s29
	s_delay_alu instid0(SALU_CYCLE_1)
	s_and_b32 s13, s13, exec_lo
                                        ; implicit-def: $vgpr183
	s_or_saveexec_b32 s17, s17
	v_mov_b32_e32 v182, s16
	s_xor_b32 exec_lo, exec_lo, s17
	s_cbranch_execz .LBB4_2631
.LBB4_2934:                             ;   in Loop: Header=BB4_2209 Depth=3
	v_cmp_ne_u16_e64 vcc_lo, 0, v183
	v_mov_b32_e32 v182, 0
	s_and_not1_b32 s13, s13, exec_lo
	s_delay_alu instid0(VALU_DEP_2) | instskip(NEXT) | instid1(SALU_CYCLE_1)
	s_and_b32 s16, vcc_lo, exec_lo
	s_or_b32 s13, s13, s16
	s_or_b32 exec_lo, exec_lo, s17
	s_and_saveexec_b32 s16, s13
	s_cbranch_execnz .LBB4_2632
	s_branch .LBB4_2633
.LBB4_2935:                             ;   in Loop: Header=BB4_2209 Depth=3
	s_mov_b32 s13, -1
	s_mov_b32 s29, exec_lo
                                        ; implicit-def: $sgpr16
	v_cmpx_eq_u16_e64 0x80, v182
; %bb.2936:                             ;   in Loop: Header=BB4_2209 Depth=3
	s_mov_b32 s16, 0x7f800001
	s_xor_b32 s13, exec_lo, -1
; %bb.2937:                             ;   in Loop: Header=BB4_2209 Depth=3
	s_or_b32 exec_lo, exec_lo, s29
	s_delay_alu instid0(SALU_CYCLE_1)
	s_and_b32 s13, s13, exec_lo
	s_or_saveexec_b32 s17, s17
	v_mov_b32_e32 v181, s16
	s_xor_b32 exec_lo, exec_lo, s17
	s_cbranch_execz .LBB4_2643
.LBB4_2938:                             ;   in Loop: Header=BB4_2209 Depth=3
	v_cmp_ne_u16_e64 vcc_lo, 0, v182
	v_mov_b32_e32 v181, 0
	s_and_not1_b32 s13, s13, exec_lo
	s_delay_alu instid0(VALU_DEP_2) | instskip(NEXT) | instid1(SALU_CYCLE_1)
	s_and_b32 s16, vcc_lo, exec_lo
	s_or_b32 s13, s13, s16
	s_or_b32 exec_lo, exec_lo, s17
	s_and_saveexec_b32 s16, s13
	s_cbranch_execnz .LBB4_2644
	s_branch .LBB4_2645
.LBB4_2939:                             ;   in Loop: Header=BB4_2209 Depth=3
	s_mov_b32 s13, -1
	s_mov_b32 s29, exec_lo
                                        ; implicit-def: $sgpr16
	v_cmpx_eq_u16_e32 0x80, v14
; %bb.2940:                             ;   in Loop: Header=BB4_2209 Depth=3
	s_mov_b32 s16, 0x7f800001
	s_xor_b32 s13, exec_lo, -1
; %bb.2941:                             ;   in Loop: Header=BB4_2209 Depth=3
	s_or_b32 exec_lo, exec_lo, s29
	s_delay_alu instid0(SALU_CYCLE_1)
	s_and_b32 s13, s13, exec_lo
	s_or_saveexec_b32 s17, s17
	v_mov_b32_e32 v182, s16
	s_xor_b32 exec_lo, exec_lo, s17
	s_cbranch_execz .LBB4_2647
.LBB4_2942:                             ;   in Loop: Header=BB4_2209 Depth=3
	v_cmp_ne_u16_e32 vcc_lo, 0, v14
	v_mov_b32_e32 v182, 0
	s_and_not1_b32 s13, s13, exec_lo
	s_and_b32 s16, vcc_lo, exec_lo
	s_delay_alu instid0(SALU_CYCLE_1)
	s_or_b32 s13, s13, s16
	s_or_b32 exec_lo, exec_lo, s17
	s_and_saveexec_b32 s16, s13
	s_cbranch_execnz .LBB4_2648
	s_branch .LBB4_2649
.LBB4_2943:                             ;   in Loop: Header=BB4_2209 Depth=3
	s_mov_b32 s13, -1
	s_mov_b32 s29, exec_lo
                                        ; implicit-def: $sgpr16
	v_cmpx_eq_u16_e64 0x80, v181
; %bb.2944:                             ;   in Loop: Header=BB4_2209 Depth=3
	s_mov_b32 s16, 0x7f800001
	s_xor_b32 s13, exec_lo, -1
; %bb.2945:                             ;   in Loop: Header=BB4_2209 Depth=3
	s_or_b32 exec_lo, exec_lo, s29
	s_delay_alu instid0(SALU_CYCLE_1)
	s_and_b32 s13, s13, exec_lo
                                        ; implicit-def: $vgpr181
	s_or_saveexec_b32 s17, s17
	v_mov_b32_e32 v14, s16
	s_xor_b32 exec_lo, exec_lo, s17
	s_cbranch_execz .LBB4_2659
.LBB4_2946:                             ;   in Loop: Header=BB4_2209 Depth=3
	v_cmp_ne_u16_e64 vcc_lo, 0, v181
	v_mov_b32_e32 v14, 0
	s_and_not1_b32 s13, s13, exec_lo
	s_delay_alu instid0(VALU_DEP_2) | instskip(NEXT) | instid1(SALU_CYCLE_1)
	s_and_b32 s16, vcc_lo, exec_lo
	s_or_b32 s13, s13, s16
	s_or_b32 exec_lo, exec_lo, s17
	s_and_saveexec_b32 s16, s13
	s_cbranch_execnz .LBB4_2660
	s_branch .LBB4_2661
.LBB4_2947:                             ;   in Loop: Header=BB4_2209 Depth=3
	s_mov_b32 s13, -1
	s_mov_b32 s29, exec_lo
                                        ; implicit-def: $sgpr16
	v_cmpx_eq_u16_e64 0x80, v182
; %bb.2948:                             ;   in Loop: Header=BB4_2209 Depth=3
	s_mov_b32 s16, 0x7f800001
	s_xor_b32 s13, exec_lo, -1
; %bb.2949:                             ;   in Loop: Header=BB4_2209 Depth=3
	s_or_b32 exec_lo, exec_lo, s29
	s_delay_alu instid0(SALU_CYCLE_1)
	s_and_b32 s13, s13, exec_lo
                                        ; implicit-def: $vgpr182
	s_or_saveexec_b32 s17, s17
	v_mov_b32_e32 v181, s16
	s_xor_b32 exec_lo, exec_lo, s17
	s_cbranch_execz .LBB4_2663
.LBB4_2950:                             ;   in Loop: Header=BB4_2209 Depth=3
	v_cmp_ne_u16_e64 vcc_lo, 0, v182
	v_mov_b32_e32 v181, 0
	s_and_not1_b32 s13, s13, exec_lo
	s_delay_alu instid0(VALU_DEP_2) | instskip(NEXT) | instid1(SALU_CYCLE_1)
	s_and_b32 s16, vcc_lo, exec_lo
	s_or_b32 s13, s13, s16
	s_or_b32 exec_lo, exec_lo, s17
	s_and_saveexec_b32 s16, s13
	s_cbranch_execnz .LBB4_2664
	s_branch .LBB4_2665
.LBB4_2951:                             ;   in Loop: Header=BB4_2209 Depth=3
	s_mov_b32 s13, -1
	s_mov_b32 s29, exec_lo
                                        ; implicit-def: $sgpr16
	v_cmpx_eq_u16_e64 0x80, v182
; %bb.2952:                             ;   in Loop: Header=BB4_2209 Depth=3
	s_mov_b32 s16, 0x7f800001
	s_xor_b32 s13, exec_lo, -1
; %bb.2953:                             ;   in Loop: Header=BB4_2209 Depth=3
	s_or_b32 exec_lo, exec_lo, s29
	s_delay_alu instid0(SALU_CYCLE_1)
	s_and_b32 s13, s13, exec_lo
	s_or_saveexec_b32 s17, s17
	v_mov_b32_e32 v181, s16
	s_xor_b32 exec_lo, exec_lo, s17
	s_cbranch_execz .LBB4_2675
.LBB4_2954:                             ;   in Loop: Header=BB4_2209 Depth=3
	v_cmp_ne_u16_e64 vcc_lo, 0, v182
	v_mov_b32_e32 v181, 0
	s_and_not1_b32 s13, s13, exec_lo
	s_delay_alu instid0(VALU_DEP_2) | instskip(NEXT) | instid1(SALU_CYCLE_1)
	s_and_b32 s16, vcc_lo, exec_lo
	s_or_b32 s13, s13, s16
	s_or_b32 exec_lo, exec_lo, s17
	s_and_saveexec_b32 s16, s13
	s_cbranch_execnz .LBB4_2676
	s_branch .LBB4_2677
.LBB4_2955:                             ;   in Loop: Header=BB4_2209 Depth=3
	s_mov_b32 s13, -1
	s_mov_b32 s29, exec_lo
                                        ; implicit-def: $sgpr16
	v_cmpx_eq_u16_e64 0x80, v182
; %bb.2956:                             ;   in Loop: Header=BB4_2209 Depth=3
	s_mov_b32 s16, 0x7f800001
	s_xor_b32 s13, exec_lo, -1
; %bb.2957:                             ;   in Loop: Header=BB4_2209 Depth=3
	s_or_b32 exec_lo, exec_lo, s29
	s_delay_alu instid0(SALU_CYCLE_1)
	s_and_b32 s13, s13, exec_lo
	s_or_saveexec_b32 s17, s17
	v_mov_b32_e32 v183, s16
	s_xor_b32 exec_lo, exec_lo, s17
	s_cbranch_execz .LBB4_2679
.LBB4_2958:                             ;   in Loop: Header=BB4_2209 Depth=3
	v_cmp_ne_u16_e64 vcc_lo, 0, v182
	v_mov_b32_e32 v183, 0
	s_and_not1_b32 s13, s13, exec_lo
	s_delay_alu instid0(VALU_DEP_2) | instskip(NEXT) | instid1(SALU_CYCLE_1)
	s_and_b32 s16, vcc_lo, exec_lo
	s_or_b32 s13, s13, s16
	s_or_b32 exec_lo, exec_lo, s17
	s_and_saveexec_b32 s16, s13
	s_cbranch_execnz .LBB4_2680
	s_branch .LBB4_2681
.LBB4_2959:                             ;   in Loop: Header=BB4_2209 Depth=3
	s_mov_b32 s13, -1
	s_mov_b32 s29, exec_lo
                                        ; implicit-def: $sgpr16
	v_cmpx_eq_u16_e32 0x80, v40
; %bb.2960:                             ;   in Loop: Header=BB4_2209 Depth=3
	s_mov_b32 s16, 0x7f800001
	s_xor_b32 s13, exec_lo, -1
; %bb.2961:                             ;   in Loop: Header=BB4_2209 Depth=3
	s_or_b32 exec_lo, exec_lo, s29
	s_delay_alu instid0(SALU_CYCLE_1)
	s_and_b32 s13, s13, exec_lo
                                        ; implicit-def: $vgpr40
	s_or_saveexec_b32 s17, s17
	v_mov_b32_e32 v182, s16
	s_xor_b32 exec_lo, exec_lo, s17
	s_cbranch_execz .LBB4_2691
.LBB4_2962:                             ;   in Loop: Header=BB4_2209 Depth=3
	v_cmp_ne_u16_e32 vcc_lo, 0, v40
	v_mov_b32_e32 v182, 0
	s_and_not1_b32 s13, s13, exec_lo
	s_and_b32 s16, vcc_lo, exec_lo
	s_delay_alu instid0(SALU_CYCLE_1)
	s_or_b32 s13, s13, s16
	s_or_b32 exec_lo, exec_lo, s17
	s_and_saveexec_b32 s16, s13
	s_cbranch_execnz .LBB4_2692
	s_branch .LBB4_2693
.LBB4_2963:                             ;   in Loop: Header=BB4_2209 Depth=3
	s_mov_b32 s13, -1
	s_mov_b32 s29, exec_lo
                                        ; implicit-def: $sgpr16
	v_cmpx_eq_u16_e32 0x80, v41
; %bb.2964:                             ;   in Loop: Header=BB4_2209 Depth=3
	s_mov_b32 s16, 0x7f800001
	s_xor_b32 s13, exec_lo, -1
; %bb.2965:                             ;   in Loop: Header=BB4_2209 Depth=3
	s_or_b32 exec_lo, exec_lo, s29
	s_delay_alu instid0(SALU_CYCLE_1)
	s_and_b32 s13, s13, exec_lo
                                        ; implicit-def: $vgpr41
	s_or_saveexec_b32 s17, s17
	v_mov_b32_e32 v40, s16
	s_xor_b32 exec_lo, exec_lo, s17
	s_cbranch_execz .LBB4_2695
.LBB4_2966:                             ;   in Loop: Header=BB4_2209 Depth=3
	v_cmp_ne_u16_e32 vcc_lo, 0, v41
	v_mov_b32_e32 v40, 0
	s_and_not1_b32 s13, s13, exec_lo
	s_and_b32 s16, vcc_lo, exec_lo
	s_delay_alu instid0(SALU_CYCLE_1)
	s_or_b32 s13, s13, s16
	s_or_b32 exec_lo, exec_lo, s17
	s_and_saveexec_b32 s16, s13
	s_cbranch_execnz .LBB4_2696
	s_branch .LBB4_2697
.LBB4_2967:                             ;   in Loop: Header=BB4_2209 Depth=3
	s_mov_b32 s13, -1
	s_mov_b32 s29, exec_lo
                                        ; implicit-def: $sgpr16
	v_cmpx_eq_u16_e32 0x80, v40
; %bb.2968:                             ;   in Loop: Header=BB4_2209 Depth=3
	s_mov_b32 s16, 0x7f800001
	s_xor_b32 s13, exec_lo, -1
; %bb.2969:                             ;   in Loop: Header=BB4_2209 Depth=3
	s_or_b32 exec_lo, exec_lo, s29
	s_delay_alu instid0(SALU_CYCLE_1)
	s_and_b32 s13, s13, exec_lo
	s_or_saveexec_b32 s17, s17
	v_mov_b32_e32 v183, s16
	s_xor_b32 exec_lo, exec_lo, s17
	s_cbranch_execz .LBB4_2707
.LBB4_2970:                             ;   in Loop: Header=BB4_2209 Depth=3
	v_cmp_ne_u16_e32 vcc_lo, 0, v40
	v_mov_b32_e32 v183, 0
	s_and_not1_b32 s13, s13, exec_lo
	s_and_b32 s16, vcc_lo, exec_lo
	s_delay_alu instid0(SALU_CYCLE_1)
	s_or_b32 s13, s13, s16
	s_or_b32 exec_lo, exec_lo, s17
	s_and_saveexec_b32 s16, s13
	s_cbranch_execnz .LBB4_2708
	s_branch .LBB4_2709
.LBB4_2971:                             ;   in Loop: Header=BB4_2209 Depth=3
	s_mov_b32 s13, -1
	s_mov_b32 s29, exec_lo
                                        ; implicit-def: $sgpr16
	v_cmpx_eq_u16_e32 0x80, v15
; %bb.2972:                             ;   in Loop: Header=BB4_2209 Depth=3
	s_mov_b32 s16, 0x7f800001
	s_xor_b32 s13, exec_lo, -1
; %bb.2973:                             ;   in Loop: Header=BB4_2209 Depth=3
	s_or_b32 exec_lo, exec_lo, s29
	s_delay_alu instid0(SALU_CYCLE_1)
	s_and_b32 s13, s13, exec_lo
	s_or_saveexec_b32 s17, s17
	v_mov_b32_e32 v40, s16
	s_xor_b32 exec_lo, exec_lo, s17
	s_cbranch_execz .LBB4_2711
.LBB4_2974:                             ;   in Loop: Header=BB4_2209 Depth=3
	v_cmp_ne_u16_e32 vcc_lo, 0, v15
	v_mov_b32_e32 v40, 0
	s_and_not1_b32 s13, s13, exec_lo
	s_and_b32 s16, vcc_lo, exec_lo
	s_delay_alu instid0(SALU_CYCLE_1)
	s_or_b32 s13, s13, s16
	s_or_b32 exec_lo, exec_lo, s17
	s_and_saveexec_b32 s16, s13
	s_cbranch_execnz .LBB4_2712
	s_branch .LBB4_2713
.LBB4_2975:                             ;   in Loop: Header=BB4_2119 Depth=2
	s_mov_b32 s13, -1
	s_branch .LBB4_3796
.LBB4_2976:                             ;   in Loop: Header=BB4_2119 Depth=2
	s_or_b32 exec_lo, exec_lo, s15
.LBB4_2977:                             ;   in Loop: Header=BB4_2119 Depth=2
	s_delay_alu instid0(SALU_CYCLE_1) | instskip(SKIP_3) | instid1(VALU_DEP_1)
	s_or_b32 exec_lo, exec_lo, s14
	v_dual_mov_b32 v16, 0 :: v_dual_lshlrev_b32 v69, 10, v149
	s_mov_b32 s13, 0
	s_mov_b32 s16, exec_lo
                                        ; implicit-def: $vgpr17
                                        ; implicit-def: $vgpr18
                                        ; implicit-def: $vgpr8
	v_cmpx_ne_u32_e64 v148, v69
	s_cbranch_execz .LBB4_3372
; %bb.2978:                             ;   in Loop: Header=BB4_2119 Depth=2
	v_lshlrev_b32_e32 v2, 5, v2
	v_sub_nc_u32_e32 v9, v148, v69
	s_mov_b32 s17, exec_lo
	s_delay_alu instid0(VALU_DEP_2) | instskip(NEXT) | instid1(VALU_DEP_2)
	v_sub_nc_u32_e32 v2, v100, v2
	v_ashrrev_i32_e32 v10, 31, v9
	s_delay_alu instid0(VALU_DEP_2) | instskip(NEXT) | instid1(VALU_DEP_2)
	v_ashrrev_i32_e32 v8, 31, v2
	v_lshrrev_b32_e32 v10, 23, v10
	s_delay_alu instid0(VALU_DEP_2) | instskip(NEXT) | instid1(VALU_DEP_2)
	v_lshrrev_b32_e32 v8, 27, v8
	v_add_nc_u32_e32 v10, v9, v10
	s_delay_alu instid0(VALU_DEP_2) | instskip(NEXT) | instid1(VALU_DEP_1)
	v_add_nc_u32_e32 v8, v2, v8
	v_and_b32_e32 v11, 0xffffffe0, v8
	s_delay_alu instid0(VALU_DEP_1) | instskip(NEXT) | instid1(VALU_DEP_4)
	v_sub_nc_u32_e32 v70, v2, v11
	v_and_b32_e32 v2, 0xfffffe00, v10
	v_ashrrev_i32_e32 v11, 5, v8
	v_ashrrev_i32_e32 v10, 9, v10
	s_delay_alu instid0(VALU_DEP_4) | instskip(NEXT) | instid1(VALU_DEP_4)
	v_lshlrev_b32_e32 v8, 4, v70
	v_sub_nc_u32_e32 v80, v9, v2
	s_delay_alu instid0(VALU_DEP_2) | instskip(NEXT) | instid1(VALU_DEP_2)
	v_lshl_add_u32 v8, v11, 9, v8
	v_cmp_lt_i32_e64 s13, 15, v80
	s_delay_alu instid0(VALU_DEP_2) | instskip(NEXT) | instid1(VALU_DEP_2)
	v_sub_nc_u32_e32 v82, v9, v8
	v_add_co_ci_u32_e64 v10, vcc_lo, 0, v10, s13
	s_delay_alu instid0(VALU_DEP_1) | instskip(NEXT) | instid1(VALU_DEP_3)
	v_sub_nc_u32_e32 v81, v10, v11
	v_cmpx_lt_i32_e32 15, v82
	s_cbranch_execz .LBB4_3369
; %bb.2979:                             ;   in Loop: Header=BB4_2119 Depth=2
	s_cbranch_execz .LBB4_2980
; %bb.6863:
	s_getpc_b64 s[46:47]
.Lpost_getpc205:
	s_add_u32 s46, s46, (.LBB4_6497-.Lpost_getpc205)&4294967295
	s_addc_u32 s47, s47, (.LBB4_6497-.Lpost_getpc205)>>32
	s_setpc_b64 s[46:47]
.LBB4_2980:                             ;   in Loop: Header=BB4_2119 Depth=2
	ds_load_b128 v[9:12], v0
	v_add_nc_u32_e32 v8, v8, v69
	s_mov_b32 s30, 0
	s_delay_alu instid0(VALU_DEP_1) | instskip(SKIP_2) | instid1(VALU_DEP_2)
	v_ashrrev_i32_e32 v13, 31, v8
	s_waitcnt lgkmcnt(0)
	v_add_co_u32 v16, vcc_lo, v9, v8
	v_add_co_ci_u32_e32 v17, vcc_lo, v10, v13, vcc_lo
	s_delay_alu instid0(VALU_DEP_1) | instskip(SKIP_2) | instid1(VALU_DEP_1)
	v_mov_b32_e32 v21, v17
	v_add_co_u32 v18, vcc_lo, v11, v8
	v_add_co_ci_u32_e32 v19, vcc_lo, v12, v13, vcc_lo
	v_dual_mov_b32 v20, v16 :: v_dual_mov_b32 v23, v19
	s_delay_alu instid0(VALU_DEP_3)
	v_mov_b32_e32 v22, v18
.LBB4_2981:                             ;   Parent Loop BB4_51 Depth=1
                                        ;     Parent Loop BB4_2119 Depth=2
                                        ; =>    This Loop Header: Depth=3
                                        ;         Child Loop BB4_3238 Depth 4
	global_load_b128 v[12:15], v[20:21], off slc dlc
	global_load_b128 v[8:11], v[22:23], off slc dlc
	s_mov_b32 s14, 0
	s_mov_b32 s29, exec_lo
                                        ; implicit-def: $sgpr15
	s_waitcnt vmcnt(1)
	v_and_b32_e32 v84, 0xff, v12
	s_delay_alu instid0(VALU_DEP_1)
	v_cmpx_lt_i16_e32 0x7f, v84
	s_xor_b32 s29, exec_lo, s29
	s_cbranch_execnz .LBB4_3240
; %bb.2982:                             ;   in Loop: Header=BB4_2981 Depth=3
	s_or_saveexec_b32 s29, s29
	v_mov_b32_e32 v83, s15
	s_xor_b32 exec_lo, exec_lo, s29
	s_cbranch_execnz .LBB4_3243
.LBB4_2983:                             ;   in Loop: Header=BB4_2981 Depth=3
	s_or_b32 exec_lo, exec_lo, s29
	s_and_saveexec_b32 s15, s14
	s_cbranch_execz .LBB4_2985
.LBB4_2984:                             ;   in Loop: Header=BB4_2981 Depth=3
	v_and_b32_e32 v83, 7, v12
	v_bfe_u32 v149, v12, 3, 4
	s_delay_alu instid0(VALU_DEP_2) | instskip(NEXT) | instid1(VALU_DEP_2)
	v_clz_i32_u32_e32 v84, v83
	v_cmp_eq_u32_e32 vcc_lo, 0, v149
	s_delay_alu instid0(VALU_DEP_2) | instskip(NEXT) | instid1(VALU_DEP_1)
	v_min_u32_e32 v84, 32, v84
	v_subrev_nc_u32_e32 v85, 28, v84
	v_sub_nc_u32_e32 v84, 29, v84
	s_delay_alu instid0(VALU_DEP_2) | instskip(NEXT) | instid1(VALU_DEP_1)
	v_lshlrev_b32_e32 v85, v85, v12
	v_dual_cndmask_b32 v84, v149, v84 :: v_dual_and_b32 v85, 7, v85
	v_lshlrev_b32_e32 v150, 24, v12
	s_delay_alu instid0(VALU_DEP_2) | instskip(NEXT) | instid1(VALU_DEP_3)
	v_lshl_add_u32 v84, v84, 23, 0x3b800000
	v_cndmask_b32_e32 v83, v83, v85, vcc_lo
	s_delay_alu instid0(VALU_DEP_3) | instskip(NEXT) | instid1(VALU_DEP_2)
	v_and_b32_e32 v85, 0x80000000, v150
	v_lshlrev_b32_e32 v83, 20, v83
	s_delay_alu instid0(VALU_DEP_1)
	v_or3_b32 v83, v85, v84, v83
.LBB4_2985:                             ;   in Loop: Header=BB4_2981 Depth=3
	s_or_b32 exec_lo, exec_lo, s15
	s_waitcnt vmcnt(0)
	v_and_b32_e32 v85, 0xff, v8
	s_mov_b32 s14, 0
	s_mov_b32 s29, exec_lo
                                        ; implicit-def: $sgpr15
	s_delay_alu instid0(VALU_DEP_1)
	v_cmpx_lt_i16_e32 0x7f, v85
	s_xor_b32 s29, exec_lo, s29
	s_cbranch_execnz .LBB4_3244
; %bb.2986:                             ;   in Loop: Header=BB4_2981 Depth=3
	s_or_saveexec_b32 s29, s29
	v_mov_b32_e32 v84, s15
	s_xor_b32 exec_lo, exec_lo, s29
	s_cbranch_execnz .LBB4_3247
.LBB4_2987:                             ;   in Loop: Header=BB4_2981 Depth=3
	s_or_b32 exec_lo, exec_lo, s29
	s_and_saveexec_b32 s15, s14
	s_cbranch_execz .LBB4_2989
.LBB4_2988:                             ;   in Loop: Header=BB4_2981 Depth=3
	v_bfe_u32 v150, v8, 3, 4
	s_delay_alu instid0(VALU_DEP_1) | instskip(SKIP_1) | instid1(VALU_DEP_1)
	v_cmp_eq_u32_e32 vcc_lo, 0, v150
	v_and_b32_e32 v84, 7, v8
	v_clz_i32_u32_e32 v85, v84
	s_delay_alu instid0(VALU_DEP_1) | instskip(NEXT) | instid1(VALU_DEP_1)
	v_min_u32_e32 v85, 32, v85
	v_subrev_nc_u32_e32 v149, 28, v85
	v_sub_nc_u32_e32 v85, 29, v85
	s_delay_alu instid0(VALU_DEP_2) | instskip(NEXT) | instid1(VALU_DEP_2)
	v_lshlrev_b32_e32 v149, v149, v8
	v_cndmask_b32_e32 v85, v150, v85, vcc_lo
	s_delay_alu instid0(VALU_DEP_2) | instskip(SKIP_1) | instid1(VALU_DEP_3)
	v_and_b32_e32 v149, 7, v149
	v_lshlrev_b32_e32 v151, 24, v8
	v_lshl_add_u32 v85, v85, 23, 0x3b800000
	s_delay_alu instid0(VALU_DEP_2) | instskip(NEXT) | instid1(VALU_DEP_1)
	v_dual_cndmask_b32 v84, v84, v149 :: v_dual_and_b32 v149, 0x80000000, v151
	v_lshlrev_b32_e32 v84, 20, v84
	s_delay_alu instid0(VALU_DEP_1)
	v_or3_b32 v84, v149, v85, v84
.LBB4_2989:                             ;   in Loop: Header=BB4_2981 Depth=3
	s_or_b32 exec_lo, exec_lo, s15
	s_delay_alu instid0(VALU_DEP_1) | instskip(NEXT) | instid1(VALU_DEP_1)
	v_add_f32_e32 v84, v83, v84
	v_and_b32_e32 v83, 0x7f800000, v84
	s_delay_alu instid0(VALU_DEP_1)
	v_cmp_ne_u32_e32 vcc_lo, 0x7f800000, v83
	v_mov_b32_e32 v83, 0x80
	s_and_saveexec_b32 s15, vcc_lo
	s_cbranch_execz .LBB4_2997
; %bb.2990:                             ;   in Loop: Header=BB4_2981 Depth=3
	v_mov_b32_e32 v83, 0
	s_mov_b32 s29, exec_lo
	v_cmpx_ne_u32_e32 0, v84
	s_cbranch_execz .LBB4_2996
; %bb.2991:                             ;   in Loop: Header=BB4_2981 Depth=3
	v_bfe_u32 v83, v84, 23, 8
	v_and_b32_e32 v85, 0x7fffff, v84
	s_delay_alu instid0(VALU_DEP_2) | instskip(SKIP_1) | instid1(VALU_DEP_3)
	v_sub_nc_u32_e32 v149, 0x78, v83
	v_cmp_gt_u32_e32 vcc_lo, 0x79, v83
	v_or_b32_e32 v150, 0x800000, v85
	s_delay_alu instid0(VALU_DEP_3) | instskip(SKIP_2) | instid1(VALU_DEP_3)
	v_cndmask_b32_e32 v149, 0, v149, vcc_lo
	v_cmp_eq_u32_e32 vcc_lo, 0, v83
	v_add_nc_u32_e32 v83, 0xffffff89, v83
	v_cndmask_b32_e64 v149, v149, 0x77, vcc_lo
	v_cndmask_b32_e32 v85, v150, v85, vcc_lo
	s_delay_alu instid0(VALU_DEP_3) | instskip(NEXT) | instid1(VALU_DEP_3)
	v_cndmask_b32_e64 v83, v83, 0xffffff8a, vcc_lo
	v_lshl_add_u32 v150, 0x100000, v149, -1
	s_delay_alu instid0(VALU_DEP_3) | instskip(SKIP_1) | instid1(VALU_DEP_4)
	v_lshrrev_b32_e32 v151, v149, v85
	v_lshlrev_b32_e64 v161, v149, 0x80000
	v_add_nc_u32_e32 v149, v149, v83
	s_delay_alu instid0(VALU_DEP_4) | instskip(NEXT) | instid1(VALU_DEP_4)
	v_and_b32_e32 v85, v150, v85
	v_bfe_u32 v160, v151, 20, 1
	s_delay_alu instid0(VALU_DEP_2) | instskip(NEXT) | instid1(VALU_DEP_2)
	v_cmp_eq_u32_e64 s14, v85, v161
	v_add_nc_u32_e32 v150, -1, v160
	s_delay_alu instid0(VALU_DEP_1) | instskip(SKIP_2) | instid1(VALU_DEP_2)
	v_cndmask_b32_e64 v85, 0, v150, s14
	v_lshrrev_b32_e32 v150, 23, v151
	s_mov_b32 s14, exec_lo
	v_add_nc_u32_e32 v85, v85, v151
	s_delay_alu instid0(VALU_DEP_2) | instskip(NEXT) | instid1(VALU_DEP_2)
	v_xor_b32_e32 v150, 1, v150
	v_and_b32_e32 v83, 0xfffff, v85
	s_delay_alu instid0(VALU_DEP_1) | instskip(NEXT) | instid1(VALU_DEP_3)
	v_add_nc_u32_e32 v85, v83, v151
                                        ; implicit-def: $vgpr83
	v_cmpx_ne_u32_e64 v149, v150
	s_xor_b32 s14, exec_lo, s14
; %bb.2992:                             ;   in Loop: Header=BB4_2981 Depth=3
	s_delay_alu instid0(VALU_DEP_2) | instskip(SKIP_2) | instid1(VALU_DEP_2)
	v_cmp_lt_u32_e32 vcc_lo, 0xffffff, v85
	v_sub_nc_u32_e32 v83, v149, v150
	v_cndmask_b32_e64 v149, 0, 1, vcc_lo
	v_add_co_ci_u32_e32 v83, vcc_lo, 0, v83, vcc_lo
	s_delay_alu instid0(VALU_DEP_2)
	v_lshrrev_b32_e32 v85, v149, v85
; %bb.2993:                             ;   in Loop: Header=BB4_2981 Depth=3
	s_and_not1_saveexec_b32 s14, s14
; %bb.2994:                             ;   in Loop: Header=BB4_2981 Depth=3
	s_delay_alu instid0(VALU_DEP_1)
	v_bfe_u32 v83, v85, 23, 1
; %bb.2995:                             ;   in Loop: Header=BB4_2981 Depth=3
	s_or_b32 exec_lo, exec_lo, s14
	v_lshrrev_b32_e32 v85, 20, v85
	s_delay_alu instid0(VALU_DEP_2) | instskip(SKIP_2) | instid1(VALU_DEP_2)
	v_cmp_gt_i32_e32 vcc_lo, 16, v83
	v_lshrrev_b32_e32 v84, 24, v84
	v_min_i32_e32 v149, 15, v83
	v_dual_cndmask_b32 v85, 7, v85 :: v_dual_and_b32 v84, 0x80, v84
	s_delay_alu instid0(VALU_DEP_2) | instskip(NEXT) | instid1(VALU_DEP_2)
	v_lshlrev_b32_e32 v149, 3, v149
	v_or_b32_e32 v83, v83, v85
	s_delay_alu instid0(VALU_DEP_1) | instskip(SKIP_1) | instid1(VALU_DEP_1)
	v_cmp_ne_u32_e32 vcc_lo, 0, v83
	v_and_b32_e32 v150, 7, v85
	v_or3_b32 v84, v149, v84, v150
	s_delay_alu instid0(VALU_DEP_1)
	v_cndmask_b32_e32 v83, 0, v84, vcc_lo
.LBB4_2996:                             ;   in Loop: Header=BB4_2981 Depth=3
	s_or_b32 exec_lo, exec_lo, s29
.LBB4_2997:                             ;   in Loop: Header=BB4_2981 Depth=3
	s_delay_alu instid0(SALU_CYCLE_1) | instskip(SKIP_3) | instid1(VALU_DEP_1)
	s_or_b32 exec_lo, exec_lo, s15
	v_lshrrev_b16 v85, 8, v12
	s_mov_b32 s14, 0
	s_mov_b32 s29, exec_lo
                                        ; implicit-def: $sgpr15
	v_cmpx_lt_i16_e32 0x7f, v85
	s_xor_b32 s29, exec_lo, s29
	s_cbranch_execnz .LBB4_3248
; %bb.2998:                             ;   in Loop: Header=BB4_2981 Depth=3
	s_or_saveexec_b32 s29, s29
	v_mov_b32_e32 v84, s15
	s_xor_b32 exec_lo, exec_lo, s29
	s_cbranch_execnz .LBB4_3251
.LBB4_2999:                             ;   in Loop: Header=BB4_2981 Depth=3
	s_or_b32 exec_lo, exec_lo, s29
	s_and_saveexec_b32 s15, s14
	s_cbranch_execz .LBB4_3001
.LBB4_3000:                             ;   in Loop: Header=BB4_2981 Depth=3
	v_and_b32_e32 v84, 0xffff, v85
	v_lshlrev_b32_e32 v85, 24, v85
	s_delay_alu instid0(VALU_DEP_2) | instskip(NEXT) | instid1(VALU_DEP_2)
	v_and_b32_e32 v149, 7, v84
	v_and_b32_e32 v85, 0x80000000, v85
	s_delay_alu instid0(VALU_DEP_2) | instskip(NEXT) | instid1(VALU_DEP_1)
	v_clz_i32_u32_e32 v150, v149
	v_min_u32_e32 v150, 32, v150
	s_delay_alu instid0(VALU_DEP_1) | instskip(SKIP_1) | instid1(VALU_DEP_2)
	v_subrev_nc_u32_e32 v151, 28, v150
	v_sub_nc_u32_e32 v150, 29, v150
	v_lshlrev_b32_e32 v151, v151, v84
	v_bfe_u32 v84, v84, 3, 4
	s_delay_alu instid0(VALU_DEP_2) | instskip(NEXT) | instid1(VALU_DEP_2)
	v_and_b32_e32 v151, 7, v151
	v_cmp_eq_u32_e32 vcc_lo, 0, v84
	s_delay_alu instid0(VALU_DEP_2) | instskip(NEXT) | instid1(VALU_DEP_1)
	v_dual_cndmask_b32 v84, v84, v150 :: v_dual_cndmask_b32 v149, v149, v151
	v_lshl_add_u32 v84, v84, 23, 0x3b800000
	s_delay_alu instid0(VALU_DEP_2) | instskip(NEXT) | instid1(VALU_DEP_1)
	v_lshlrev_b32_e32 v149, 20, v149
	v_or3_b32 v84, v85, v84, v149
.LBB4_3001:                             ;   in Loop: Header=BB4_2981 Depth=3
	s_or_b32 exec_lo, exec_lo, s15
	v_lshrrev_b16 v85, 8, v8
	s_mov_b32 s14, 0
	s_mov_b32 s29, exec_lo
                                        ; implicit-def: $sgpr15
	s_delay_alu instid0(VALU_DEP_1)
	v_cmpx_lt_i16_e32 0x7f, v85
	s_xor_b32 s29, exec_lo, s29
	s_cbranch_execnz .LBB4_3252
; %bb.3002:                             ;   in Loop: Header=BB4_2981 Depth=3
	s_or_saveexec_b32 s29, s29
	v_mov_b32_e32 v149, s15
	s_xor_b32 exec_lo, exec_lo, s29
	s_cbranch_execnz .LBB4_3255
.LBB4_3003:                             ;   in Loop: Header=BB4_2981 Depth=3
	s_or_b32 exec_lo, exec_lo, s29
	s_and_saveexec_b32 s15, s14
	s_cbranch_execz .LBB4_3005
.LBB4_3004:                             ;   in Loop: Header=BB4_2981 Depth=3
	v_and_b32_e32 v149, 0xffff, v85
	v_lshlrev_b32_e32 v85, 24, v85
	s_delay_alu instid0(VALU_DEP_2) | instskip(NEXT) | instid1(VALU_DEP_2)
	v_and_b32_e32 v150, 7, v149
	v_and_b32_e32 v85, 0x80000000, v85
	s_delay_alu instid0(VALU_DEP_2) | instskip(NEXT) | instid1(VALU_DEP_1)
	v_clz_i32_u32_e32 v151, v150
	v_min_u32_e32 v151, 32, v151
	s_delay_alu instid0(VALU_DEP_1) | instskip(SKIP_1) | instid1(VALU_DEP_2)
	v_subrev_nc_u32_e32 v160, 28, v151
	v_sub_nc_u32_e32 v151, 29, v151
	v_lshlrev_b32_e32 v160, v160, v149
	v_bfe_u32 v149, v149, 3, 4
	s_delay_alu instid0(VALU_DEP_2) | instskip(NEXT) | instid1(VALU_DEP_2)
	v_and_b32_e32 v160, 7, v160
	v_cmp_eq_u32_e32 vcc_lo, 0, v149
	s_delay_alu instid0(VALU_DEP_2) | instskip(NEXT) | instid1(VALU_DEP_1)
	v_dual_cndmask_b32 v149, v149, v151 :: v_dual_cndmask_b32 v150, v150, v160
	v_lshl_add_u32 v149, v149, 23, 0x3b800000
	s_delay_alu instid0(VALU_DEP_2) | instskip(NEXT) | instid1(VALU_DEP_1)
	v_lshlrev_b32_e32 v150, 20, v150
	v_or3_b32 v149, v85, v149, v150
.LBB4_3005:                             ;   in Loop: Header=BB4_2981 Depth=3
	s_or_b32 exec_lo, exec_lo, s15
	s_delay_alu instid0(VALU_DEP_1) | instskip(NEXT) | instid1(VALU_DEP_1)
	v_add_f32_e32 v85, v84, v149
	v_and_b32_e32 v84, 0x7f800000, v85
	s_delay_alu instid0(VALU_DEP_1)
	v_cmp_ne_u32_e32 vcc_lo, 0x7f800000, v84
	v_mov_b32_e32 v84, 0x80
	s_and_saveexec_b32 s15, vcc_lo
	s_cbranch_execz .LBB4_3013
; %bb.3006:                             ;   in Loop: Header=BB4_2981 Depth=3
	v_mov_b32_e32 v84, 0
	s_mov_b32 s29, exec_lo
	v_cmpx_ne_u32_e32 0, v85
	s_cbranch_execz .LBB4_3012
; %bb.3007:                             ;   in Loop: Header=BB4_2981 Depth=3
	v_bfe_u32 v84, v85, 23, 8
	s_delay_alu instid0(VALU_DEP_1) | instskip(SKIP_1) | instid1(VALU_DEP_2)
	v_sub_nc_u32_e32 v150, 0x78, v84
	v_cmp_gt_u32_e32 vcc_lo, 0x79, v84
	v_dual_cndmask_b32 v150, 0, v150 :: v_dual_and_b32 v149, 0x7fffff, v85
	s_delay_alu instid0(VALU_DEP_1) | instskip(SKIP_2) | instid1(VALU_DEP_4)
	v_or_b32_e32 v151, 0x800000, v149
	v_cmp_eq_u32_e32 vcc_lo, 0, v84
	v_add_nc_u32_e32 v84, 0xffffff89, v84
	v_cndmask_b32_e64 v150, v150, 0x77, vcc_lo
	s_delay_alu instid0(VALU_DEP_4) | instskip(NEXT) | instid1(VALU_DEP_3)
	v_cndmask_b32_e32 v149, v151, v149, vcc_lo
	v_cndmask_b32_e64 v84, v84, 0xffffff8a, vcc_lo
	s_delay_alu instid0(VALU_DEP_3) | instskip(NEXT) | instid1(VALU_DEP_3)
	v_lshl_add_u32 v151, 0x100000, v150, -1
	v_lshrrev_b32_e32 v160, v150, v149
	v_lshlrev_b32_e64 v162, v150, 0x80000
	s_delay_alu instid0(VALU_DEP_4) | instskip(NEXT) | instid1(VALU_DEP_4)
	v_add_nc_u32_e32 v150, v150, v84
	v_and_b32_e32 v149, v151, v149
	s_delay_alu instid0(VALU_DEP_4) | instskip(NEXT) | instid1(VALU_DEP_2)
	v_bfe_u32 v161, v160, 20, 1
	v_cmp_eq_u32_e64 s14, v149, v162
	s_delay_alu instid0(VALU_DEP_2) | instskip(NEXT) | instid1(VALU_DEP_1)
	v_add_nc_u32_e32 v151, -1, v161
	v_cndmask_b32_e64 v149, 0, v151, s14
	v_lshrrev_b32_e32 v151, 23, v160
	s_mov_b32 s14, exec_lo
	s_delay_alu instid0(VALU_DEP_2) | instskip(NEXT) | instid1(VALU_DEP_2)
	v_add_nc_u32_e32 v149, v149, v160
	v_xor_b32_e32 v151, 1, v151
	s_delay_alu instid0(VALU_DEP_2) | instskip(NEXT) | instid1(VALU_DEP_1)
	v_and_b32_e32 v84, 0xfffff, v149
	v_add_nc_u32_e32 v149, v84, v160
                                        ; implicit-def: $vgpr84
	s_delay_alu instid0(VALU_DEP_3)
	v_cmpx_ne_u32_e64 v150, v151
	s_xor_b32 s14, exec_lo, s14
; %bb.3008:                             ;   in Loop: Header=BB4_2981 Depth=3
	s_delay_alu instid0(VALU_DEP_2) | instskip(SKIP_2) | instid1(VALU_DEP_2)
	v_cmp_lt_u32_e32 vcc_lo, 0xffffff, v149
	v_sub_nc_u32_e32 v84, v150, v151
	v_cndmask_b32_e64 v150, 0, 1, vcc_lo
	v_add_co_ci_u32_e32 v84, vcc_lo, 0, v84, vcc_lo
	s_delay_alu instid0(VALU_DEP_2)
	v_lshrrev_b32_e32 v149, v150, v149
; %bb.3009:                             ;   in Loop: Header=BB4_2981 Depth=3
	s_and_not1_saveexec_b32 s14, s14
; %bb.3010:                             ;   in Loop: Header=BB4_2981 Depth=3
	s_delay_alu instid0(VALU_DEP_1)
	v_bfe_u32 v84, v149, 23, 1
; %bb.3011:                             ;   in Loop: Header=BB4_2981 Depth=3
	s_or_b32 exec_lo, exec_lo, s14
	v_lshrrev_b32_e32 v149, 20, v149
	s_delay_alu instid0(VALU_DEP_2) | instskip(SKIP_2) | instid1(VALU_DEP_4)
	v_cmp_gt_i32_e32 vcc_lo, 16, v84
	v_lshrrev_b32_e32 v85, 24, v85
	v_min_i32_e32 v150, 15, v84
	v_cndmask_b32_e32 v149, 7, v149, vcc_lo
	s_delay_alu instid0(VALU_DEP_3) | instskip(NEXT) | instid1(VALU_DEP_3)
	v_and_b32_e32 v85, 0x80, v85
	v_lshlrev_b32_e32 v150, 3, v150
	s_delay_alu instid0(VALU_DEP_3) | instskip(SKIP_1) | instid1(VALU_DEP_2)
	v_and_b32_e32 v151, 7, v149
	v_or_b32_e32 v84, v84, v149
	v_or3_b32 v85, v150, v85, v151
	s_delay_alu instid0(VALU_DEP_2) | instskip(NEXT) | instid1(VALU_DEP_2)
	v_cmp_ne_u32_e32 vcc_lo, 0, v84
	v_cndmask_b32_e32 v84, 0, v85, vcc_lo
.LBB4_3012:                             ;   in Loop: Header=BB4_2981 Depth=3
	s_or_b32 exec_lo, exec_lo, s29
.LBB4_3013:                             ;   in Loop: Header=BB4_2981 Depth=3
	s_delay_alu instid0(SALU_CYCLE_1) | instskip(SKIP_3) | instid1(VALU_DEP_1)
	s_or_b32 exec_lo, exec_lo, s15
	v_lshrrev_b32_e32 v149, 16, v12
	s_mov_b32 s14, 0
	s_mov_b32 s29, exec_lo
                                        ; implicit-def: $sgpr15
	v_and_b32_e32 v150, 0xff, v149
	s_delay_alu instid0(VALU_DEP_1)
	v_cmpx_lt_i16_e64 0x7f, v150
	s_xor_b32 s29, exec_lo, s29
	s_cbranch_execnz .LBB4_3256
; %bb.3014:                             ;   in Loop: Header=BB4_2981 Depth=3
	s_or_saveexec_b32 s29, s29
	v_mov_b32_e32 v85, s15
	s_xor_b32 exec_lo, exec_lo, s29
	s_cbranch_execnz .LBB4_3259
.LBB4_3015:                             ;   in Loop: Header=BB4_2981 Depth=3
	s_or_b32 exec_lo, exec_lo, s29
	s_and_saveexec_b32 s15, s14
	s_cbranch_execz .LBB4_3017
.LBB4_3016:                             ;   in Loop: Header=BB4_2981 Depth=3
	v_bfe_u32 v85, v12, 16, 3
	s_delay_alu instid0(VALU_DEP_1) | instskip(NEXT) | instid1(VALU_DEP_1)
	v_clz_i32_u32_e32 v150, v85
	v_min_u32_e32 v150, 32, v150
	s_delay_alu instid0(VALU_DEP_1) | instskip(SKIP_1) | instid1(VALU_DEP_2)
	v_subrev_nc_u32_e32 v151, 28, v150
	v_sub_nc_u32_e32 v150, 29, v150
	v_lshlrev_b32_e32 v149, v151, v149
	v_bfe_u32 v151, v12, 19, 4
	s_delay_alu instid0(VALU_DEP_1) | instskip(NEXT) | instid1(VALU_DEP_3)
	v_cmp_eq_u32_e32 vcc_lo, 0, v151
	v_dual_cndmask_b32 v150, v151, v150 :: v_dual_and_b32 v149, 7, v149
	s_delay_alu instid0(VALU_DEP_1) | instskip(NEXT) | instid1(VALU_DEP_2)
	v_dual_cndmask_b32 v85, v85, v149 :: v_dual_lshlrev_b32 v160, 8, v12
	v_lshl_add_u32 v150, v150, 23, 0x3b800000
	s_delay_alu instid0(VALU_DEP_2) | instskip(NEXT) | instid1(VALU_DEP_3)
	v_and_b32_e32 v149, 0x80000000, v160
	v_lshlrev_b32_e32 v85, 20, v85
	s_delay_alu instid0(VALU_DEP_1)
	v_or3_b32 v85, v149, v150, v85
.LBB4_3017:                             ;   in Loop: Header=BB4_2981 Depth=3
	s_or_b32 exec_lo, exec_lo, s15
	v_lshrrev_b32_e32 v149, 16, v8
	s_mov_b32 s14, 0
	s_mov_b32 s29, exec_lo
                                        ; implicit-def: $sgpr15
	s_delay_alu instid0(VALU_DEP_1) | instskip(NEXT) | instid1(VALU_DEP_1)
	v_and_b32_e32 v151, 0xff, v149
	v_cmpx_lt_i16_e64 0x7f, v151
	s_xor_b32 s29, exec_lo, s29
	s_cbranch_execnz .LBB4_3260
; %bb.3018:                             ;   in Loop: Header=BB4_2981 Depth=3
	s_or_saveexec_b32 s29, s29
	v_mov_b32_e32 v150, s15
	s_xor_b32 exec_lo, exec_lo, s29
	s_cbranch_execnz .LBB4_3263
.LBB4_3019:                             ;   in Loop: Header=BB4_2981 Depth=3
	s_or_b32 exec_lo, exec_lo, s29
	s_and_saveexec_b32 s15, s14
	s_cbranch_execz .LBB4_3021
.LBB4_3020:                             ;   in Loop: Header=BB4_2981 Depth=3
	v_bfe_u32 v150, v8, 16, 3
	v_lshlrev_b32_e32 v161, 8, v8
	s_delay_alu instid0(VALU_DEP_2) | instskip(NEXT) | instid1(VALU_DEP_1)
	v_clz_i32_u32_e32 v151, v150
	v_min_u32_e32 v151, 32, v151
	s_delay_alu instid0(VALU_DEP_1) | instskip(SKIP_1) | instid1(VALU_DEP_2)
	v_subrev_nc_u32_e32 v160, 28, v151
	v_sub_nc_u32_e32 v151, 29, v151
	v_lshlrev_b32_e32 v149, v160, v149
	v_bfe_u32 v160, v8, 19, 4
	s_delay_alu instid0(VALU_DEP_2) | instskip(NEXT) | instid1(VALU_DEP_2)
	v_and_b32_e32 v149, 7, v149
	v_cmp_eq_u32_e32 vcc_lo, 0, v160
	v_cndmask_b32_e32 v151, v160, v151, vcc_lo
	s_delay_alu instid0(VALU_DEP_3) | instskip(SKIP_1) | instid1(VALU_DEP_3)
	v_cndmask_b32_e32 v149, v150, v149, vcc_lo
	v_and_b32_e32 v150, 0x80000000, v161
	v_lshl_add_u32 v151, v151, 23, 0x3b800000
	s_delay_alu instid0(VALU_DEP_3) | instskip(NEXT) | instid1(VALU_DEP_1)
	v_lshlrev_b32_e32 v149, 20, v149
	v_or3_b32 v150, v150, v151, v149
.LBB4_3021:                             ;   in Loop: Header=BB4_2981 Depth=3
	s_or_b32 exec_lo, exec_lo, s15
	s_delay_alu instid0(VALU_DEP_1) | instskip(NEXT) | instid1(VALU_DEP_1)
	v_add_f32_e32 v149, v85, v150
	v_and_b32_e32 v85, 0x7f800000, v149
	s_delay_alu instid0(VALU_DEP_1)
	v_cmp_ne_u32_e32 vcc_lo, 0x7f800000, v85
	v_mov_b32_e32 v85, 0x80
	s_and_saveexec_b32 s15, vcc_lo
	s_cbranch_execz .LBB4_3029
; %bb.3022:                             ;   in Loop: Header=BB4_2981 Depth=3
	v_mov_b32_e32 v85, 0
	s_mov_b32 s29, exec_lo
	v_cmpx_ne_u32_e32 0, v149
	s_cbranch_execz .LBB4_3028
; %bb.3023:                             ;   in Loop: Header=BB4_2981 Depth=3
	v_bfe_u32 v85, v149, 23, 8
	s_delay_alu instid0(VALU_DEP_1) | instskip(SKIP_1) | instid1(VALU_DEP_2)
	v_sub_nc_u32_e32 v151, 0x78, v85
	v_cmp_gt_u32_e32 vcc_lo, 0x79, v85
	v_dual_cndmask_b32 v151, 0, v151 :: v_dual_and_b32 v150, 0x7fffff, v149
	s_delay_alu instid0(VALU_DEP_1) | instskip(SKIP_2) | instid1(VALU_DEP_4)
	v_or_b32_e32 v160, 0x800000, v150
	v_cmp_eq_u32_e32 vcc_lo, 0, v85
	v_add_nc_u32_e32 v85, 0xffffff89, v85
	v_cndmask_b32_e64 v151, v151, 0x77, vcc_lo
	s_delay_alu instid0(VALU_DEP_4) | instskip(NEXT) | instid1(VALU_DEP_3)
	v_cndmask_b32_e32 v150, v160, v150, vcc_lo
	v_cndmask_b32_e64 v85, v85, 0xffffff8a, vcc_lo
	s_delay_alu instid0(VALU_DEP_3) | instskip(NEXT) | instid1(VALU_DEP_3)
	v_lshl_add_u32 v160, 0x100000, v151, -1
	v_lshrrev_b32_e32 v161, v151, v150
	v_lshlrev_b32_e64 v163, v151, 0x80000
	s_delay_alu instid0(VALU_DEP_4) | instskip(NEXT) | instid1(VALU_DEP_4)
	v_add_nc_u32_e32 v151, v151, v85
	v_and_b32_e32 v150, v160, v150
	s_delay_alu instid0(VALU_DEP_4) | instskip(NEXT) | instid1(VALU_DEP_2)
	v_bfe_u32 v162, v161, 20, 1
	v_cmp_eq_u32_e64 s14, v150, v163
	s_delay_alu instid0(VALU_DEP_2) | instskip(NEXT) | instid1(VALU_DEP_1)
	v_add_nc_u32_e32 v160, -1, v162
	v_cndmask_b32_e64 v150, 0, v160, s14
	v_lshrrev_b32_e32 v160, 23, v161
	s_mov_b32 s14, exec_lo
	s_delay_alu instid0(VALU_DEP_2) | instskip(NEXT) | instid1(VALU_DEP_2)
	v_add_nc_u32_e32 v150, v150, v161
	v_xor_b32_e32 v160, 1, v160
	s_delay_alu instid0(VALU_DEP_2) | instskip(NEXT) | instid1(VALU_DEP_1)
	v_and_b32_e32 v85, 0xfffff, v150
	v_add_nc_u32_e32 v150, v85, v161
                                        ; implicit-def: $vgpr85
	s_delay_alu instid0(VALU_DEP_3)
	v_cmpx_ne_u32_e64 v151, v160
	s_xor_b32 s14, exec_lo, s14
; %bb.3024:                             ;   in Loop: Header=BB4_2981 Depth=3
	s_delay_alu instid0(VALU_DEP_2) | instskip(SKIP_2) | instid1(VALU_DEP_2)
	v_cmp_lt_u32_e32 vcc_lo, 0xffffff, v150
	v_sub_nc_u32_e32 v85, v151, v160
	v_cndmask_b32_e64 v151, 0, 1, vcc_lo
	v_add_co_ci_u32_e32 v85, vcc_lo, 0, v85, vcc_lo
	s_delay_alu instid0(VALU_DEP_2)
	v_lshrrev_b32_e32 v150, v151, v150
; %bb.3025:                             ;   in Loop: Header=BB4_2981 Depth=3
	s_and_not1_saveexec_b32 s14, s14
; %bb.3026:                             ;   in Loop: Header=BB4_2981 Depth=3
	s_delay_alu instid0(VALU_DEP_1)
	v_bfe_u32 v85, v150, 23, 1
; %bb.3027:                             ;   in Loop: Header=BB4_2981 Depth=3
	s_or_b32 exec_lo, exec_lo, s14
	v_lshrrev_b32_e32 v150, 20, v150
	s_delay_alu instid0(VALU_DEP_2) | instskip(SKIP_2) | instid1(VALU_DEP_2)
	v_cmp_gt_i32_e32 vcc_lo, 16, v85
	v_lshrrev_b32_e32 v149, 24, v149
	v_min_i32_e32 v151, 15, v85
	v_dual_cndmask_b32 v150, 7, v150 :: v_dual_and_b32 v149, 0x80, v149
	s_delay_alu instid0(VALU_DEP_2) | instskip(NEXT) | instid1(VALU_DEP_2)
	v_lshlrev_b32_e32 v151, 3, v151
	v_or_b32_e32 v85, v85, v150
	s_delay_alu instid0(VALU_DEP_1) | instskip(SKIP_1) | instid1(VALU_DEP_1)
	v_cmp_ne_u32_e32 vcc_lo, 0, v85
	v_and_b32_e32 v160, 7, v150
	v_or3_b32 v149, v151, v149, v160
	s_delay_alu instid0(VALU_DEP_1)
	v_cndmask_b32_e32 v85, 0, v149, vcc_lo
.LBB4_3028:                             ;   in Loop: Header=BB4_2981 Depth=3
	s_or_b32 exec_lo, exec_lo, s29
.LBB4_3029:                             ;   in Loop: Header=BB4_2981 Depth=3
	s_delay_alu instid0(SALU_CYCLE_1) | instskip(SKIP_3) | instid1(VALU_DEP_1)
	s_or_b32 exec_lo, exec_lo, s15
	v_lshrrev_b32_e32 v150, 24, v12
	s_mov_b32 s14, 0
	s_mov_b32 s29, exec_lo
                                        ; implicit-def: $sgpr15
	v_cmpx_lt_i16_e64 0x7f, v150
	s_xor_b32 s29, exec_lo, s29
	s_cbranch_execnz .LBB4_3264
; %bb.3030:                             ;   in Loop: Header=BB4_2981 Depth=3
	s_or_saveexec_b32 s29, s29
	v_mov_b32_e32 v149, s15
	s_xor_b32 exec_lo, exec_lo, s29
	s_cbranch_execnz .LBB4_3267
.LBB4_3031:                             ;   in Loop: Header=BB4_2981 Depth=3
	s_or_b32 exec_lo, exec_lo, s29
	s_and_saveexec_b32 s15, s14
	s_cbranch_execz .LBB4_3033
.LBB4_3032:                             ;   in Loop: Header=BB4_2981 Depth=3
	v_bfe_u32 v149, v12, 24, 3
	s_delay_alu instid0(VALU_DEP_1) | instskip(NEXT) | instid1(VALU_DEP_1)
	v_clz_i32_u32_e32 v151, v149
	v_min_u32_e32 v151, 32, v151
	s_delay_alu instid0(VALU_DEP_1) | instskip(SKIP_1) | instid1(VALU_DEP_2)
	v_subrev_nc_u32_e32 v160, 28, v151
	v_sub_nc_u32_e32 v151, 29, v151
	v_lshlrev_b32_e32 v150, v160, v150
	v_bfe_u32 v160, v12, 27, 4
	v_and_b32_e32 v12, 0x80000000, v12
	s_delay_alu instid0(VALU_DEP_2) | instskip(NEXT) | instid1(VALU_DEP_4)
	v_cmp_eq_u32_e32 vcc_lo, 0, v160
	v_dual_cndmask_b32 v151, v160, v151 :: v_dual_and_b32 v150, 7, v150
	s_delay_alu instid0(VALU_DEP_1) | instskip(NEXT) | instid1(VALU_DEP_2)
	v_cndmask_b32_e32 v149, v149, v150, vcc_lo
	v_lshl_add_u32 v150, v151, 23, 0x3b800000
	s_delay_alu instid0(VALU_DEP_2) | instskip(NEXT) | instid1(VALU_DEP_1)
	v_lshlrev_b32_e32 v149, 20, v149
	v_or3_b32 v149, v12, v150, v149
.LBB4_3033:                             ;   in Loop: Header=BB4_2981 Depth=3
	s_or_b32 exec_lo, exec_lo, s15
	v_lshrrev_b32_e32 v12, 24, v8
	s_mov_b32 s14, 0
	s_mov_b32 s29, exec_lo
                                        ; implicit-def: $sgpr15
	s_delay_alu instid0(VALU_DEP_1)
	v_cmpx_lt_i16_e32 0x7f, v12
	s_xor_b32 s29, exec_lo, s29
	s_cbranch_execnz .LBB4_3268
; %bb.3034:                             ;   in Loop: Header=BB4_2981 Depth=3
	s_or_saveexec_b32 s29, s29
	v_mov_b32_e32 v150, s15
	s_xor_b32 exec_lo, exec_lo, s29
	s_cbranch_execnz .LBB4_3271
.LBB4_3035:                             ;   in Loop: Header=BB4_2981 Depth=3
	s_or_b32 exec_lo, exec_lo, s29
	s_and_saveexec_b32 s15, s14
	s_cbranch_execz .LBB4_3037
.LBB4_3036:                             ;   in Loop: Header=BB4_2981 Depth=3
	v_bfe_u32 v150, v8, 24, 3
	s_delay_alu instid0(VALU_DEP_1) | instskip(NEXT) | instid1(VALU_DEP_1)
	v_clz_i32_u32_e32 v151, v150
	v_min_u32_e32 v151, 32, v151
	s_delay_alu instid0(VALU_DEP_1) | instskip(SKIP_1) | instid1(VALU_DEP_2)
	v_subrev_nc_u32_e32 v160, 28, v151
	v_sub_nc_u32_e32 v151, 29, v151
	v_lshlrev_b32_e32 v12, v160, v12
	v_bfe_u32 v160, v8, 27, 4
	v_and_b32_e32 v8, 0x80000000, v8
	s_delay_alu instid0(VALU_DEP_2) | instskip(NEXT) | instid1(VALU_DEP_4)
	v_cmp_eq_u32_e32 vcc_lo, 0, v160
	v_dual_cndmask_b32 v151, v160, v151 :: v_dual_and_b32 v12, 7, v12
	s_delay_alu instid0(VALU_DEP_1) | instskip(NEXT) | instid1(VALU_DEP_2)
	v_cndmask_b32_e32 v12, v150, v12, vcc_lo
	v_lshl_add_u32 v150, v151, 23, 0x3b800000
	s_delay_alu instid0(VALU_DEP_2) | instskip(NEXT) | instid1(VALU_DEP_1)
	v_lshlrev_b32_e32 v12, 20, v12
	v_or3_b32 v150, v8, v150, v12
.LBB4_3037:                             ;   in Loop: Header=BB4_2981 Depth=3
	s_or_b32 exec_lo, exec_lo, s15
	s_delay_alu instid0(VALU_DEP_1) | instskip(NEXT) | instid1(VALU_DEP_1)
	v_add_f32_e32 v12, v149, v150
	v_and_b32_e32 v8, 0x7f800000, v12
	s_delay_alu instid0(VALU_DEP_1)
	v_cmp_ne_u32_e32 vcc_lo, 0x7f800000, v8
	v_mov_b32_e32 v8, 0x80
	s_and_saveexec_b32 s15, vcc_lo
	s_cbranch_execz .LBB4_3045
; %bb.3038:                             ;   in Loop: Header=BB4_2981 Depth=3
	v_mov_b32_e32 v8, 0
	s_mov_b32 s29, exec_lo
	v_cmpx_ne_u32_e32 0, v12
	s_cbranch_execz .LBB4_3044
; %bb.3039:                             ;   in Loop: Header=BB4_2981 Depth=3
	v_bfe_u32 v8, v12, 23, 8
	s_delay_alu instid0(VALU_DEP_1) | instskip(SKIP_1) | instid1(VALU_DEP_2)
	v_sub_nc_u32_e32 v150, 0x78, v8
	v_cmp_gt_u32_e32 vcc_lo, 0x79, v8
	v_dual_cndmask_b32 v150, 0, v150 :: v_dual_and_b32 v149, 0x7fffff, v12
	s_delay_alu instid0(VALU_DEP_1) | instskip(SKIP_2) | instid1(VALU_DEP_4)
	v_or_b32_e32 v151, 0x800000, v149
	v_cmp_eq_u32_e32 vcc_lo, 0, v8
	v_add_nc_u32_e32 v8, 0xffffff89, v8
	v_cndmask_b32_e64 v150, v150, 0x77, vcc_lo
	s_delay_alu instid0(VALU_DEP_4) | instskip(NEXT) | instid1(VALU_DEP_3)
	v_cndmask_b32_e32 v149, v151, v149, vcc_lo
	v_cndmask_b32_e64 v8, v8, 0xffffff8a, vcc_lo
	s_delay_alu instid0(VALU_DEP_3) | instskip(NEXT) | instid1(VALU_DEP_3)
	v_lshl_add_u32 v151, 0x100000, v150, -1
	v_lshrrev_b32_e32 v160, v150, v149
	v_lshlrev_b32_e64 v162, v150, 0x80000
	s_delay_alu instid0(VALU_DEP_4) | instskip(NEXT) | instid1(VALU_DEP_4)
	v_add_nc_u32_e32 v150, v150, v8
	v_and_b32_e32 v149, v151, v149
	s_delay_alu instid0(VALU_DEP_4) | instskip(NEXT) | instid1(VALU_DEP_2)
	v_bfe_u32 v161, v160, 20, 1
	v_cmp_eq_u32_e64 s14, v149, v162
	s_delay_alu instid0(VALU_DEP_2) | instskip(NEXT) | instid1(VALU_DEP_1)
	v_add_nc_u32_e32 v151, -1, v161
	v_cndmask_b32_e64 v149, 0, v151, s14
	v_lshrrev_b32_e32 v151, 23, v160
	s_mov_b32 s14, exec_lo
	s_delay_alu instid0(VALU_DEP_2) | instskip(NEXT) | instid1(VALU_DEP_2)
	v_add_nc_u32_e32 v149, v149, v160
	v_xor_b32_e32 v151, 1, v151
	s_delay_alu instid0(VALU_DEP_2) | instskip(NEXT) | instid1(VALU_DEP_1)
	v_and_b32_e32 v8, 0xfffff, v149
	v_add_nc_u32_e32 v149, v8, v160
                                        ; implicit-def: $vgpr8
	s_delay_alu instid0(VALU_DEP_3)
	v_cmpx_ne_u32_e64 v150, v151
	s_xor_b32 s14, exec_lo, s14
; %bb.3040:                             ;   in Loop: Header=BB4_2981 Depth=3
	s_delay_alu instid0(VALU_DEP_2) | instskip(SKIP_2) | instid1(VALU_DEP_2)
	v_cmp_lt_u32_e32 vcc_lo, 0xffffff, v149
	v_sub_nc_u32_e32 v8, v150, v151
	v_cndmask_b32_e64 v150, 0, 1, vcc_lo
	v_add_co_ci_u32_e32 v8, vcc_lo, 0, v8, vcc_lo
	s_delay_alu instid0(VALU_DEP_2)
	v_lshrrev_b32_e32 v149, v150, v149
; %bb.3041:                             ;   in Loop: Header=BB4_2981 Depth=3
	s_and_not1_saveexec_b32 s14, s14
; %bb.3042:                             ;   in Loop: Header=BB4_2981 Depth=3
	s_delay_alu instid0(VALU_DEP_1)
	v_bfe_u32 v8, v149, 23, 1
; %bb.3043:                             ;   in Loop: Header=BB4_2981 Depth=3
	s_or_b32 exec_lo, exec_lo, s14
	v_lshrrev_b32_e32 v149, 20, v149
	s_delay_alu instid0(VALU_DEP_2) | instskip(SKIP_2) | instid1(VALU_DEP_2)
	v_cmp_gt_i32_e32 vcc_lo, 16, v8
	v_lshrrev_b32_e32 v12, 24, v12
	v_min_i32_e32 v150, 15, v8
	v_dual_cndmask_b32 v149, 7, v149 :: v_dual_and_b32 v12, 0x80, v12
	s_delay_alu instid0(VALU_DEP_2) | instskip(NEXT) | instid1(VALU_DEP_2)
	v_lshlrev_b32_e32 v150, 3, v150
	v_or_b32_e32 v8, v8, v149
	s_delay_alu instid0(VALU_DEP_1) | instskip(SKIP_1) | instid1(VALU_DEP_1)
	v_cmp_ne_u32_e32 vcc_lo, 0, v8
	v_and_b32_e32 v151, 7, v149
	v_or3_b32 v12, v150, v12, v151
	s_delay_alu instid0(VALU_DEP_1)
	v_cndmask_b32_e32 v8, 0, v12, vcc_lo
.LBB4_3044:                             ;   in Loop: Header=BB4_2981 Depth=3
	s_or_b32 exec_lo, exec_lo, s29
.LBB4_3045:                             ;   in Loop: Header=BB4_2981 Depth=3
	s_delay_alu instid0(SALU_CYCLE_1) | instskip(SKIP_3) | instid1(VALU_DEP_1)
	s_or_b32 exec_lo, exec_lo, s15
	v_and_b32_e32 v149, 0xff, v13
	s_mov_b32 s14, 0
	s_mov_b32 s29, exec_lo
                                        ; implicit-def: $sgpr15
	v_cmpx_lt_i16_e64 0x7f, v149
	s_xor_b32 s29, exec_lo, s29
	s_cbranch_execnz .LBB4_3272
; %bb.3046:                             ;   in Loop: Header=BB4_2981 Depth=3
	s_or_saveexec_b32 s29, s29
	v_mov_b32_e32 v12, s15
	s_xor_b32 exec_lo, exec_lo, s29
	s_cbranch_execnz .LBB4_3275
.LBB4_3047:                             ;   in Loop: Header=BB4_2981 Depth=3
	s_or_b32 exec_lo, exec_lo, s29
	s_and_saveexec_b32 s15, s14
	s_cbranch_execz .LBB4_3049
.LBB4_3048:                             ;   in Loop: Header=BB4_2981 Depth=3
	v_and_b32_e32 v12, 7, v13
	v_bfe_u32 v151, v13, 3, 4
	v_lshlrev_b32_e32 v160, 24, v13
	s_delay_alu instid0(VALU_DEP_3) | instskip(NEXT) | instid1(VALU_DEP_3)
	v_clz_i32_u32_e32 v149, v12
	v_cmp_eq_u32_e32 vcc_lo, 0, v151
	s_delay_alu instid0(VALU_DEP_2) | instskip(NEXT) | instid1(VALU_DEP_1)
	v_min_u32_e32 v149, 32, v149
	v_subrev_nc_u32_e32 v150, 28, v149
	v_sub_nc_u32_e32 v149, 29, v149
	s_delay_alu instid0(VALU_DEP_2) | instskip(NEXT) | instid1(VALU_DEP_1)
	v_lshlrev_b32_e32 v150, v150, v13
	v_dual_cndmask_b32 v149, v151, v149 :: v_dual_and_b32 v150, 7, v150
	s_delay_alu instid0(VALU_DEP_1) | instskip(NEXT) | instid1(VALU_DEP_2)
	v_lshl_add_u32 v149, v149, 23, 0x3b800000
	v_cndmask_b32_e32 v12, v12, v150, vcc_lo
	v_and_b32_e32 v150, 0x80000000, v160
	s_delay_alu instid0(VALU_DEP_2) | instskip(NEXT) | instid1(VALU_DEP_1)
	v_lshlrev_b32_e32 v12, 20, v12
	v_or3_b32 v12, v150, v149, v12
.LBB4_3049:                             ;   in Loop: Header=BB4_2981 Depth=3
	s_or_b32 exec_lo, exec_lo, s15
	v_and_b32_e32 v150, 0xff, v9
	s_mov_b32 s14, 0
	s_mov_b32 s29, exec_lo
                                        ; implicit-def: $sgpr15
	s_delay_alu instid0(VALU_DEP_1)
	v_cmpx_lt_i16_e64 0x7f, v150
	s_xor_b32 s29, exec_lo, s29
	s_cbranch_execnz .LBB4_3276
; %bb.3050:                             ;   in Loop: Header=BB4_2981 Depth=3
	s_or_saveexec_b32 s29, s29
	v_mov_b32_e32 v149, s15
	s_xor_b32 exec_lo, exec_lo, s29
	s_cbranch_execnz .LBB4_3279
.LBB4_3051:                             ;   in Loop: Header=BB4_2981 Depth=3
	s_or_b32 exec_lo, exec_lo, s29
	s_and_saveexec_b32 s15, s14
	s_cbranch_execz .LBB4_3053
.LBB4_3052:                             ;   in Loop: Header=BB4_2981 Depth=3
	v_bfe_u32 v160, v9, 3, 4
	v_lshlrev_b32_e32 v161, 24, v9
	s_delay_alu instid0(VALU_DEP_2) | instskip(SKIP_1) | instid1(VALU_DEP_1)
	v_cmp_eq_u32_e32 vcc_lo, 0, v160
	v_and_b32_e32 v149, 7, v9
	v_clz_i32_u32_e32 v150, v149
	s_delay_alu instid0(VALU_DEP_1) | instskip(NEXT) | instid1(VALU_DEP_1)
	v_min_u32_e32 v150, 32, v150
	v_subrev_nc_u32_e32 v151, 28, v150
	v_sub_nc_u32_e32 v150, 29, v150
	s_delay_alu instid0(VALU_DEP_1) | instskip(NEXT) | instid1(VALU_DEP_1)
	v_dual_cndmask_b32 v150, v160, v150 :: v_dual_lshlrev_b32 v151, v151, v9
	v_and_b32_e32 v151, 7, v151
	s_delay_alu instid0(VALU_DEP_2) | instskip(NEXT) | instid1(VALU_DEP_2)
	v_lshl_add_u32 v150, v150, 23, 0x3b800000
	v_cndmask_b32_e32 v149, v149, v151, vcc_lo
	v_and_b32_e32 v151, 0x80000000, v161
	s_delay_alu instid0(VALU_DEP_2) | instskip(NEXT) | instid1(VALU_DEP_1)
	v_lshlrev_b32_e32 v149, 20, v149
	v_or3_b32 v149, v151, v150, v149
.LBB4_3053:                             ;   in Loop: Header=BB4_2981 Depth=3
	s_or_b32 exec_lo, exec_lo, s15
	s_delay_alu instid0(VALU_DEP_1) | instskip(NEXT) | instid1(VALU_DEP_1)
	v_add_f32_e32 v149, v12, v149
	v_and_b32_e32 v12, 0x7f800000, v149
	s_delay_alu instid0(VALU_DEP_1)
	v_cmp_ne_u32_e32 vcc_lo, 0x7f800000, v12
	v_mov_b32_e32 v12, 0x80
	s_and_saveexec_b32 s15, vcc_lo
	s_cbranch_execz .LBB4_3061
; %bb.3054:                             ;   in Loop: Header=BB4_2981 Depth=3
	v_mov_b32_e32 v12, 0
	s_mov_b32 s29, exec_lo
	v_cmpx_ne_u32_e32 0, v149
	s_cbranch_execz .LBB4_3060
; %bb.3055:                             ;   in Loop: Header=BB4_2981 Depth=3
	v_bfe_u32 v12, v149, 23, 8
	s_delay_alu instid0(VALU_DEP_1) | instskip(SKIP_1) | instid1(VALU_DEP_2)
	v_sub_nc_u32_e32 v151, 0x78, v12
	v_cmp_gt_u32_e32 vcc_lo, 0x79, v12
	v_dual_cndmask_b32 v151, 0, v151 :: v_dual_and_b32 v150, 0x7fffff, v149
	s_delay_alu instid0(VALU_DEP_1) | instskip(SKIP_2) | instid1(VALU_DEP_4)
	v_or_b32_e32 v160, 0x800000, v150
	v_cmp_eq_u32_e32 vcc_lo, 0, v12
	v_add_nc_u32_e32 v12, 0xffffff89, v12
	v_cndmask_b32_e64 v151, v151, 0x77, vcc_lo
	s_delay_alu instid0(VALU_DEP_2) | instskip(SKIP_1) | instid1(VALU_DEP_3)
	v_cndmask_b32_e64 v12, v12, 0xffffff8a, vcc_lo
	v_cndmask_b32_e32 v150, v160, v150, vcc_lo
	v_lshl_add_u32 v160, 0x100000, v151, -1
	v_lshlrev_b32_e64 v163, v151, 0x80000
	s_delay_alu instid0(VALU_DEP_3) | instskip(SKIP_1) | instid1(VALU_DEP_4)
	v_lshrrev_b32_e32 v161, v151, v150
	v_add_nc_u32_e32 v151, v151, v12
	v_and_b32_e32 v150, v160, v150
	s_delay_alu instid0(VALU_DEP_3) | instskip(NEXT) | instid1(VALU_DEP_2)
	v_bfe_u32 v162, v161, 20, 1
	v_cmp_eq_u32_e64 s14, v150, v163
	s_delay_alu instid0(VALU_DEP_2) | instskip(NEXT) | instid1(VALU_DEP_1)
	v_add_nc_u32_e32 v160, -1, v162
	v_cndmask_b32_e64 v150, 0, v160, s14
	v_lshrrev_b32_e32 v160, 23, v161
	s_mov_b32 s14, exec_lo
	s_delay_alu instid0(VALU_DEP_2) | instskip(NEXT) | instid1(VALU_DEP_2)
	v_add_nc_u32_e32 v150, v150, v161
	v_xor_b32_e32 v160, 1, v160
	s_delay_alu instid0(VALU_DEP_2) | instskip(NEXT) | instid1(VALU_DEP_1)
	v_and_b32_e32 v12, 0xfffff, v150
	v_add_nc_u32_e32 v150, v12, v161
                                        ; implicit-def: $vgpr12
	s_delay_alu instid0(VALU_DEP_3)
	v_cmpx_ne_u32_e64 v151, v160
	s_xor_b32 s14, exec_lo, s14
; %bb.3056:                             ;   in Loop: Header=BB4_2981 Depth=3
	s_delay_alu instid0(VALU_DEP_2) | instskip(SKIP_2) | instid1(VALU_DEP_2)
	v_cmp_lt_u32_e32 vcc_lo, 0xffffff, v150
	v_sub_nc_u32_e32 v12, v151, v160
	v_cndmask_b32_e64 v151, 0, 1, vcc_lo
	v_add_co_ci_u32_e32 v12, vcc_lo, 0, v12, vcc_lo
	s_delay_alu instid0(VALU_DEP_2)
	v_lshrrev_b32_e32 v150, v151, v150
; %bb.3057:                             ;   in Loop: Header=BB4_2981 Depth=3
	s_and_not1_saveexec_b32 s14, s14
; %bb.3058:                             ;   in Loop: Header=BB4_2981 Depth=3
	s_delay_alu instid0(VALU_DEP_1)
	v_bfe_u32 v12, v150, 23, 1
; %bb.3059:                             ;   in Loop: Header=BB4_2981 Depth=3
	s_or_b32 exec_lo, exec_lo, s14
	v_lshrrev_b32_e32 v150, 20, v150
	s_delay_alu instid0(VALU_DEP_2) | instskip(SKIP_2) | instid1(VALU_DEP_2)
	v_cmp_gt_i32_e32 vcc_lo, 16, v12
	v_lshrrev_b32_e32 v149, 24, v149
	v_min_i32_e32 v151, 15, v12
	v_dual_cndmask_b32 v150, 7, v150 :: v_dual_and_b32 v149, 0x80, v149
	s_delay_alu instid0(VALU_DEP_1) | instskip(SKIP_1) | instid1(VALU_DEP_2)
	v_or_b32_e32 v12, v12, v150
	v_and_b32_e32 v160, 7, v150
	v_cmp_ne_u32_e32 vcc_lo, 0, v12
	v_lshlrev_b32_e32 v151, 3, v151
	s_delay_alu instid0(VALU_DEP_1) | instskip(NEXT) | instid1(VALU_DEP_1)
	v_or3_b32 v149, v151, v149, v160
	v_cndmask_b32_e32 v12, 0, v149, vcc_lo
.LBB4_3060:                             ;   in Loop: Header=BB4_2981 Depth=3
	s_or_b32 exec_lo, exec_lo, s29
.LBB4_3061:                             ;   in Loop: Header=BB4_2981 Depth=3
	s_delay_alu instid0(SALU_CYCLE_1) | instskip(SKIP_3) | instid1(VALU_DEP_1)
	s_or_b32 exec_lo, exec_lo, s15
	v_lshrrev_b16 v150, 8, v13
	s_mov_b32 s14, 0
	s_mov_b32 s29, exec_lo
                                        ; implicit-def: $sgpr15
	v_cmpx_lt_i16_e64 0x7f, v150
	s_xor_b32 s29, exec_lo, s29
	s_cbranch_execnz .LBB4_3280
; %bb.3062:                             ;   in Loop: Header=BB4_2981 Depth=3
	s_or_saveexec_b32 s29, s29
	v_mov_b32_e32 v149, s15
	s_xor_b32 exec_lo, exec_lo, s29
	s_cbranch_execnz .LBB4_3283
.LBB4_3063:                             ;   in Loop: Header=BB4_2981 Depth=3
	s_or_b32 exec_lo, exec_lo, s29
	s_and_saveexec_b32 s15, s14
	s_cbranch_execz .LBB4_3065
.LBB4_3064:                             ;   in Loop: Header=BB4_2981 Depth=3
	v_and_b32_e32 v149, 0xffff, v150
	s_delay_alu instid0(VALU_DEP_1) | instskip(NEXT) | instid1(VALU_DEP_1)
	v_and_b32_e32 v151, 7, v149
	v_clz_i32_u32_e32 v160, v151
	s_delay_alu instid0(VALU_DEP_1) | instskip(NEXT) | instid1(VALU_DEP_1)
	v_min_u32_e32 v160, 32, v160
	v_subrev_nc_u32_e32 v161, 28, v160
	v_sub_nc_u32_e32 v160, 29, v160
	s_delay_alu instid0(VALU_DEP_2) | instskip(SKIP_1) | instid1(VALU_DEP_2)
	v_lshlrev_b32_e32 v161, v161, v149
	v_bfe_u32 v149, v149, 3, 4
	v_and_b32_e32 v161, 7, v161
	s_delay_alu instid0(VALU_DEP_2) | instskip(SKIP_1) | instid1(VALU_DEP_1)
	v_cmp_eq_u32_e32 vcc_lo, 0, v149
	v_dual_cndmask_b32 v149, v149, v160 :: v_dual_lshlrev_b32 v150, 24, v150
	v_dual_cndmask_b32 v151, v151, v161 :: v_dual_and_b32 v150, 0x80000000, v150
	s_delay_alu instid0(VALU_DEP_2) | instskip(NEXT) | instid1(VALU_DEP_2)
	v_lshl_add_u32 v149, v149, 23, 0x3b800000
	v_lshlrev_b32_e32 v151, 20, v151
	s_delay_alu instid0(VALU_DEP_1)
	v_or3_b32 v149, v150, v149, v151
.LBB4_3065:                             ;   in Loop: Header=BB4_2981 Depth=3
	s_or_b32 exec_lo, exec_lo, s15
	v_lshrrev_b16 v150, 8, v9
	s_mov_b32 s14, 0
	s_mov_b32 s29, exec_lo
                                        ; implicit-def: $sgpr15
	s_delay_alu instid0(VALU_DEP_1)
	v_cmpx_lt_i16_e64 0x7f, v150
	s_xor_b32 s29, exec_lo, s29
	s_cbranch_execnz .LBB4_3284
; %bb.3066:                             ;   in Loop: Header=BB4_2981 Depth=3
	s_or_saveexec_b32 s29, s29
	v_mov_b32_e32 v151, s15
	s_xor_b32 exec_lo, exec_lo, s29
	s_cbranch_execnz .LBB4_3287
.LBB4_3067:                             ;   in Loop: Header=BB4_2981 Depth=3
	s_or_b32 exec_lo, exec_lo, s29
	s_and_saveexec_b32 s15, s14
	s_cbranch_execz .LBB4_3069
.LBB4_3068:                             ;   in Loop: Header=BB4_2981 Depth=3
	v_and_b32_e32 v151, 0xffff, v150
	v_lshlrev_b32_e32 v150, 24, v150
	s_delay_alu instid0(VALU_DEP_2) | instskip(NEXT) | instid1(VALU_DEP_2)
	v_and_b32_e32 v160, 7, v151
	v_and_b32_e32 v150, 0x80000000, v150
	s_delay_alu instid0(VALU_DEP_2) | instskip(NEXT) | instid1(VALU_DEP_1)
	v_clz_i32_u32_e32 v161, v160
	v_min_u32_e32 v161, 32, v161
	s_delay_alu instid0(VALU_DEP_1) | instskip(SKIP_1) | instid1(VALU_DEP_2)
	v_subrev_nc_u32_e32 v162, 28, v161
	v_sub_nc_u32_e32 v161, 29, v161
	v_lshlrev_b32_e32 v162, v162, v151
	v_bfe_u32 v151, v151, 3, 4
	s_delay_alu instid0(VALU_DEP_2) | instskip(NEXT) | instid1(VALU_DEP_2)
	v_and_b32_e32 v162, 7, v162
	v_cmp_eq_u32_e32 vcc_lo, 0, v151
	s_delay_alu instid0(VALU_DEP_2) | instskip(NEXT) | instid1(VALU_DEP_1)
	v_dual_cndmask_b32 v151, v151, v161 :: v_dual_cndmask_b32 v160, v160, v162
	v_lshl_add_u32 v151, v151, 23, 0x3b800000
	s_delay_alu instid0(VALU_DEP_2) | instskip(NEXT) | instid1(VALU_DEP_1)
	v_lshlrev_b32_e32 v160, 20, v160
	v_or3_b32 v151, v150, v151, v160
.LBB4_3069:                             ;   in Loop: Header=BB4_2981 Depth=3
	s_or_b32 exec_lo, exec_lo, s15
	s_delay_alu instid0(VALU_DEP_1) | instskip(NEXT) | instid1(VALU_DEP_1)
	v_add_f32_e32 v150, v149, v151
	v_and_b32_e32 v149, 0x7f800000, v150
	s_delay_alu instid0(VALU_DEP_1)
	v_cmp_ne_u32_e32 vcc_lo, 0x7f800000, v149
	v_mov_b32_e32 v149, 0x8000
	s_and_saveexec_b32 s15, vcc_lo
	s_cbranch_execz .LBB4_3077
; %bb.3070:                             ;   in Loop: Header=BB4_2981 Depth=3
	v_mov_b32_e32 v149, 0
	s_mov_b32 s29, exec_lo
	v_cmpx_ne_u32_e32 0, v150
	s_cbranch_execz .LBB4_3076
; %bb.3071:                             ;   in Loop: Header=BB4_2981 Depth=3
	v_bfe_u32 v149, v150, 23, 8
	s_delay_alu instid0(VALU_DEP_1) | instskip(SKIP_1) | instid1(VALU_DEP_2)
	v_sub_nc_u32_e32 v160, 0x78, v149
	v_cmp_gt_u32_e32 vcc_lo, 0x79, v149
	v_dual_cndmask_b32 v160, 0, v160 :: v_dual_and_b32 v151, 0x7fffff, v150
	s_delay_alu instid0(VALU_DEP_1) | instskip(SKIP_2) | instid1(VALU_DEP_4)
	v_or_b32_e32 v161, 0x800000, v151
	v_cmp_eq_u32_e32 vcc_lo, 0, v149
	v_add_nc_u32_e32 v149, 0xffffff89, v149
	v_cndmask_b32_e64 v160, v160, 0x77, vcc_lo
	s_delay_alu instid0(VALU_DEP_2) | instskip(SKIP_1) | instid1(VALU_DEP_3)
	v_cndmask_b32_e64 v149, v149, 0xffffff8a, vcc_lo
	v_cndmask_b32_e32 v151, v161, v151, vcc_lo
	v_lshl_add_u32 v161, 0x100000, v160, -1
	v_lshlrev_b32_e64 v164, v160, 0x80000
	s_delay_alu instid0(VALU_DEP_3) | instskip(SKIP_1) | instid1(VALU_DEP_4)
	v_lshrrev_b32_e32 v162, v160, v151
	v_add_nc_u32_e32 v160, v160, v149
	v_and_b32_e32 v151, v161, v151
	s_delay_alu instid0(VALU_DEP_3) | instskip(NEXT) | instid1(VALU_DEP_2)
	v_bfe_u32 v163, v162, 20, 1
	v_cmp_eq_u32_e64 s14, v151, v164
	s_delay_alu instid0(VALU_DEP_2) | instskip(NEXT) | instid1(VALU_DEP_1)
	v_add_nc_u32_e32 v161, -1, v163
	v_cndmask_b32_e64 v151, 0, v161, s14
	v_lshrrev_b32_e32 v161, 23, v162
	s_mov_b32 s14, exec_lo
	s_delay_alu instid0(VALU_DEP_2) | instskip(NEXT) | instid1(VALU_DEP_2)
	v_add_nc_u32_e32 v151, v151, v162
	v_xor_b32_e32 v161, 1, v161
	s_delay_alu instid0(VALU_DEP_2) | instskip(NEXT) | instid1(VALU_DEP_1)
	v_and_b32_e32 v149, 0xfffff, v151
	v_add_nc_u32_e32 v151, v149, v162
                                        ; implicit-def: $vgpr149
	s_delay_alu instid0(VALU_DEP_3)
	v_cmpx_ne_u32_e64 v160, v161
	s_xor_b32 s14, exec_lo, s14
; %bb.3072:                             ;   in Loop: Header=BB4_2981 Depth=3
	s_delay_alu instid0(VALU_DEP_2) | instskip(SKIP_2) | instid1(VALU_DEP_2)
	v_cmp_lt_u32_e32 vcc_lo, 0xffffff, v151
	v_sub_nc_u32_e32 v149, v160, v161
	v_cndmask_b32_e64 v160, 0, 1, vcc_lo
	v_add_co_ci_u32_e32 v149, vcc_lo, 0, v149, vcc_lo
	s_delay_alu instid0(VALU_DEP_2)
	v_lshrrev_b32_e32 v151, v160, v151
; %bb.3073:                             ;   in Loop: Header=BB4_2981 Depth=3
	s_and_not1_saveexec_b32 s14, s14
; %bb.3074:                             ;   in Loop: Header=BB4_2981 Depth=3
	s_delay_alu instid0(VALU_DEP_1)
	v_bfe_u32 v149, v151, 23, 1
; %bb.3075:                             ;   in Loop: Header=BB4_2981 Depth=3
	s_or_b32 exec_lo, exec_lo, s14
	v_lshrrev_b32_e32 v151, 20, v151
	s_delay_alu instid0(VALU_DEP_2) | instskip(SKIP_2) | instid1(VALU_DEP_2)
	v_cmp_gt_i32_e32 vcc_lo, 16, v149
	v_min_i32_e32 v160, 15, v149
	v_lshrrev_b32_e32 v150, 24, v150
	v_dual_cndmask_b32 v151, 7, v151 :: v_dual_lshlrev_b32 v160, 3, v160
	s_delay_alu instid0(VALU_DEP_2) | instskip(NEXT) | instid1(VALU_DEP_2)
	v_and_b32_e32 v150, 0x80, v150
	v_or_b32_e32 v149, v149, v151
	v_and_b32_e32 v161, 7, v151
	s_delay_alu instid0(VALU_DEP_2) | instskip(SKIP_1) | instid1(VALU_DEP_1)
	v_cmp_ne_u32_e32 vcc_lo, 0, v149
	v_and_b32_e32 v160, 0xf8, v160
	v_or3_b32 v150, v150, v160, v161
	s_delay_alu instid0(VALU_DEP_1) | instskip(NEXT) | instid1(VALU_DEP_1)
	v_lshlrev_b32_e32 v150, 8, v150
	v_cndmask_b32_e32 v149, 0, v150, vcc_lo
.LBB4_3076:                             ;   in Loop: Header=BB4_2981 Depth=3
	s_or_b32 exec_lo, exec_lo, s29
.LBB4_3077:                             ;   in Loop: Header=BB4_2981 Depth=3
	s_delay_alu instid0(SALU_CYCLE_1) | instskip(SKIP_3) | instid1(VALU_DEP_1)
	s_or_b32 exec_lo, exec_lo, s15
	v_lshrrev_b32_e32 v151, 16, v13
	s_mov_b32 s14, 0
	s_mov_b32 s29, exec_lo
                                        ; implicit-def: $sgpr15
	v_and_b32_e32 v160, 0xff, v151
	s_delay_alu instid0(VALU_DEP_1)
	v_cmpx_lt_i16_e64 0x7f, v160
	s_xor_b32 s29, exec_lo, s29
	s_cbranch_execnz .LBB4_3288
; %bb.3078:                             ;   in Loop: Header=BB4_2981 Depth=3
	s_or_saveexec_b32 s29, s29
	v_mov_b32_e32 v150, s15
	s_xor_b32 exec_lo, exec_lo, s29
	s_cbranch_execnz .LBB4_3291
.LBB4_3079:                             ;   in Loop: Header=BB4_2981 Depth=3
	s_or_b32 exec_lo, exec_lo, s29
	s_and_saveexec_b32 s15, s14
	s_cbranch_execz .LBB4_3081
.LBB4_3080:                             ;   in Loop: Header=BB4_2981 Depth=3
	v_bfe_u32 v150, v13, 16, 3
	v_lshlrev_b32_e32 v162, 8, v13
	s_delay_alu instid0(VALU_DEP_2) | instskip(NEXT) | instid1(VALU_DEP_1)
	v_clz_i32_u32_e32 v160, v150
	v_min_u32_e32 v160, 32, v160
	s_delay_alu instid0(VALU_DEP_1) | instskip(SKIP_1) | instid1(VALU_DEP_2)
	v_subrev_nc_u32_e32 v161, 28, v160
	v_sub_nc_u32_e32 v160, 29, v160
	v_lshlrev_b32_e32 v151, v161, v151
	v_bfe_u32 v161, v13, 19, 4
	s_delay_alu instid0(VALU_DEP_1) | instskip(NEXT) | instid1(VALU_DEP_3)
	v_cmp_eq_u32_e32 vcc_lo, 0, v161
	v_dual_cndmask_b32 v160, v161, v160 :: v_dual_and_b32 v151, 7, v151
	s_delay_alu instid0(VALU_DEP_1) | instskip(NEXT) | instid1(VALU_DEP_2)
	v_dual_cndmask_b32 v150, v150, v151 :: v_dual_and_b32 v151, 0x80000000, v162
	v_lshl_add_u32 v160, v160, 23, 0x3b800000
	s_delay_alu instid0(VALU_DEP_2) | instskip(NEXT) | instid1(VALU_DEP_1)
	v_lshlrev_b32_e32 v150, 20, v150
	v_or3_b32 v150, v151, v160, v150
.LBB4_3081:                             ;   in Loop: Header=BB4_2981 Depth=3
	s_or_b32 exec_lo, exec_lo, s15
	v_lshrrev_b32_e32 v151, 16, v9
	s_mov_b32 s14, 0
	s_mov_b32 s29, exec_lo
                                        ; implicit-def: $sgpr15
	s_delay_alu instid0(VALU_DEP_1) | instskip(NEXT) | instid1(VALU_DEP_1)
	v_and_b32_e32 v161, 0xff, v151
	v_cmpx_lt_i16_e64 0x7f, v161
	s_xor_b32 s29, exec_lo, s29
	s_cbranch_execnz .LBB4_3292
; %bb.3082:                             ;   in Loop: Header=BB4_2981 Depth=3
	s_or_saveexec_b32 s29, s29
	v_mov_b32_e32 v160, s15
	s_xor_b32 exec_lo, exec_lo, s29
	s_cbranch_execnz .LBB4_3295
.LBB4_3083:                             ;   in Loop: Header=BB4_2981 Depth=3
	s_or_b32 exec_lo, exec_lo, s29
	s_and_saveexec_b32 s15, s14
	s_cbranch_execz .LBB4_3085
.LBB4_3084:                             ;   in Loop: Header=BB4_2981 Depth=3
	v_bfe_u32 v160, v9, 16, 3
	v_lshlrev_b32_e32 v163, 8, v9
	s_delay_alu instid0(VALU_DEP_2) | instskip(NEXT) | instid1(VALU_DEP_1)
	v_clz_i32_u32_e32 v161, v160
	v_min_u32_e32 v161, 32, v161
	s_delay_alu instid0(VALU_DEP_1) | instskip(SKIP_1) | instid1(VALU_DEP_2)
	v_subrev_nc_u32_e32 v162, 28, v161
	v_sub_nc_u32_e32 v161, 29, v161
	v_lshlrev_b32_e32 v151, v162, v151
	v_bfe_u32 v162, v9, 19, 4
	s_delay_alu instid0(VALU_DEP_2) | instskip(NEXT) | instid1(VALU_DEP_2)
	v_and_b32_e32 v151, 7, v151
	v_cmp_eq_u32_e32 vcc_lo, 0, v162
	v_cndmask_b32_e32 v161, v162, v161, vcc_lo
	s_delay_alu instid0(VALU_DEP_3) | instskip(SKIP_1) | instid1(VALU_DEP_3)
	v_cndmask_b32_e32 v151, v160, v151, vcc_lo
	v_and_b32_e32 v160, 0x80000000, v163
	v_lshl_add_u32 v161, v161, 23, 0x3b800000
	s_delay_alu instid0(VALU_DEP_3) | instskip(NEXT) | instid1(VALU_DEP_1)
	v_lshlrev_b32_e32 v151, 20, v151
	v_or3_b32 v160, v160, v161, v151
.LBB4_3085:                             ;   in Loop: Header=BB4_2981 Depth=3
	s_or_b32 exec_lo, exec_lo, s15
	s_delay_alu instid0(VALU_DEP_1) | instskip(NEXT) | instid1(VALU_DEP_1)
	v_add_f32_e32 v151, v150, v160
	v_and_b32_e32 v150, 0x7f800000, v151
	s_delay_alu instid0(VALU_DEP_1)
	v_cmp_ne_u32_e32 vcc_lo, 0x7f800000, v150
	v_mov_b32_e32 v150, 0x80
	s_and_saveexec_b32 s15, vcc_lo
	s_cbranch_execz .LBB4_3093
; %bb.3086:                             ;   in Loop: Header=BB4_2981 Depth=3
	v_mov_b32_e32 v150, 0
	s_mov_b32 s29, exec_lo
	v_cmpx_ne_u32_e32 0, v151
	s_cbranch_execz .LBB4_3092
; %bb.3087:                             ;   in Loop: Header=BB4_2981 Depth=3
	v_bfe_u32 v150, v151, 23, 8
	s_delay_alu instid0(VALU_DEP_1) | instskip(SKIP_1) | instid1(VALU_DEP_2)
	v_sub_nc_u32_e32 v161, 0x78, v150
	v_cmp_gt_u32_e32 vcc_lo, 0x79, v150
	v_dual_cndmask_b32 v161, 0, v161 :: v_dual_and_b32 v160, 0x7fffff, v151
	s_delay_alu instid0(VALU_DEP_1) | instskip(SKIP_2) | instid1(VALU_DEP_4)
	v_or_b32_e32 v162, 0x800000, v160
	v_cmp_eq_u32_e32 vcc_lo, 0, v150
	v_add_nc_u32_e32 v150, 0xffffff89, v150
	v_cndmask_b32_e64 v161, v161, 0x77, vcc_lo
	s_delay_alu instid0(VALU_DEP_2) | instskip(SKIP_1) | instid1(VALU_DEP_3)
	v_cndmask_b32_e64 v150, v150, 0xffffff8a, vcc_lo
	v_cndmask_b32_e32 v160, v162, v160, vcc_lo
	v_lshl_add_u32 v162, 0x100000, v161, -1
	v_lshlrev_b32_e64 v165, v161, 0x80000
	s_delay_alu instid0(VALU_DEP_3) | instskip(SKIP_1) | instid1(VALU_DEP_4)
	v_lshrrev_b32_e32 v163, v161, v160
	v_add_nc_u32_e32 v161, v161, v150
	v_and_b32_e32 v160, v162, v160
	s_delay_alu instid0(VALU_DEP_3) | instskip(NEXT) | instid1(VALU_DEP_2)
	v_bfe_u32 v164, v163, 20, 1
	v_cmp_eq_u32_e64 s14, v160, v165
	s_delay_alu instid0(VALU_DEP_2) | instskip(NEXT) | instid1(VALU_DEP_1)
	v_add_nc_u32_e32 v162, -1, v164
	v_cndmask_b32_e64 v160, 0, v162, s14
	v_lshrrev_b32_e32 v162, 23, v163
	s_mov_b32 s14, exec_lo
	s_delay_alu instid0(VALU_DEP_2) | instskip(NEXT) | instid1(VALU_DEP_2)
	v_add_nc_u32_e32 v160, v160, v163
	v_xor_b32_e32 v162, 1, v162
	s_delay_alu instid0(VALU_DEP_2) | instskip(NEXT) | instid1(VALU_DEP_1)
	v_and_b32_e32 v150, 0xfffff, v160
	v_add_nc_u32_e32 v160, v150, v163
                                        ; implicit-def: $vgpr150
	s_delay_alu instid0(VALU_DEP_3)
	v_cmpx_ne_u32_e64 v161, v162
	s_xor_b32 s14, exec_lo, s14
; %bb.3088:                             ;   in Loop: Header=BB4_2981 Depth=3
	s_delay_alu instid0(VALU_DEP_2) | instskip(SKIP_2) | instid1(VALU_DEP_2)
	v_cmp_lt_u32_e32 vcc_lo, 0xffffff, v160
	v_sub_nc_u32_e32 v150, v161, v162
	v_cndmask_b32_e64 v161, 0, 1, vcc_lo
	v_add_co_ci_u32_e32 v150, vcc_lo, 0, v150, vcc_lo
	s_delay_alu instid0(VALU_DEP_2)
	v_lshrrev_b32_e32 v160, v161, v160
; %bb.3089:                             ;   in Loop: Header=BB4_2981 Depth=3
	s_and_not1_saveexec_b32 s14, s14
; %bb.3090:                             ;   in Loop: Header=BB4_2981 Depth=3
	s_delay_alu instid0(VALU_DEP_1)
	v_bfe_u32 v150, v160, 23, 1
; %bb.3091:                             ;   in Loop: Header=BB4_2981 Depth=3
	s_or_b32 exec_lo, exec_lo, s14
	v_lshrrev_b32_e32 v160, 20, v160
	s_delay_alu instid0(VALU_DEP_2) | instskip(SKIP_2) | instid1(VALU_DEP_2)
	v_cmp_gt_i32_e32 vcc_lo, 16, v150
	v_min_i32_e32 v161, 15, v150
	v_lshrrev_b32_e32 v151, 24, v151
	v_dual_cndmask_b32 v160, 7, v160 :: v_dual_lshlrev_b32 v161, 3, v161
	s_delay_alu instid0(VALU_DEP_2) | instskip(NEXT) | instid1(VALU_DEP_2)
	v_and_b32_e32 v151, 0x80, v151
	v_or_b32_e32 v150, v150, v160
	v_and_b32_e32 v162, 7, v160
	s_delay_alu instid0(VALU_DEP_2) | instskip(SKIP_1) | instid1(VALU_DEP_1)
	v_cmp_ne_u32_e32 vcc_lo, 0, v150
	v_and_b32_e32 v161, 0xf8, v161
	v_or3_b32 v151, v161, v151, v162
	s_delay_alu instid0(VALU_DEP_1)
	v_cndmask_b32_e32 v150, 0, v151, vcc_lo
.LBB4_3092:                             ;   in Loop: Header=BB4_2981 Depth=3
	s_or_b32 exec_lo, exec_lo, s29
.LBB4_3093:                             ;   in Loop: Header=BB4_2981 Depth=3
	s_delay_alu instid0(SALU_CYCLE_1) | instskip(SKIP_3) | instid1(VALU_DEP_1)
	s_or_b32 exec_lo, exec_lo, s15
	v_lshrrev_b32_e32 v160, 24, v13
	s_mov_b32 s14, 0
	s_mov_b32 s29, exec_lo
                                        ; implicit-def: $sgpr15
	v_cmpx_lt_i16_e64 0x7f, v160
	s_xor_b32 s29, exec_lo, s29
	s_cbranch_execnz .LBB4_3296
; %bb.3094:                             ;   in Loop: Header=BB4_2981 Depth=3
	s_or_saveexec_b32 s29, s29
	v_mov_b32_e32 v151, s15
	s_xor_b32 exec_lo, exec_lo, s29
	s_cbranch_execnz .LBB4_3299
.LBB4_3095:                             ;   in Loop: Header=BB4_2981 Depth=3
	s_or_b32 exec_lo, exec_lo, s29
	s_and_saveexec_b32 s15, s14
	s_cbranch_execz .LBB4_3097
.LBB4_3096:                             ;   in Loop: Header=BB4_2981 Depth=3
	v_bfe_u32 v151, v13, 24, 3
	s_delay_alu instid0(VALU_DEP_1) | instskip(NEXT) | instid1(VALU_DEP_1)
	v_clz_i32_u32_e32 v161, v151
	v_min_u32_e32 v161, 32, v161
	s_delay_alu instid0(VALU_DEP_1) | instskip(SKIP_1) | instid1(VALU_DEP_2)
	v_subrev_nc_u32_e32 v162, 28, v161
	v_sub_nc_u32_e32 v161, 29, v161
	v_lshlrev_b32_e32 v160, v162, v160
	v_bfe_u32 v162, v13, 27, 4
	v_and_b32_e32 v13, 0x80000000, v13
	s_delay_alu instid0(VALU_DEP_2) | instskip(NEXT) | instid1(VALU_DEP_4)
	v_cmp_eq_u32_e32 vcc_lo, 0, v162
	v_dual_cndmask_b32 v161, v162, v161 :: v_dual_and_b32 v160, 7, v160
	s_delay_alu instid0(VALU_DEP_1) | instskip(NEXT) | instid1(VALU_DEP_2)
	v_cndmask_b32_e32 v151, v151, v160, vcc_lo
	v_lshl_add_u32 v160, v161, 23, 0x3b800000
	s_delay_alu instid0(VALU_DEP_2) | instskip(NEXT) | instid1(VALU_DEP_1)
	v_lshlrev_b32_e32 v151, 20, v151
	v_or3_b32 v151, v13, v160, v151
.LBB4_3097:                             ;   in Loop: Header=BB4_2981 Depth=3
	s_or_b32 exec_lo, exec_lo, s15
	v_lshrrev_b32_e32 v13, 24, v9
	s_mov_b32 s14, 0
	s_mov_b32 s29, exec_lo
                                        ; implicit-def: $sgpr15
	s_delay_alu instid0(VALU_DEP_1)
	v_cmpx_lt_i16_e32 0x7f, v13
	s_xor_b32 s29, exec_lo, s29
	s_cbranch_execnz .LBB4_3300
; %bb.3098:                             ;   in Loop: Header=BB4_2981 Depth=3
	s_or_saveexec_b32 s29, s29
	v_mov_b32_e32 v160, s15
	s_xor_b32 exec_lo, exec_lo, s29
	s_cbranch_execnz .LBB4_3303
.LBB4_3099:                             ;   in Loop: Header=BB4_2981 Depth=3
	s_or_b32 exec_lo, exec_lo, s29
	s_and_saveexec_b32 s15, s14
	s_cbranch_execz .LBB4_3101
.LBB4_3100:                             ;   in Loop: Header=BB4_2981 Depth=3
	v_bfe_u32 v160, v9, 24, 3
	s_delay_alu instid0(VALU_DEP_1) | instskip(NEXT) | instid1(VALU_DEP_1)
	v_clz_i32_u32_e32 v161, v160
	v_min_u32_e32 v161, 32, v161
	s_delay_alu instid0(VALU_DEP_1) | instskip(SKIP_1) | instid1(VALU_DEP_2)
	v_subrev_nc_u32_e32 v162, 28, v161
	v_sub_nc_u32_e32 v161, 29, v161
	v_lshlrev_b32_e32 v13, v162, v13
	v_bfe_u32 v162, v9, 27, 4
	v_and_b32_e32 v9, 0x80000000, v9
	s_delay_alu instid0(VALU_DEP_3) | instskip(NEXT) | instid1(VALU_DEP_3)
	v_and_b32_e32 v13, 7, v13
	v_cmp_eq_u32_e32 vcc_lo, 0, v162
	v_cndmask_b32_e32 v161, v162, v161, vcc_lo
	s_delay_alu instid0(VALU_DEP_3) | instskip(NEXT) | instid1(VALU_DEP_2)
	v_cndmask_b32_e32 v13, v160, v13, vcc_lo
	v_lshl_add_u32 v160, v161, 23, 0x3b800000
	s_delay_alu instid0(VALU_DEP_2) | instskip(NEXT) | instid1(VALU_DEP_1)
	v_lshlrev_b32_e32 v13, 20, v13
	v_or3_b32 v160, v9, v160, v13
.LBB4_3101:                             ;   in Loop: Header=BB4_2981 Depth=3
	s_or_b32 exec_lo, exec_lo, s15
	s_delay_alu instid0(VALU_DEP_1) | instskip(NEXT) | instid1(VALU_DEP_1)
	v_add_f32_e32 v13, v151, v160
	v_and_b32_e32 v9, 0x7f800000, v13
	s_delay_alu instid0(VALU_DEP_1)
	v_cmp_ne_u32_e32 vcc_lo, 0x7f800000, v9
	v_mov_b32_e32 v9, 0x8000
	s_and_saveexec_b32 s15, vcc_lo
	s_cbranch_execz .LBB4_3109
; %bb.3102:                             ;   in Loop: Header=BB4_2981 Depth=3
	v_mov_b32_e32 v9, 0
	s_mov_b32 s29, exec_lo
	v_cmpx_ne_u32_e32 0, v13
	s_cbranch_execz .LBB4_3108
; %bb.3103:                             ;   in Loop: Header=BB4_2981 Depth=3
	v_bfe_u32 v9, v13, 23, 8
	s_delay_alu instid0(VALU_DEP_1) | instskip(SKIP_1) | instid1(VALU_DEP_2)
	v_sub_nc_u32_e32 v160, 0x78, v9
	v_cmp_gt_u32_e32 vcc_lo, 0x79, v9
	v_dual_cndmask_b32 v160, 0, v160 :: v_dual_and_b32 v151, 0x7fffff, v13
	s_delay_alu instid0(VALU_DEP_1) | instskip(SKIP_2) | instid1(VALU_DEP_4)
	v_or_b32_e32 v161, 0x800000, v151
	v_cmp_eq_u32_e32 vcc_lo, 0, v9
	v_add_nc_u32_e32 v9, 0xffffff89, v9
	v_cndmask_b32_e64 v160, v160, 0x77, vcc_lo
	s_delay_alu instid0(VALU_DEP_2) | instskip(SKIP_1) | instid1(VALU_DEP_3)
	v_cndmask_b32_e64 v9, v9, 0xffffff8a, vcc_lo
	v_cndmask_b32_e32 v151, v161, v151, vcc_lo
	v_lshl_add_u32 v161, 0x100000, v160, -1
	v_lshlrev_b32_e64 v164, v160, 0x80000
	s_delay_alu instid0(VALU_DEP_3) | instskip(SKIP_1) | instid1(VALU_DEP_4)
	v_lshrrev_b32_e32 v162, v160, v151
	v_add_nc_u32_e32 v160, v160, v9
	v_and_b32_e32 v151, v161, v151
	s_delay_alu instid0(VALU_DEP_3) | instskip(NEXT) | instid1(VALU_DEP_2)
	v_bfe_u32 v163, v162, 20, 1
	v_cmp_eq_u32_e64 s14, v151, v164
	s_delay_alu instid0(VALU_DEP_2) | instskip(NEXT) | instid1(VALU_DEP_1)
	v_add_nc_u32_e32 v161, -1, v163
	v_cndmask_b32_e64 v151, 0, v161, s14
	v_lshrrev_b32_e32 v161, 23, v162
	s_mov_b32 s14, exec_lo
	s_delay_alu instid0(VALU_DEP_2) | instskip(NEXT) | instid1(VALU_DEP_2)
	v_add_nc_u32_e32 v151, v151, v162
	v_xor_b32_e32 v161, 1, v161
	s_delay_alu instid0(VALU_DEP_2) | instskip(NEXT) | instid1(VALU_DEP_1)
	v_and_b32_e32 v9, 0xfffff, v151
	v_add_nc_u32_e32 v151, v9, v162
                                        ; implicit-def: $vgpr9
	s_delay_alu instid0(VALU_DEP_3)
	v_cmpx_ne_u32_e64 v160, v161
	s_xor_b32 s14, exec_lo, s14
; %bb.3104:                             ;   in Loop: Header=BB4_2981 Depth=3
	s_delay_alu instid0(VALU_DEP_2) | instskip(SKIP_2) | instid1(VALU_DEP_2)
	v_cmp_lt_u32_e32 vcc_lo, 0xffffff, v151
	v_sub_nc_u32_e32 v9, v160, v161
	v_cndmask_b32_e64 v160, 0, 1, vcc_lo
	v_add_co_ci_u32_e32 v9, vcc_lo, 0, v9, vcc_lo
	s_delay_alu instid0(VALU_DEP_2)
	v_lshrrev_b32_e32 v151, v160, v151
; %bb.3105:                             ;   in Loop: Header=BB4_2981 Depth=3
	s_and_not1_saveexec_b32 s14, s14
; %bb.3106:                             ;   in Loop: Header=BB4_2981 Depth=3
	s_delay_alu instid0(VALU_DEP_1)
	v_bfe_u32 v9, v151, 23, 1
; %bb.3107:                             ;   in Loop: Header=BB4_2981 Depth=3
	s_or_b32 exec_lo, exec_lo, s14
	v_lshrrev_b32_e32 v151, 20, v151
	s_delay_alu instid0(VALU_DEP_2) | instskip(SKIP_2) | instid1(VALU_DEP_2)
	v_cmp_gt_i32_e32 vcc_lo, 16, v9
	v_min_i32_e32 v160, 15, v9
	v_lshrrev_b32_e32 v13, 24, v13
	v_dual_cndmask_b32 v151, 7, v151 :: v_dual_lshlrev_b32 v160, 3, v160
	s_delay_alu instid0(VALU_DEP_2) | instskip(NEXT) | instid1(VALU_DEP_2)
	v_and_b32_e32 v13, 0x80, v13
	v_or_b32_e32 v9, v9, v151
	v_and_b32_e32 v161, 7, v151
	s_delay_alu instid0(VALU_DEP_2) | instskip(SKIP_1) | instid1(VALU_DEP_1)
	v_cmp_ne_u32_e32 vcc_lo, 0, v9
	v_and_b32_e32 v160, 0xf8, v160
	v_or3_b32 v13, v13, v160, v161
	s_delay_alu instid0(VALU_DEP_1) | instskip(NEXT) | instid1(VALU_DEP_1)
	v_lshlrev_b32_e32 v13, 8, v13
	v_cndmask_b32_e32 v9, 0, v13, vcc_lo
.LBB4_3108:                             ;   in Loop: Header=BB4_2981 Depth=3
	s_or_b32 exec_lo, exec_lo, s29
.LBB4_3109:                             ;   in Loop: Header=BB4_2981 Depth=3
	s_delay_alu instid0(SALU_CYCLE_1) | instskip(SKIP_3) | instid1(VALU_DEP_1)
	s_or_b32 exec_lo, exec_lo, s15
	v_and_b32_e32 v151, 0xff, v14
	s_mov_b32 s14, 0
	s_mov_b32 s29, exec_lo
                                        ; implicit-def: $sgpr15
	v_cmpx_lt_i16_e64 0x7f, v151
	s_xor_b32 s29, exec_lo, s29
	s_cbranch_execnz .LBB4_3304
; %bb.3110:                             ;   in Loop: Header=BB4_2981 Depth=3
	s_or_saveexec_b32 s29, s29
	v_mov_b32_e32 v13, s15
	s_xor_b32 exec_lo, exec_lo, s29
	s_cbranch_execnz .LBB4_3307
.LBB4_3111:                             ;   in Loop: Header=BB4_2981 Depth=3
	s_or_b32 exec_lo, exec_lo, s29
	s_and_saveexec_b32 s15, s14
	s_cbranch_execz .LBB4_3113
.LBB4_3112:                             ;   in Loop: Header=BB4_2981 Depth=3
	v_and_b32_e32 v13, 7, v14
	v_bfe_u32 v161, v14, 3, 4
	s_delay_alu instid0(VALU_DEP_2) | instskip(NEXT) | instid1(VALU_DEP_2)
	v_clz_i32_u32_e32 v151, v13
	v_cmp_eq_u32_e32 vcc_lo, 0, v161
	s_delay_alu instid0(VALU_DEP_2) | instskip(NEXT) | instid1(VALU_DEP_1)
	v_min_u32_e32 v151, 32, v151
	v_subrev_nc_u32_e32 v160, 28, v151
	v_sub_nc_u32_e32 v151, 29, v151
	s_delay_alu instid0(VALU_DEP_1) | instskip(NEXT) | instid1(VALU_DEP_1)
	v_dual_cndmask_b32 v151, v161, v151 :: v_dual_lshlrev_b32 v160, v160, v14
	v_and_b32_e32 v160, 7, v160
	v_lshlrev_b32_e32 v162, 24, v14
	s_delay_alu instid0(VALU_DEP_3) | instskip(NEXT) | instid1(VALU_DEP_2)
	v_lshl_add_u32 v151, v151, 23, 0x3b800000
	v_dual_cndmask_b32 v13, v13, v160 :: v_dual_and_b32 v160, 0x80000000, v162
	s_delay_alu instid0(VALU_DEP_1) | instskip(NEXT) | instid1(VALU_DEP_1)
	v_lshlrev_b32_e32 v13, 20, v13
	v_or3_b32 v13, v160, v151, v13
.LBB4_3113:                             ;   in Loop: Header=BB4_2981 Depth=3
	s_or_b32 exec_lo, exec_lo, s15
	v_and_b32_e32 v160, 0xff, v10
	s_mov_b32 s14, 0
	s_mov_b32 s29, exec_lo
                                        ; implicit-def: $sgpr15
	s_delay_alu instid0(VALU_DEP_1)
	v_cmpx_lt_i16_e64 0x7f, v160
	s_xor_b32 s29, exec_lo, s29
	s_cbranch_execnz .LBB4_3308
; %bb.3114:                             ;   in Loop: Header=BB4_2981 Depth=3
	s_or_saveexec_b32 s29, s29
	v_mov_b32_e32 v151, s15
	s_xor_b32 exec_lo, exec_lo, s29
	s_cbranch_execnz .LBB4_3311
.LBB4_3115:                             ;   in Loop: Header=BB4_2981 Depth=3
	s_or_b32 exec_lo, exec_lo, s29
	s_and_saveexec_b32 s15, s14
	s_cbranch_execz .LBB4_3117
.LBB4_3116:                             ;   in Loop: Header=BB4_2981 Depth=3
	v_bfe_u32 v162, v10, 3, 4
	v_lshlrev_b32_e32 v163, 24, v10
	s_delay_alu instid0(VALU_DEP_2) | instskip(SKIP_1) | instid1(VALU_DEP_1)
	v_cmp_eq_u32_e32 vcc_lo, 0, v162
	v_and_b32_e32 v151, 7, v10
	v_clz_i32_u32_e32 v160, v151
	s_delay_alu instid0(VALU_DEP_1) | instskip(NEXT) | instid1(VALU_DEP_1)
	v_min_u32_e32 v160, 32, v160
	v_subrev_nc_u32_e32 v161, 28, v160
	v_sub_nc_u32_e32 v160, 29, v160
	s_delay_alu instid0(VALU_DEP_1) | instskip(NEXT) | instid1(VALU_DEP_1)
	v_dual_cndmask_b32 v160, v162, v160 :: v_dual_lshlrev_b32 v161, v161, v10
	v_and_b32_e32 v161, 7, v161
	s_delay_alu instid0(VALU_DEP_2) | instskip(NEXT) | instid1(VALU_DEP_2)
	v_lshl_add_u32 v160, v160, 23, 0x3b800000
	v_cndmask_b32_e32 v151, v151, v161, vcc_lo
	v_and_b32_e32 v161, 0x80000000, v163
	s_delay_alu instid0(VALU_DEP_2) | instskip(NEXT) | instid1(VALU_DEP_1)
	v_lshlrev_b32_e32 v151, 20, v151
	v_or3_b32 v151, v161, v160, v151
.LBB4_3117:                             ;   in Loop: Header=BB4_2981 Depth=3
	s_or_b32 exec_lo, exec_lo, s15
	s_delay_alu instid0(VALU_DEP_1) | instskip(NEXT) | instid1(VALU_DEP_1)
	v_add_f32_e32 v151, v13, v151
	v_and_b32_e32 v13, 0x7f800000, v151
	s_delay_alu instid0(VALU_DEP_1)
	v_cmp_ne_u32_e32 vcc_lo, 0x7f800000, v13
	v_mov_b32_e32 v13, 0x80
	s_and_saveexec_b32 s15, vcc_lo
	s_cbranch_execz .LBB4_3125
; %bb.3118:                             ;   in Loop: Header=BB4_2981 Depth=3
	v_mov_b32_e32 v13, 0
	s_mov_b32 s29, exec_lo
	v_cmpx_ne_u32_e32 0, v151
	s_cbranch_execz .LBB4_3124
; %bb.3119:                             ;   in Loop: Header=BB4_2981 Depth=3
	v_bfe_u32 v13, v151, 23, 8
	s_delay_alu instid0(VALU_DEP_1) | instskip(SKIP_1) | instid1(VALU_DEP_2)
	v_sub_nc_u32_e32 v161, 0x78, v13
	v_cmp_gt_u32_e32 vcc_lo, 0x79, v13
	v_dual_cndmask_b32 v161, 0, v161 :: v_dual_and_b32 v160, 0x7fffff, v151
	s_delay_alu instid0(VALU_DEP_1) | instskip(SKIP_2) | instid1(VALU_DEP_4)
	v_or_b32_e32 v162, 0x800000, v160
	v_cmp_eq_u32_e32 vcc_lo, 0, v13
	v_add_nc_u32_e32 v13, 0xffffff89, v13
	v_cndmask_b32_e64 v161, v161, 0x77, vcc_lo
	s_delay_alu instid0(VALU_DEP_4) | instskip(NEXT) | instid1(VALU_DEP_3)
	v_cndmask_b32_e32 v160, v162, v160, vcc_lo
	v_cndmask_b32_e64 v13, v13, 0xffffff8a, vcc_lo
	s_delay_alu instid0(VALU_DEP_3) | instskip(NEXT) | instid1(VALU_DEP_3)
	v_lshl_add_u32 v162, 0x100000, v161, -1
	v_lshrrev_b32_e32 v163, v161, v160
	v_lshlrev_b32_e64 v165, v161, 0x80000
	s_delay_alu instid0(VALU_DEP_4) | instskip(NEXT) | instid1(VALU_DEP_4)
	v_add_nc_u32_e32 v161, v161, v13
	v_and_b32_e32 v160, v162, v160
	s_delay_alu instid0(VALU_DEP_4) | instskip(NEXT) | instid1(VALU_DEP_2)
	v_bfe_u32 v164, v163, 20, 1
	v_cmp_eq_u32_e64 s14, v160, v165
	s_delay_alu instid0(VALU_DEP_2) | instskip(NEXT) | instid1(VALU_DEP_1)
	v_add_nc_u32_e32 v162, -1, v164
	v_cndmask_b32_e64 v160, 0, v162, s14
	v_lshrrev_b32_e32 v162, 23, v163
	s_mov_b32 s14, exec_lo
	s_delay_alu instid0(VALU_DEP_2) | instskip(NEXT) | instid1(VALU_DEP_2)
	v_add_nc_u32_e32 v160, v160, v163
	v_xor_b32_e32 v162, 1, v162
	s_delay_alu instid0(VALU_DEP_2) | instskip(NEXT) | instid1(VALU_DEP_1)
	v_and_b32_e32 v13, 0xfffff, v160
	v_add_nc_u32_e32 v160, v13, v163
                                        ; implicit-def: $vgpr13
	s_delay_alu instid0(VALU_DEP_3)
	v_cmpx_ne_u32_e64 v161, v162
	s_xor_b32 s14, exec_lo, s14
; %bb.3120:                             ;   in Loop: Header=BB4_2981 Depth=3
	s_delay_alu instid0(VALU_DEP_2) | instskip(SKIP_2) | instid1(VALU_DEP_2)
	v_cmp_lt_u32_e32 vcc_lo, 0xffffff, v160
	v_sub_nc_u32_e32 v13, v161, v162
	v_cndmask_b32_e64 v161, 0, 1, vcc_lo
	v_add_co_ci_u32_e32 v13, vcc_lo, 0, v13, vcc_lo
	s_delay_alu instid0(VALU_DEP_2)
	v_lshrrev_b32_e32 v160, v161, v160
; %bb.3121:                             ;   in Loop: Header=BB4_2981 Depth=3
	s_and_not1_saveexec_b32 s14, s14
; %bb.3122:                             ;   in Loop: Header=BB4_2981 Depth=3
	s_delay_alu instid0(VALU_DEP_1)
	v_bfe_u32 v13, v160, 23, 1
; %bb.3123:                             ;   in Loop: Header=BB4_2981 Depth=3
	s_or_b32 exec_lo, exec_lo, s14
	v_lshrrev_b32_e32 v160, 20, v160
	s_delay_alu instid0(VALU_DEP_2) | instskip(SKIP_2) | instid1(VALU_DEP_2)
	v_cmp_gt_i32_e32 vcc_lo, 16, v13
	v_lshrrev_b32_e32 v151, 24, v151
	v_min_i32_e32 v161, 15, v13
	v_dual_cndmask_b32 v160, 7, v160 :: v_dual_and_b32 v151, 0x80, v151
	s_delay_alu instid0(VALU_DEP_2) | instskip(NEXT) | instid1(VALU_DEP_2)
	v_lshlrev_b32_e32 v161, 3, v161
	v_or_b32_e32 v13, v13, v160
	s_delay_alu instid0(VALU_DEP_1) | instskip(SKIP_1) | instid1(VALU_DEP_1)
	v_cmp_ne_u32_e32 vcc_lo, 0, v13
	v_and_b32_e32 v162, 7, v160
	v_or3_b32 v151, v161, v151, v162
	s_delay_alu instid0(VALU_DEP_1)
	v_cndmask_b32_e32 v13, 0, v151, vcc_lo
.LBB4_3124:                             ;   in Loop: Header=BB4_2981 Depth=3
	s_or_b32 exec_lo, exec_lo, s29
.LBB4_3125:                             ;   in Loop: Header=BB4_2981 Depth=3
	s_delay_alu instid0(SALU_CYCLE_1) | instskip(SKIP_3) | instid1(VALU_DEP_1)
	s_or_b32 exec_lo, exec_lo, s15
	v_lshrrev_b16 v160, 8, v14
	s_mov_b32 s14, 0
	s_mov_b32 s29, exec_lo
                                        ; implicit-def: $sgpr15
	v_cmpx_lt_i16_e64 0x7f, v160
	s_xor_b32 s29, exec_lo, s29
	s_cbranch_execnz .LBB4_3312
; %bb.3126:                             ;   in Loop: Header=BB4_2981 Depth=3
	s_or_saveexec_b32 s29, s29
	v_mov_b32_e32 v151, s15
	s_xor_b32 exec_lo, exec_lo, s29
	s_cbranch_execnz .LBB4_3315
.LBB4_3127:                             ;   in Loop: Header=BB4_2981 Depth=3
	s_or_b32 exec_lo, exec_lo, s29
	s_and_saveexec_b32 s15, s14
	s_cbranch_execz .LBB4_3129
.LBB4_3128:                             ;   in Loop: Header=BB4_2981 Depth=3
	v_and_b32_e32 v151, 0xffff, v160
	s_delay_alu instid0(VALU_DEP_1) | instskip(NEXT) | instid1(VALU_DEP_1)
	v_and_b32_e32 v161, 7, v151
	v_clz_i32_u32_e32 v162, v161
	s_delay_alu instid0(VALU_DEP_1) | instskip(NEXT) | instid1(VALU_DEP_1)
	v_min_u32_e32 v162, 32, v162
	v_subrev_nc_u32_e32 v163, 28, v162
	v_sub_nc_u32_e32 v162, 29, v162
	s_delay_alu instid0(VALU_DEP_2) | instskip(SKIP_1) | instid1(VALU_DEP_2)
	v_lshlrev_b32_e32 v163, v163, v151
	v_bfe_u32 v151, v151, 3, 4
	v_and_b32_e32 v163, 7, v163
	s_delay_alu instid0(VALU_DEP_2) | instskip(SKIP_1) | instid1(VALU_DEP_1)
	v_cmp_eq_u32_e32 vcc_lo, 0, v151
	v_dual_cndmask_b32 v151, v151, v162 :: v_dual_lshlrev_b32 v160, 24, v160
	v_dual_cndmask_b32 v161, v161, v163 :: v_dual_and_b32 v160, 0x80000000, v160
	s_delay_alu instid0(VALU_DEP_2) | instskip(NEXT) | instid1(VALU_DEP_2)
	v_lshl_add_u32 v151, v151, 23, 0x3b800000
	v_lshlrev_b32_e32 v161, 20, v161
	s_delay_alu instid0(VALU_DEP_1)
	v_or3_b32 v151, v160, v151, v161
.LBB4_3129:                             ;   in Loop: Header=BB4_2981 Depth=3
	s_or_b32 exec_lo, exec_lo, s15
	v_lshrrev_b16 v160, 8, v10
	s_mov_b32 s14, 0
	s_mov_b32 s29, exec_lo
                                        ; implicit-def: $sgpr15
	s_delay_alu instid0(VALU_DEP_1)
	v_cmpx_lt_i16_e64 0x7f, v160
	s_xor_b32 s29, exec_lo, s29
	s_cbranch_execnz .LBB4_3316
; %bb.3130:                             ;   in Loop: Header=BB4_2981 Depth=3
	s_or_saveexec_b32 s29, s29
	v_mov_b32_e32 v161, s15
	s_xor_b32 exec_lo, exec_lo, s29
	s_cbranch_execnz .LBB4_3319
.LBB4_3131:                             ;   in Loop: Header=BB4_2981 Depth=3
	s_or_b32 exec_lo, exec_lo, s29
	s_and_saveexec_b32 s15, s14
	s_cbranch_execz .LBB4_3133
.LBB4_3132:                             ;   in Loop: Header=BB4_2981 Depth=3
	v_and_b32_e32 v161, 0xffff, v160
	v_lshlrev_b32_e32 v160, 24, v160
	s_delay_alu instid0(VALU_DEP_2) | instskip(NEXT) | instid1(VALU_DEP_2)
	v_and_b32_e32 v162, 7, v161
	v_and_b32_e32 v160, 0x80000000, v160
	s_delay_alu instid0(VALU_DEP_2) | instskip(NEXT) | instid1(VALU_DEP_1)
	v_clz_i32_u32_e32 v163, v162
	v_min_u32_e32 v163, 32, v163
	s_delay_alu instid0(VALU_DEP_1) | instskip(SKIP_1) | instid1(VALU_DEP_2)
	v_subrev_nc_u32_e32 v164, 28, v163
	v_sub_nc_u32_e32 v163, 29, v163
	v_lshlrev_b32_e32 v164, v164, v161
	v_bfe_u32 v161, v161, 3, 4
	s_delay_alu instid0(VALU_DEP_2) | instskip(NEXT) | instid1(VALU_DEP_2)
	v_and_b32_e32 v164, 7, v164
	v_cmp_eq_u32_e32 vcc_lo, 0, v161
	s_delay_alu instid0(VALU_DEP_2) | instskip(NEXT) | instid1(VALU_DEP_1)
	v_dual_cndmask_b32 v161, v161, v163 :: v_dual_cndmask_b32 v162, v162, v164
	v_lshl_add_u32 v161, v161, 23, 0x3b800000
	s_delay_alu instid0(VALU_DEP_2) | instskip(NEXT) | instid1(VALU_DEP_1)
	v_lshlrev_b32_e32 v162, 20, v162
	v_or3_b32 v161, v160, v161, v162
.LBB4_3133:                             ;   in Loop: Header=BB4_2981 Depth=3
	s_or_b32 exec_lo, exec_lo, s15
	s_delay_alu instid0(VALU_DEP_1) | instskip(NEXT) | instid1(VALU_DEP_1)
	v_add_f32_e32 v160, v151, v161
	v_and_b32_e32 v151, 0x7f800000, v160
	s_delay_alu instid0(VALU_DEP_1)
	v_cmp_ne_u32_e32 vcc_lo, 0x7f800000, v151
	v_mov_b32_e32 v151, 0x80
	s_and_saveexec_b32 s15, vcc_lo
	s_cbranch_execz .LBB4_3141
; %bb.3134:                             ;   in Loop: Header=BB4_2981 Depth=3
	v_mov_b32_e32 v151, 0
	s_mov_b32 s29, exec_lo
	v_cmpx_ne_u32_e32 0, v160
	s_cbranch_execz .LBB4_3140
; %bb.3135:                             ;   in Loop: Header=BB4_2981 Depth=3
	v_bfe_u32 v151, v160, 23, 8
	s_delay_alu instid0(VALU_DEP_1) | instskip(SKIP_1) | instid1(VALU_DEP_2)
	v_sub_nc_u32_e32 v162, 0x78, v151
	v_cmp_gt_u32_e32 vcc_lo, 0x79, v151
	v_dual_cndmask_b32 v162, 0, v162 :: v_dual_and_b32 v161, 0x7fffff, v160
	s_delay_alu instid0(VALU_DEP_1) | instskip(SKIP_2) | instid1(VALU_DEP_4)
	v_or_b32_e32 v163, 0x800000, v161
	v_cmp_eq_u32_e32 vcc_lo, 0, v151
	v_add_nc_u32_e32 v151, 0xffffff89, v151
	v_cndmask_b32_e64 v162, v162, 0x77, vcc_lo
	s_delay_alu instid0(VALU_DEP_2) | instskip(SKIP_1) | instid1(VALU_DEP_3)
	v_cndmask_b32_e64 v151, v151, 0xffffff8a, vcc_lo
	v_cndmask_b32_e32 v161, v163, v161, vcc_lo
	v_lshl_add_u32 v163, 0x100000, v162, -1
	v_lshlrev_b32_e64 v166, v162, 0x80000
	s_delay_alu instid0(VALU_DEP_3) | instskip(SKIP_1) | instid1(VALU_DEP_4)
	v_lshrrev_b32_e32 v164, v162, v161
	v_add_nc_u32_e32 v162, v162, v151
	v_and_b32_e32 v161, v163, v161
	s_delay_alu instid0(VALU_DEP_3) | instskip(NEXT) | instid1(VALU_DEP_2)
	v_bfe_u32 v165, v164, 20, 1
	v_cmp_eq_u32_e64 s14, v161, v166
	s_delay_alu instid0(VALU_DEP_2) | instskip(NEXT) | instid1(VALU_DEP_1)
	v_add_nc_u32_e32 v163, -1, v165
	v_cndmask_b32_e64 v161, 0, v163, s14
	v_lshrrev_b32_e32 v163, 23, v164
	s_mov_b32 s14, exec_lo
	s_delay_alu instid0(VALU_DEP_2) | instskip(NEXT) | instid1(VALU_DEP_2)
	v_add_nc_u32_e32 v161, v161, v164
	v_xor_b32_e32 v163, 1, v163
	s_delay_alu instid0(VALU_DEP_2) | instskip(NEXT) | instid1(VALU_DEP_1)
	v_and_b32_e32 v151, 0xfffff, v161
	v_add_nc_u32_e32 v161, v151, v164
                                        ; implicit-def: $vgpr151
	s_delay_alu instid0(VALU_DEP_3)
	v_cmpx_ne_u32_e64 v162, v163
	s_xor_b32 s14, exec_lo, s14
; %bb.3136:                             ;   in Loop: Header=BB4_2981 Depth=3
	s_delay_alu instid0(VALU_DEP_2) | instskip(SKIP_2) | instid1(VALU_DEP_2)
	v_cmp_lt_u32_e32 vcc_lo, 0xffffff, v161
	v_sub_nc_u32_e32 v151, v162, v163
	v_cndmask_b32_e64 v162, 0, 1, vcc_lo
	v_add_co_ci_u32_e32 v151, vcc_lo, 0, v151, vcc_lo
	s_delay_alu instid0(VALU_DEP_2)
	v_lshrrev_b32_e32 v161, v162, v161
; %bb.3137:                             ;   in Loop: Header=BB4_2981 Depth=3
	s_and_not1_saveexec_b32 s14, s14
; %bb.3138:                             ;   in Loop: Header=BB4_2981 Depth=3
	s_delay_alu instid0(VALU_DEP_1)
	v_bfe_u32 v151, v161, 23, 1
; %bb.3139:                             ;   in Loop: Header=BB4_2981 Depth=3
	s_or_b32 exec_lo, exec_lo, s14
	v_lshrrev_b32_e32 v161, 20, v161
	s_delay_alu instid0(VALU_DEP_2) | instskip(SKIP_2) | instid1(VALU_DEP_2)
	v_cmp_gt_i32_e32 vcc_lo, 16, v151
	v_lshrrev_b32_e32 v160, 24, v160
	v_min_i32_e32 v162, 15, v151
	v_dual_cndmask_b32 v161, 7, v161 :: v_dual_and_b32 v160, 0x80, v160
	s_delay_alu instid0(VALU_DEP_1) | instskip(SKIP_1) | instid1(VALU_DEP_2)
	v_or_b32_e32 v151, v151, v161
	v_and_b32_e32 v163, 7, v161
	v_cmp_ne_u32_e32 vcc_lo, 0, v151
	v_lshlrev_b32_e32 v162, 3, v162
	s_delay_alu instid0(VALU_DEP_1) | instskip(NEXT) | instid1(VALU_DEP_1)
	v_or3_b32 v160, v162, v160, v163
	v_cndmask_b32_e32 v151, 0, v160, vcc_lo
.LBB4_3140:                             ;   in Loop: Header=BB4_2981 Depth=3
	s_or_b32 exec_lo, exec_lo, s29
.LBB4_3141:                             ;   in Loop: Header=BB4_2981 Depth=3
	s_delay_alu instid0(SALU_CYCLE_1) | instskip(SKIP_3) | instid1(VALU_DEP_1)
	s_or_b32 exec_lo, exec_lo, s15
	v_lshrrev_b32_e32 v161, 16, v14
	s_mov_b32 s14, 0
	s_mov_b32 s29, exec_lo
                                        ; implicit-def: $sgpr15
	v_and_b32_e32 v162, 0xff, v161
	s_delay_alu instid0(VALU_DEP_1)
	v_cmpx_lt_i16_e64 0x7f, v162
	s_xor_b32 s29, exec_lo, s29
	s_cbranch_execnz .LBB4_3320
; %bb.3142:                             ;   in Loop: Header=BB4_2981 Depth=3
	s_or_saveexec_b32 s29, s29
	v_mov_b32_e32 v160, s15
	s_xor_b32 exec_lo, exec_lo, s29
	s_cbranch_execnz .LBB4_3323
.LBB4_3143:                             ;   in Loop: Header=BB4_2981 Depth=3
	s_or_b32 exec_lo, exec_lo, s29
	s_and_saveexec_b32 s15, s14
	s_cbranch_execz .LBB4_3145
.LBB4_3144:                             ;   in Loop: Header=BB4_2981 Depth=3
	v_bfe_u32 v160, v14, 16, 3
	v_lshlrev_b32_e32 v164, 8, v14
	s_delay_alu instid0(VALU_DEP_2) | instskip(NEXT) | instid1(VALU_DEP_1)
	v_clz_i32_u32_e32 v162, v160
	v_min_u32_e32 v162, 32, v162
	s_delay_alu instid0(VALU_DEP_1) | instskip(SKIP_1) | instid1(VALU_DEP_2)
	v_subrev_nc_u32_e32 v163, 28, v162
	v_sub_nc_u32_e32 v162, 29, v162
	v_lshlrev_b32_e32 v161, v163, v161
	v_bfe_u32 v163, v14, 19, 4
	s_delay_alu instid0(VALU_DEP_1) | instskip(NEXT) | instid1(VALU_DEP_3)
	v_cmp_eq_u32_e32 vcc_lo, 0, v163
	v_dual_cndmask_b32 v162, v163, v162 :: v_dual_and_b32 v161, 7, v161
	s_delay_alu instid0(VALU_DEP_1) | instskip(NEXT) | instid1(VALU_DEP_2)
	v_dual_cndmask_b32 v160, v160, v161 :: v_dual_and_b32 v161, 0x80000000, v164
	v_lshl_add_u32 v162, v162, 23, 0x3b800000
	s_delay_alu instid0(VALU_DEP_2) | instskip(NEXT) | instid1(VALU_DEP_1)
	v_lshlrev_b32_e32 v160, 20, v160
	v_or3_b32 v160, v161, v162, v160
.LBB4_3145:                             ;   in Loop: Header=BB4_2981 Depth=3
	s_or_b32 exec_lo, exec_lo, s15
	v_lshrrev_b32_e32 v161, 16, v10
	s_mov_b32 s14, 0
	s_mov_b32 s29, exec_lo
                                        ; implicit-def: $sgpr15
	s_delay_alu instid0(VALU_DEP_1) | instskip(NEXT) | instid1(VALU_DEP_1)
	v_and_b32_e32 v163, 0xff, v161
	v_cmpx_lt_i16_e64 0x7f, v163
	s_xor_b32 s29, exec_lo, s29
	s_cbranch_execnz .LBB4_3324
; %bb.3146:                             ;   in Loop: Header=BB4_2981 Depth=3
	s_or_saveexec_b32 s29, s29
	v_mov_b32_e32 v162, s15
	s_xor_b32 exec_lo, exec_lo, s29
	s_cbranch_execnz .LBB4_3327
.LBB4_3147:                             ;   in Loop: Header=BB4_2981 Depth=3
	s_or_b32 exec_lo, exec_lo, s29
	s_and_saveexec_b32 s15, s14
	s_cbranch_execz .LBB4_3149
.LBB4_3148:                             ;   in Loop: Header=BB4_2981 Depth=3
	v_bfe_u32 v162, v10, 16, 3
	v_lshlrev_b32_e32 v165, 8, v10
	s_delay_alu instid0(VALU_DEP_2) | instskip(NEXT) | instid1(VALU_DEP_1)
	v_clz_i32_u32_e32 v163, v162
	v_min_u32_e32 v163, 32, v163
	s_delay_alu instid0(VALU_DEP_1) | instskip(SKIP_1) | instid1(VALU_DEP_2)
	v_subrev_nc_u32_e32 v164, 28, v163
	v_sub_nc_u32_e32 v163, 29, v163
	v_lshlrev_b32_e32 v161, v164, v161
	v_bfe_u32 v164, v10, 19, 4
	s_delay_alu instid0(VALU_DEP_2) | instskip(NEXT) | instid1(VALU_DEP_2)
	v_and_b32_e32 v161, 7, v161
	v_cmp_eq_u32_e32 vcc_lo, 0, v164
	v_cndmask_b32_e32 v163, v164, v163, vcc_lo
	s_delay_alu instid0(VALU_DEP_3) | instskip(SKIP_1) | instid1(VALU_DEP_3)
	v_cndmask_b32_e32 v161, v162, v161, vcc_lo
	v_and_b32_e32 v162, 0x80000000, v165
	v_lshl_add_u32 v163, v163, 23, 0x3b800000
	s_delay_alu instid0(VALU_DEP_3) | instskip(NEXT) | instid1(VALU_DEP_1)
	v_lshlrev_b32_e32 v161, 20, v161
	v_or3_b32 v162, v162, v163, v161
.LBB4_3149:                             ;   in Loop: Header=BB4_2981 Depth=3
	s_or_b32 exec_lo, exec_lo, s15
	s_delay_alu instid0(VALU_DEP_1) | instskip(NEXT) | instid1(VALU_DEP_1)
	v_add_f32_e32 v161, v160, v162
	v_and_b32_e32 v160, 0x7f800000, v161
	s_delay_alu instid0(VALU_DEP_1)
	v_cmp_ne_u32_e32 vcc_lo, 0x7f800000, v160
	v_mov_b32_e32 v160, 0x80
	s_and_saveexec_b32 s15, vcc_lo
	s_cbranch_execz .LBB4_3157
; %bb.3150:                             ;   in Loop: Header=BB4_2981 Depth=3
	v_mov_b32_e32 v160, 0
	s_mov_b32 s29, exec_lo
	v_cmpx_ne_u32_e32 0, v161
	s_cbranch_execz .LBB4_3156
; %bb.3151:                             ;   in Loop: Header=BB4_2981 Depth=3
	v_bfe_u32 v160, v161, 23, 8
	s_delay_alu instid0(VALU_DEP_1) | instskip(SKIP_1) | instid1(VALU_DEP_2)
	v_sub_nc_u32_e32 v163, 0x78, v160
	v_cmp_gt_u32_e32 vcc_lo, 0x79, v160
	v_dual_cndmask_b32 v163, 0, v163 :: v_dual_and_b32 v162, 0x7fffff, v161
	s_delay_alu instid0(VALU_DEP_1) | instskip(SKIP_2) | instid1(VALU_DEP_4)
	v_or_b32_e32 v164, 0x800000, v162
	v_cmp_eq_u32_e32 vcc_lo, 0, v160
	v_add_nc_u32_e32 v160, 0xffffff89, v160
	v_cndmask_b32_e64 v163, v163, 0x77, vcc_lo
	s_delay_alu instid0(VALU_DEP_2) | instskip(SKIP_1) | instid1(VALU_DEP_3)
	v_cndmask_b32_e64 v160, v160, 0xffffff8a, vcc_lo
	v_cndmask_b32_e32 v162, v164, v162, vcc_lo
	v_lshl_add_u32 v164, 0x100000, v163, -1
	v_lshlrev_b32_e64 v167, v163, 0x80000
	s_delay_alu instid0(VALU_DEP_3) | instskip(SKIP_1) | instid1(VALU_DEP_4)
	v_lshrrev_b32_e32 v165, v163, v162
	v_add_nc_u32_e32 v163, v163, v160
	v_and_b32_e32 v162, v164, v162
	s_delay_alu instid0(VALU_DEP_3) | instskip(NEXT) | instid1(VALU_DEP_2)
	v_bfe_u32 v166, v165, 20, 1
	v_cmp_eq_u32_e64 s14, v162, v167
	s_delay_alu instid0(VALU_DEP_2) | instskip(NEXT) | instid1(VALU_DEP_1)
	v_add_nc_u32_e32 v164, -1, v166
	v_cndmask_b32_e64 v162, 0, v164, s14
	v_lshrrev_b32_e32 v164, 23, v165
	s_mov_b32 s14, exec_lo
	s_delay_alu instid0(VALU_DEP_2) | instskip(NEXT) | instid1(VALU_DEP_2)
	v_add_nc_u32_e32 v162, v162, v165
	v_xor_b32_e32 v164, 1, v164
	s_delay_alu instid0(VALU_DEP_2) | instskip(NEXT) | instid1(VALU_DEP_1)
	v_and_b32_e32 v160, 0xfffff, v162
	v_add_nc_u32_e32 v162, v160, v165
                                        ; implicit-def: $vgpr160
	s_delay_alu instid0(VALU_DEP_3)
	v_cmpx_ne_u32_e64 v163, v164
	s_xor_b32 s14, exec_lo, s14
; %bb.3152:                             ;   in Loop: Header=BB4_2981 Depth=3
	s_delay_alu instid0(VALU_DEP_2) | instskip(SKIP_2) | instid1(VALU_DEP_2)
	v_cmp_lt_u32_e32 vcc_lo, 0xffffff, v162
	v_sub_nc_u32_e32 v160, v163, v164
	v_cndmask_b32_e64 v163, 0, 1, vcc_lo
	v_add_co_ci_u32_e32 v160, vcc_lo, 0, v160, vcc_lo
	s_delay_alu instid0(VALU_DEP_2)
	v_lshrrev_b32_e32 v162, v163, v162
; %bb.3153:                             ;   in Loop: Header=BB4_2981 Depth=3
	s_and_not1_saveexec_b32 s14, s14
; %bb.3154:                             ;   in Loop: Header=BB4_2981 Depth=3
	s_delay_alu instid0(VALU_DEP_1)
	v_bfe_u32 v160, v162, 23, 1
; %bb.3155:                             ;   in Loop: Header=BB4_2981 Depth=3
	s_or_b32 exec_lo, exec_lo, s14
	v_lshrrev_b32_e32 v162, 20, v162
	s_delay_alu instid0(VALU_DEP_2) | instskip(SKIP_2) | instid1(VALU_DEP_2)
	v_cmp_gt_i32_e32 vcc_lo, 16, v160
	v_lshrrev_b32_e32 v161, 24, v161
	v_min_i32_e32 v163, 15, v160
	v_dual_cndmask_b32 v162, 7, v162 :: v_dual_and_b32 v161, 0x80, v161
	s_delay_alu instid0(VALU_DEP_1) | instskip(SKIP_1) | instid1(VALU_DEP_2)
	v_or_b32_e32 v160, v160, v162
	v_and_b32_e32 v164, 7, v162
	v_cmp_ne_u32_e32 vcc_lo, 0, v160
	v_lshlrev_b32_e32 v163, 3, v163
	s_delay_alu instid0(VALU_DEP_1) | instskip(NEXT) | instid1(VALU_DEP_1)
	v_or3_b32 v161, v163, v161, v164
	v_cndmask_b32_e32 v160, 0, v161, vcc_lo
.LBB4_3156:                             ;   in Loop: Header=BB4_2981 Depth=3
	s_or_b32 exec_lo, exec_lo, s29
.LBB4_3157:                             ;   in Loop: Header=BB4_2981 Depth=3
	s_delay_alu instid0(SALU_CYCLE_1) | instskip(SKIP_3) | instid1(VALU_DEP_1)
	s_or_b32 exec_lo, exec_lo, s15
	v_lshrrev_b32_e32 v162, 24, v14
	s_mov_b32 s14, 0
	s_mov_b32 s29, exec_lo
                                        ; implicit-def: $sgpr15
	v_cmpx_lt_i16_e64 0x7f, v162
	s_xor_b32 s29, exec_lo, s29
	s_cbranch_execnz .LBB4_3328
; %bb.3158:                             ;   in Loop: Header=BB4_2981 Depth=3
	s_or_saveexec_b32 s29, s29
	v_mov_b32_e32 v161, s15
	s_xor_b32 exec_lo, exec_lo, s29
	s_cbranch_execnz .LBB4_3331
.LBB4_3159:                             ;   in Loop: Header=BB4_2981 Depth=3
	s_or_b32 exec_lo, exec_lo, s29
	s_and_saveexec_b32 s15, s14
	s_cbranch_execz .LBB4_3161
.LBB4_3160:                             ;   in Loop: Header=BB4_2981 Depth=3
	v_bfe_u32 v161, v14, 24, 3
	s_delay_alu instid0(VALU_DEP_1) | instskip(NEXT) | instid1(VALU_DEP_1)
	v_clz_i32_u32_e32 v163, v161
	v_min_u32_e32 v163, 32, v163
	s_delay_alu instid0(VALU_DEP_1) | instskip(SKIP_1) | instid1(VALU_DEP_2)
	v_subrev_nc_u32_e32 v164, 28, v163
	v_sub_nc_u32_e32 v163, 29, v163
	v_lshlrev_b32_e32 v162, v164, v162
	v_bfe_u32 v164, v14, 27, 4
	v_and_b32_e32 v14, 0x80000000, v14
	s_delay_alu instid0(VALU_DEP_2) | instskip(NEXT) | instid1(VALU_DEP_4)
	v_cmp_eq_u32_e32 vcc_lo, 0, v164
	v_dual_cndmask_b32 v163, v164, v163 :: v_dual_and_b32 v162, 7, v162
	s_delay_alu instid0(VALU_DEP_1) | instskip(NEXT) | instid1(VALU_DEP_2)
	v_cndmask_b32_e32 v161, v161, v162, vcc_lo
	v_lshl_add_u32 v162, v163, 23, 0x3b800000
	s_delay_alu instid0(VALU_DEP_2) | instskip(NEXT) | instid1(VALU_DEP_1)
	v_lshlrev_b32_e32 v161, 20, v161
	v_or3_b32 v161, v14, v162, v161
.LBB4_3161:                             ;   in Loop: Header=BB4_2981 Depth=3
	s_or_b32 exec_lo, exec_lo, s15
	v_lshrrev_b32_e32 v14, 24, v10
	s_mov_b32 s14, 0
	s_mov_b32 s29, exec_lo
                                        ; implicit-def: $sgpr15
	s_delay_alu instid0(VALU_DEP_1)
	v_cmpx_lt_i16_e32 0x7f, v14
	s_xor_b32 s29, exec_lo, s29
	s_cbranch_execnz .LBB4_3332
; %bb.3162:                             ;   in Loop: Header=BB4_2981 Depth=3
	s_or_saveexec_b32 s29, s29
	v_mov_b32_e32 v162, s15
	s_xor_b32 exec_lo, exec_lo, s29
	s_cbranch_execnz .LBB4_3335
.LBB4_3163:                             ;   in Loop: Header=BB4_2981 Depth=3
	s_or_b32 exec_lo, exec_lo, s29
	s_and_saveexec_b32 s15, s14
	s_cbranch_execz .LBB4_3165
.LBB4_3164:                             ;   in Loop: Header=BB4_2981 Depth=3
	v_bfe_u32 v162, v10, 24, 3
	s_delay_alu instid0(VALU_DEP_1) | instskip(NEXT) | instid1(VALU_DEP_1)
	v_clz_i32_u32_e32 v163, v162
	v_min_u32_e32 v163, 32, v163
	s_delay_alu instid0(VALU_DEP_1) | instskip(SKIP_1) | instid1(VALU_DEP_2)
	v_subrev_nc_u32_e32 v164, 28, v163
	v_sub_nc_u32_e32 v163, 29, v163
	v_lshlrev_b32_e32 v14, v164, v14
	v_bfe_u32 v164, v10, 27, 4
	v_and_b32_e32 v10, 0x80000000, v10
	s_delay_alu instid0(VALU_DEP_2) | instskip(NEXT) | instid1(VALU_DEP_4)
	v_cmp_eq_u32_e32 vcc_lo, 0, v164
	v_dual_cndmask_b32 v163, v164, v163 :: v_dual_and_b32 v14, 7, v14
	s_delay_alu instid0(VALU_DEP_1) | instskip(NEXT) | instid1(VALU_DEP_2)
	v_cndmask_b32_e32 v14, v162, v14, vcc_lo
	v_lshl_add_u32 v162, v163, 23, 0x3b800000
	s_delay_alu instid0(VALU_DEP_2) | instskip(NEXT) | instid1(VALU_DEP_1)
	v_lshlrev_b32_e32 v14, 20, v14
	v_or3_b32 v162, v10, v162, v14
.LBB4_3165:                             ;   in Loop: Header=BB4_2981 Depth=3
	s_or_b32 exec_lo, exec_lo, s15
	s_delay_alu instid0(VALU_DEP_1) | instskip(NEXT) | instid1(VALU_DEP_1)
	v_add_f32_e32 v14, v161, v162
	v_and_b32_e32 v10, 0x7f800000, v14
	s_delay_alu instid0(VALU_DEP_1)
	v_cmp_ne_u32_e32 vcc_lo, 0x7f800000, v10
	v_mov_b32_e32 v10, 0x80
	s_and_saveexec_b32 s15, vcc_lo
	s_cbranch_execz .LBB4_3173
; %bb.3166:                             ;   in Loop: Header=BB4_2981 Depth=3
	v_mov_b32_e32 v10, 0
	s_mov_b32 s29, exec_lo
	v_cmpx_ne_u32_e32 0, v14
	s_cbranch_execz .LBB4_3172
; %bb.3167:                             ;   in Loop: Header=BB4_2981 Depth=3
	v_bfe_u32 v10, v14, 23, 8
	v_and_b32_e32 v161, 0x7fffff, v14
	s_delay_alu instid0(VALU_DEP_2) | instskip(SKIP_1) | instid1(VALU_DEP_3)
	v_sub_nc_u32_e32 v162, 0x78, v10
	v_cmp_gt_u32_e32 vcc_lo, 0x79, v10
	v_or_b32_e32 v163, 0x800000, v161
	s_delay_alu instid0(VALU_DEP_3) | instskip(SKIP_1) | instid1(VALU_DEP_3)
	v_cndmask_b32_e32 v162, 0, v162, vcc_lo
	v_cmp_eq_u32_e32 vcc_lo, 0, v10
	v_dual_cndmask_b32 v161, v163, v161 :: v_dual_add_nc_u32 v10, 0xffffff89, v10
	s_delay_alu instid0(VALU_DEP_3) | instskip(NEXT) | instid1(VALU_DEP_2)
	v_cndmask_b32_e64 v162, v162, 0x77, vcc_lo
	v_cndmask_b32_e64 v10, v10, 0xffffff8a, vcc_lo
	s_delay_alu instid0(VALU_DEP_2) | instskip(SKIP_2) | instid1(VALU_DEP_4)
	v_lshrrev_b32_e32 v164, v162, v161
	v_lshl_add_u32 v163, 0x100000, v162, -1
	v_lshlrev_b32_e64 v166, v162, 0x80000
	v_add_nc_u32_e32 v162, v162, v10
	s_delay_alu instid0(VALU_DEP_4) | instskip(NEXT) | instid1(VALU_DEP_4)
	v_bfe_u32 v165, v164, 20, 1
	v_and_b32_e32 v161, v163, v161
	s_delay_alu instid0(VALU_DEP_2) | instskip(NEXT) | instid1(VALU_DEP_2)
	v_add_nc_u32_e32 v163, -1, v165
	v_cmp_eq_u32_e64 s14, v161, v166
	s_delay_alu instid0(VALU_DEP_1) | instskip(SKIP_2) | instid1(VALU_DEP_2)
	v_cndmask_b32_e64 v161, 0, v163, s14
	v_lshrrev_b32_e32 v163, 23, v164
	s_mov_b32 s14, exec_lo
	v_add_nc_u32_e32 v161, v161, v164
	s_delay_alu instid0(VALU_DEP_2) | instskip(NEXT) | instid1(VALU_DEP_2)
	v_xor_b32_e32 v163, 1, v163
	v_and_b32_e32 v10, 0xfffff, v161
	s_delay_alu instid0(VALU_DEP_1) | instskip(NEXT) | instid1(VALU_DEP_3)
	v_add_nc_u32_e32 v161, v10, v164
                                        ; implicit-def: $vgpr10
	v_cmpx_ne_u32_e64 v162, v163
	s_xor_b32 s14, exec_lo, s14
; %bb.3168:                             ;   in Loop: Header=BB4_2981 Depth=3
	s_delay_alu instid0(VALU_DEP_2) | instskip(SKIP_2) | instid1(VALU_DEP_2)
	v_cmp_lt_u32_e32 vcc_lo, 0xffffff, v161
	v_sub_nc_u32_e32 v10, v162, v163
	v_cndmask_b32_e64 v162, 0, 1, vcc_lo
	v_add_co_ci_u32_e32 v10, vcc_lo, 0, v10, vcc_lo
	s_delay_alu instid0(VALU_DEP_2)
	v_lshrrev_b32_e32 v161, v162, v161
; %bb.3169:                             ;   in Loop: Header=BB4_2981 Depth=3
	s_and_not1_saveexec_b32 s14, s14
; %bb.3170:                             ;   in Loop: Header=BB4_2981 Depth=3
	s_delay_alu instid0(VALU_DEP_1)
	v_bfe_u32 v10, v161, 23, 1
; %bb.3171:                             ;   in Loop: Header=BB4_2981 Depth=3
	s_or_b32 exec_lo, exec_lo, s14
	v_lshrrev_b32_e32 v161, 20, v161
	s_delay_alu instid0(VALU_DEP_2) | instskip(SKIP_2) | instid1(VALU_DEP_2)
	v_cmp_gt_i32_e32 vcc_lo, 16, v10
	v_lshrrev_b32_e32 v14, 24, v14
	v_min_i32_e32 v162, 15, v10
	v_dual_cndmask_b32 v161, 7, v161 :: v_dual_and_b32 v14, 0x80, v14
	s_delay_alu instid0(VALU_DEP_2) | instskip(NEXT) | instid1(VALU_DEP_2)
	v_lshlrev_b32_e32 v162, 3, v162
	v_or_b32_e32 v10, v10, v161
	s_delay_alu instid0(VALU_DEP_1) | instskip(SKIP_1) | instid1(VALU_DEP_1)
	v_cmp_ne_u32_e32 vcc_lo, 0, v10
	v_and_b32_e32 v163, 7, v161
	v_or3_b32 v14, v162, v14, v163
	s_delay_alu instid0(VALU_DEP_1)
	v_cndmask_b32_e32 v10, 0, v14, vcc_lo
.LBB4_3172:                             ;   in Loop: Header=BB4_2981 Depth=3
	s_or_b32 exec_lo, exec_lo, s29
.LBB4_3173:                             ;   in Loop: Header=BB4_2981 Depth=3
	s_delay_alu instid0(SALU_CYCLE_1) | instskip(SKIP_3) | instid1(VALU_DEP_1)
	s_or_b32 exec_lo, exec_lo, s15
	v_and_b32_e32 v161, 0xff, v15
	s_mov_b32 s14, 0
	s_mov_b32 s29, exec_lo
                                        ; implicit-def: $sgpr15
	v_cmpx_lt_i16_e64 0x7f, v161
	s_xor_b32 s29, exec_lo, s29
	s_cbranch_execnz .LBB4_3336
; %bb.3174:                             ;   in Loop: Header=BB4_2981 Depth=3
	s_or_saveexec_b32 s29, s29
	v_mov_b32_e32 v14, s15
	s_xor_b32 exec_lo, exec_lo, s29
	s_cbranch_execnz .LBB4_3339
.LBB4_3175:                             ;   in Loop: Header=BB4_2981 Depth=3
	s_or_b32 exec_lo, exec_lo, s29
	s_and_saveexec_b32 s15, s14
	s_cbranch_execz .LBB4_3177
.LBB4_3176:                             ;   in Loop: Header=BB4_2981 Depth=3
	v_bfe_u32 v163, v15, 3, 4
	v_lshlrev_b32_e32 v164, 24, v15
	s_delay_alu instid0(VALU_DEP_2) | instskip(SKIP_1) | instid1(VALU_DEP_1)
	v_cmp_eq_u32_e32 vcc_lo, 0, v163
	v_and_b32_e32 v14, 7, v15
	v_clz_i32_u32_e32 v161, v14
	s_delay_alu instid0(VALU_DEP_1) | instskip(NEXT) | instid1(VALU_DEP_1)
	v_min_u32_e32 v161, 32, v161
	v_subrev_nc_u32_e32 v162, 28, v161
	v_sub_nc_u32_e32 v161, 29, v161
	s_delay_alu instid0(VALU_DEP_1) | instskip(NEXT) | instid1(VALU_DEP_1)
	v_dual_cndmask_b32 v161, v163, v161 :: v_dual_lshlrev_b32 v162, v162, v15
	v_and_b32_e32 v162, 7, v162
	s_delay_alu instid0(VALU_DEP_2) | instskip(NEXT) | instid1(VALU_DEP_2)
	v_lshl_add_u32 v161, v161, 23, 0x3b800000
	v_cndmask_b32_e32 v14, v14, v162, vcc_lo
	v_and_b32_e32 v162, 0x80000000, v164
	s_delay_alu instid0(VALU_DEP_2) | instskip(NEXT) | instid1(VALU_DEP_1)
	v_lshlrev_b32_e32 v14, 20, v14
	v_or3_b32 v14, v162, v161, v14
.LBB4_3177:                             ;   in Loop: Header=BB4_2981 Depth=3
	s_or_b32 exec_lo, exec_lo, s15
	v_and_b32_e32 v162, 0xff, v11
	s_mov_b32 s14, 0
	s_mov_b32 s29, exec_lo
                                        ; implicit-def: $sgpr15
	s_delay_alu instid0(VALU_DEP_1)
	v_cmpx_lt_i16_e64 0x7f, v162
	s_xor_b32 s29, exec_lo, s29
	s_cbranch_execnz .LBB4_3340
; %bb.3178:                             ;   in Loop: Header=BB4_2981 Depth=3
	s_or_saveexec_b32 s29, s29
	v_mov_b32_e32 v161, s15
	s_xor_b32 exec_lo, exec_lo, s29
	s_cbranch_execnz .LBB4_3343
.LBB4_3179:                             ;   in Loop: Header=BB4_2981 Depth=3
	s_or_b32 exec_lo, exec_lo, s29
	s_and_saveexec_b32 s15, s14
	s_cbranch_execz .LBB4_3181
.LBB4_3180:                             ;   in Loop: Header=BB4_2981 Depth=3
	v_bfe_u32 v164, v11, 3, 4
	v_lshlrev_b32_e32 v165, 24, v11
	s_delay_alu instid0(VALU_DEP_2) | instskip(SKIP_1) | instid1(VALU_DEP_1)
	v_cmp_eq_u32_e32 vcc_lo, 0, v164
	v_and_b32_e32 v161, 7, v11
	v_clz_i32_u32_e32 v162, v161
	s_delay_alu instid0(VALU_DEP_1) | instskip(NEXT) | instid1(VALU_DEP_1)
	v_min_u32_e32 v162, 32, v162
	v_subrev_nc_u32_e32 v163, 28, v162
	v_sub_nc_u32_e32 v162, 29, v162
	s_delay_alu instid0(VALU_DEP_1) | instskip(NEXT) | instid1(VALU_DEP_1)
	v_dual_cndmask_b32 v162, v164, v162 :: v_dual_lshlrev_b32 v163, v163, v11
	v_and_b32_e32 v163, 7, v163
	s_delay_alu instid0(VALU_DEP_2) | instskip(NEXT) | instid1(VALU_DEP_2)
	v_lshl_add_u32 v162, v162, 23, 0x3b800000
	v_cndmask_b32_e32 v161, v161, v163, vcc_lo
	v_and_b32_e32 v163, 0x80000000, v165
	s_delay_alu instid0(VALU_DEP_2) | instskip(NEXT) | instid1(VALU_DEP_1)
	v_lshlrev_b32_e32 v161, 20, v161
	v_or3_b32 v161, v163, v162, v161
.LBB4_3181:                             ;   in Loop: Header=BB4_2981 Depth=3
	s_or_b32 exec_lo, exec_lo, s15
	s_delay_alu instid0(VALU_DEP_1) | instskip(NEXT) | instid1(VALU_DEP_1)
	v_add_f32_e32 v161, v14, v161
	v_and_b32_e32 v14, 0x7f800000, v161
	s_delay_alu instid0(VALU_DEP_1)
	v_cmp_ne_u32_e32 vcc_lo, 0x7f800000, v14
	v_mov_b32_e32 v14, 0x80
	s_and_saveexec_b32 s15, vcc_lo
	s_cbranch_execz .LBB4_3189
; %bb.3182:                             ;   in Loop: Header=BB4_2981 Depth=3
	v_mov_b32_e32 v14, 0
	s_mov_b32 s29, exec_lo
	v_cmpx_ne_u32_e32 0, v161
	s_cbranch_execz .LBB4_3188
; %bb.3183:                             ;   in Loop: Header=BB4_2981 Depth=3
	v_bfe_u32 v14, v161, 23, 8
	s_delay_alu instid0(VALU_DEP_1) | instskip(SKIP_1) | instid1(VALU_DEP_2)
	v_sub_nc_u32_e32 v163, 0x78, v14
	v_cmp_gt_u32_e32 vcc_lo, 0x79, v14
	v_dual_cndmask_b32 v163, 0, v163 :: v_dual_and_b32 v162, 0x7fffff, v161
	s_delay_alu instid0(VALU_DEP_1) | instskip(SKIP_2) | instid1(VALU_DEP_4)
	v_or_b32_e32 v164, 0x800000, v162
	v_cmp_eq_u32_e32 vcc_lo, 0, v14
	v_add_nc_u32_e32 v14, 0xffffff89, v14
	v_cndmask_b32_e64 v163, v163, 0x77, vcc_lo
	s_delay_alu instid0(VALU_DEP_4) | instskip(NEXT) | instid1(VALU_DEP_3)
	v_cndmask_b32_e32 v162, v164, v162, vcc_lo
	v_cndmask_b32_e64 v14, v14, 0xffffff8a, vcc_lo
	s_delay_alu instid0(VALU_DEP_3) | instskip(NEXT) | instid1(VALU_DEP_3)
	v_lshl_add_u32 v164, 0x100000, v163, -1
	v_lshrrev_b32_e32 v165, v163, v162
	v_lshlrev_b32_e64 v167, v163, 0x80000
	s_delay_alu instid0(VALU_DEP_4) | instskip(NEXT) | instid1(VALU_DEP_4)
	v_add_nc_u32_e32 v163, v163, v14
	v_and_b32_e32 v162, v164, v162
	s_delay_alu instid0(VALU_DEP_4) | instskip(NEXT) | instid1(VALU_DEP_2)
	v_bfe_u32 v166, v165, 20, 1
	v_cmp_eq_u32_e64 s14, v162, v167
	s_delay_alu instid0(VALU_DEP_2) | instskip(NEXT) | instid1(VALU_DEP_1)
	v_add_nc_u32_e32 v164, -1, v166
	v_cndmask_b32_e64 v162, 0, v164, s14
	v_lshrrev_b32_e32 v164, 23, v165
	s_mov_b32 s14, exec_lo
	s_delay_alu instid0(VALU_DEP_2) | instskip(NEXT) | instid1(VALU_DEP_2)
	v_add_nc_u32_e32 v162, v162, v165
	v_xor_b32_e32 v164, 1, v164
	s_delay_alu instid0(VALU_DEP_2) | instskip(NEXT) | instid1(VALU_DEP_1)
	v_and_b32_e32 v14, 0xfffff, v162
	v_add_nc_u32_e32 v162, v14, v165
                                        ; implicit-def: $vgpr14
	s_delay_alu instid0(VALU_DEP_3)
	v_cmpx_ne_u32_e64 v163, v164
	s_xor_b32 s14, exec_lo, s14
; %bb.3184:                             ;   in Loop: Header=BB4_2981 Depth=3
	s_delay_alu instid0(VALU_DEP_2) | instskip(SKIP_2) | instid1(VALU_DEP_2)
	v_cmp_lt_u32_e32 vcc_lo, 0xffffff, v162
	v_sub_nc_u32_e32 v14, v163, v164
	v_cndmask_b32_e64 v163, 0, 1, vcc_lo
	v_add_co_ci_u32_e32 v14, vcc_lo, 0, v14, vcc_lo
	s_delay_alu instid0(VALU_DEP_2)
	v_lshrrev_b32_e32 v162, v163, v162
; %bb.3185:                             ;   in Loop: Header=BB4_2981 Depth=3
	s_and_not1_saveexec_b32 s14, s14
; %bb.3186:                             ;   in Loop: Header=BB4_2981 Depth=3
	s_delay_alu instid0(VALU_DEP_1)
	v_bfe_u32 v14, v162, 23, 1
; %bb.3187:                             ;   in Loop: Header=BB4_2981 Depth=3
	s_or_b32 exec_lo, exec_lo, s14
	v_lshrrev_b32_e32 v162, 20, v162
	s_delay_alu instid0(VALU_DEP_2) | instskip(SKIP_2) | instid1(VALU_DEP_2)
	v_cmp_gt_i32_e32 vcc_lo, 16, v14
	v_lshrrev_b32_e32 v161, 24, v161
	v_min_i32_e32 v163, 15, v14
	v_dual_cndmask_b32 v162, 7, v162 :: v_dual_and_b32 v161, 0x80, v161
	s_delay_alu instid0(VALU_DEP_1) | instskip(SKIP_1) | instid1(VALU_DEP_2)
	v_or_b32_e32 v14, v14, v162
	v_and_b32_e32 v164, 7, v162
	v_cmp_ne_u32_e32 vcc_lo, 0, v14
	v_lshlrev_b32_e32 v163, 3, v163
	s_delay_alu instid0(VALU_DEP_1) | instskip(NEXT) | instid1(VALU_DEP_1)
	v_or3_b32 v161, v163, v161, v164
	v_cndmask_b32_e32 v14, 0, v161, vcc_lo
.LBB4_3188:                             ;   in Loop: Header=BB4_2981 Depth=3
	s_or_b32 exec_lo, exec_lo, s29
.LBB4_3189:                             ;   in Loop: Header=BB4_2981 Depth=3
	s_delay_alu instid0(SALU_CYCLE_1) | instskip(SKIP_3) | instid1(VALU_DEP_1)
	s_or_b32 exec_lo, exec_lo, s15
	v_lshrrev_b16 v162, 8, v15
	s_mov_b32 s14, 0
	s_mov_b32 s29, exec_lo
                                        ; implicit-def: $sgpr15
	v_cmpx_lt_i16_e64 0x7f, v162
	s_xor_b32 s29, exec_lo, s29
	s_cbranch_execnz .LBB4_3344
; %bb.3190:                             ;   in Loop: Header=BB4_2981 Depth=3
	s_or_saveexec_b32 s29, s29
	v_mov_b32_e32 v161, s15
	s_xor_b32 exec_lo, exec_lo, s29
	s_cbranch_execnz .LBB4_3347
.LBB4_3191:                             ;   in Loop: Header=BB4_2981 Depth=3
	s_or_b32 exec_lo, exec_lo, s29
	s_and_saveexec_b32 s15, s14
	s_cbranch_execz .LBB4_3193
.LBB4_3192:                             ;   in Loop: Header=BB4_2981 Depth=3
	v_and_b32_e32 v161, 0xffff, v162
	s_delay_alu instid0(VALU_DEP_1) | instskip(NEXT) | instid1(VALU_DEP_1)
	v_and_b32_e32 v163, 7, v161
	v_clz_i32_u32_e32 v164, v163
	s_delay_alu instid0(VALU_DEP_1) | instskip(NEXT) | instid1(VALU_DEP_1)
	v_min_u32_e32 v164, 32, v164
	v_subrev_nc_u32_e32 v165, 28, v164
	v_sub_nc_u32_e32 v164, 29, v164
	s_delay_alu instid0(VALU_DEP_2) | instskip(SKIP_1) | instid1(VALU_DEP_2)
	v_lshlrev_b32_e32 v165, v165, v161
	v_bfe_u32 v161, v161, 3, 4
	v_and_b32_e32 v165, 7, v165
	s_delay_alu instid0(VALU_DEP_2) | instskip(SKIP_1) | instid1(VALU_DEP_1)
	v_cmp_eq_u32_e32 vcc_lo, 0, v161
	v_dual_cndmask_b32 v161, v161, v164 :: v_dual_lshlrev_b32 v162, 24, v162
	v_dual_cndmask_b32 v163, v163, v165 :: v_dual_and_b32 v162, 0x80000000, v162
	s_delay_alu instid0(VALU_DEP_2) | instskip(NEXT) | instid1(VALU_DEP_2)
	v_lshl_add_u32 v161, v161, 23, 0x3b800000
	v_lshlrev_b32_e32 v163, 20, v163
	s_delay_alu instid0(VALU_DEP_1)
	v_or3_b32 v161, v162, v161, v163
.LBB4_3193:                             ;   in Loop: Header=BB4_2981 Depth=3
	s_or_b32 exec_lo, exec_lo, s15
	v_lshrrev_b16 v162, 8, v11
	s_mov_b32 s14, 0
	s_mov_b32 s29, exec_lo
                                        ; implicit-def: $sgpr15
	s_delay_alu instid0(VALU_DEP_1)
	v_cmpx_lt_i16_e64 0x7f, v162
	s_xor_b32 s29, exec_lo, s29
	s_cbranch_execnz .LBB4_3348
; %bb.3194:                             ;   in Loop: Header=BB4_2981 Depth=3
	s_or_saveexec_b32 s29, s29
	v_mov_b32_e32 v163, s15
	s_xor_b32 exec_lo, exec_lo, s29
	s_cbranch_execnz .LBB4_3351
.LBB4_3195:                             ;   in Loop: Header=BB4_2981 Depth=3
	s_or_b32 exec_lo, exec_lo, s29
	s_and_saveexec_b32 s15, s14
	s_cbranch_execz .LBB4_3197
.LBB4_3196:                             ;   in Loop: Header=BB4_2981 Depth=3
	v_and_b32_e32 v163, 0xffff, v162
	v_lshlrev_b32_e32 v162, 24, v162
	s_delay_alu instid0(VALU_DEP_2) | instskip(NEXT) | instid1(VALU_DEP_2)
	v_and_b32_e32 v164, 7, v163
	v_and_b32_e32 v162, 0x80000000, v162
	s_delay_alu instid0(VALU_DEP_2) | instskip(NEXT) | instid1(VALU_DEP_1)
	v_clz_i32_u32_e32 v165, v164
	v_min_u32_e32 v165, 32, v165
	s_delay_alu instid0(VALU_DEP_1) | instskip(SKIP_1) | instid1(VALU_DEP_2)
	v_subrev_nc_u32_e32 v166, 28, v165
	v_sub_nc_u32_e32 v165, 29, v165
	v_lshlrev_b32_e32 v166, v166, v163
	v_bfe_u32 v163, v163, 3, 4
	s_delay_alu instid0(VALU_DEP_2) | instskip(NEXT) | instid1(VALU_DEP_2)
	v_and_b32_e32 v166, 7, v166
	v_cmp_eq_u32_e32 vcc_lo, 0, v163
	s_delay_alu instid0(VALU_DEP_2) | instskip(NEXT) | instid1(VALU_DEP_1)
	v_dual_cndmask_b32 v163, v163, v165 :: v_dual_cndmask_b32 v164, v164, v166
	v_lshl_add_u32 v163, v163, 23, 0x3b800000
	s_delay_alu instid0(VALU_DEP_2) | instskip(NEXT) | instid1(VALU_DEP_1)
	v_lshlrev_b32_e32 v164, 20, v164
	v_or3_b32 v163, v162, v163, v164
.LBB4_3197:                             ;   in Loop: Header=BB4_2981 Depth=3
	s_or_b32 exec_lo, exec_lo, s15
	s_delay_alu instid0(VALU_DEP_1) | instskip(NEXT) | instid1(VALU_DEP_1)
	v_add_f32_e32 v162, v161, v163
	v_and_b32_e32 v161, 0x7f800000, v162
	s_delay_alu instid0(VALU_DEP_1)
	v_cmp_ne_u32_e32 vcc_lo, 0x7f800000, v161
	v_mov_b32_e32 v161, 0x8000
	s_and_saveexec_b32 s15, vcc_lo
	s_cbranch_execz .LBB4_3205
; %bb.3198:                             ;   in Loop: Header=BB4_2981 Depth=3
	v_mov_b32_e32 v161, 0
	s_mov_b32 s29, exec_lo
	v_cmpx_ne_u32_e32 0, v162
	s_cbranch_execz .LBB4_3204
; %bb.3199:                             ;   in Loop: Header=BB4_2981 Depth=3
	v_bfe_u32 v161, v162, 23, 8
	s_delay_alu instid0(VALU_DEP_1) | instskip(SKIP_1) | instid1(VALU_DEP_2)
	v_sub_nc_u32_e32 v164, 0x78, v161
	v_cmp_gt_u32_e32 vcc_lo, 0x79, v161
	v_dual_cndmask_b32 v164, 0, v164 :: v_dual_and_b32 v163, 0x7fffff, v162
	s_delay_alu instid0(VALU_DEP_1) | instskip(SKIP_2) | instid1(VALU_DEP_4)
	v_or_b32_e32 v165, 0x800000, v163
	v_cmp_eq_u32_e32 vcc_lo, 0, v161
	v_add_nc_u32_e32 v161, 0xffffff89, v161
	v_cndmask_b32_e64 v164, v164, 0x77, vcc_lo
	s_delay_alu instid0(VALU_DEP_2) | instskip(SKIP_1) | instid1(VALU_DEP_3)
	v_cndmask_b32_e64 v161, v161, 0xffffff8a, vcc_lo
	v_cndmask_b32_e32 v163, v165, v163, vcc_lo
	v_lshl_add_u32 v165, 0x100000, v164, -1
	v_lshlrev_b32_e64 v176, v164, 0x80000
	s_delay_alu instid0(VALU_DEP_3) | instskip(SKIP_1) | instid1(VALU_DEP_4)
	v_lshrrev_b32_e32 v166, v164, v163
	v_add_nc_u32_e32 v164, v164, v161
	v_and_b32_e32 v163, v165, v163
	s_delay_alu instid0(VALU_DEP_3) | instskip(NEXT) | instid1(VALU_DEP_2)
	v_bfe_u32 v167, v166, 20, 1
	v_cmp_eq_u32_e64 s14, v163, v176
	s_delay_alu instid0(VALU_DEP_2) | instskip(NEXT) | instid1(VALU_DEP_1)
	v_add_nc_u32_e32 v165, -1, v167
	v_cndmask_b32_e64 v163, 0, v165, s14
	v_lshrrev_b32_e32 v165, 23, v166
	s_mov_b32 s14, exec_lo
	s_delay_alu instid0(VALU_DEP_2) | instskip(NEXT) | instid1(VALU_DEP_2)
	v_add_nc_u32_e32 v163, v163, v166
	v_xor_b32_e32 v165, 1, v165
	s_delay_alu instid0(VALU_DEP_2) | instskip(NEXT) | instid1(VALU_DEP_1)
	v_and_b32_e32 v161, 0xfffff, v163
	v_add_nc_u32_e32 v163, v161, v166
                                        ; implicit-def: $vgpr161
	s_delay_alu instid0(VALU_DEP_3)
	v_cmpx_ne_u32_e64 v164, v165
	s_xor_b32 s14, exec_lo, s14
; %bb.3200:                             ;   in Loop: Header=BB4_2981 Depth=3
	s_delay_alu instid0(VALU_DEP_2) | instskip(SKIP_2) | instid1(VALU_DEP_2)
	v_cmp_lt_u32_e32 vcc_lo, 0xffffff, v163
	v_sub_nc_u32_e32 v161, v164, v165
	v_cndmask_b32_e64 v164, 0, 1, vcc_lo
	v_add_co_ci_u32_e32 v161, vcc_lo, 0, v161, vcc_lo
	s_delay_alu instid0(VALU_DEP_2)
	v_lshrrev_b32_e32 v163, v164, v163
; %bb.3201:                             ;   in Loop: Header=BB4_2981 Depth=3
	s_and_not1_saveexec_b32 s14, s14
; %bb.3202:                             ;   in Loop: Header=BB4_2981 Depth=3
	s_delay_alu instid0(VALU_DEP_1)
	v_bfe_u32 v161, v163, 23, 1
; %bb.3203:                             ;   in Loop: Header=BB4_2981 Depth=3
	s_or_b32 exec_lo, exec_lo, s14
	v_lshrrev_b32_e32 v163, 20, v163
	s_delay_alu instid0(VALU_DEP_2) | instskip(SKIP_2) | instid1(VALU_DEP_2)
	v_cmp_gt_i32_e32 vcc_lo, 16, v161
	v_min_i32_e32 v164, 15, v161
	v_lshrrev_b32_e32 v162, 24, v162
	v_dual_cndmask_b32 v163, 7, v163 :: v_dual_lshlrev_b32 v164, 3, v164
	s_delay_alu instid0(VALU_DEP_2) | instskip(NEXT) | instid1(VALU_DEP_2)
	v_and_b32_e32 v162, 0x80, v162
	v_or_b32_e32 v161, v161, v163
	v_and_b32_e32 v165, 7, v163
	s_delay_alu instid0(VALU_DEP_2) | instskip(SKIP_1) | instid1(VALU_DEP_1)
	v_cmp_ne_u32_e32 vcc_lo, 0, v161
	v_and_b32_e32 v164, 0xf8, v164
	v_or3_b32 v162, v162, v164, v165
	s_delay_alu instid0(VALU_DEP_1) | instskip(NEXT) | instid1(VALU_DEP_1)
	v_lshlrev_b32_e32 v162, 8, v162
	v_cndmask_b32_e32 v161, 0, v162, vcc_lo
.LBB4_3204:                             ;   in Loop: Header=BB4_2981 Depth=3
	s_or_b32 exec_lo, exec_lo, s29
.LBB4_3205:                             ;   in Loop: Header=BB4_2981 Depth=3
	s_delay_alu instid0(SALU_CYCLE_1) | instskip(SKIP_3) | instid1(VALU_DEP_1)
	s_or_b32 exec_lo, exec_lo, s15
	v_lshrrev_b32_e32 v163, 16, v15
	s_mov_b32 s14, 0
	s_mov_b32 s29, exec_lo
                                        ; implicit-def: $sgpr15
	v_and_b32_e32 v164, 0xff, v163
	s_delay_alu instid0(VALU_DEP_1)
	v_cmpx_lt_i16_e64 0x7f, v164
	s_xor_b32 s29, exec_lo, s29
	s_cbranch_execnz .LBB4_3352
; %bb.3206:                             ;   in Loop: Header=BB4_2981 Depth=3
	s_or_saveexec_b32 s29, s29
	v_mov_b32_e32 v162, s15
	s_xor_b32 exec_lo, exec_lo, s29
	s_cbranch_execnz .LBB4_3355
.LBB4_3207:                             ;   in Loop: Header=BB4_2981 Depth=3
	s_or_b32 exec_lo, exec_lo, s29
	s_and_saveexec_b32 s15, s14
	s_cbranch_execz .LBB4_3209
.LBB4_3208:                             ;   in Loop: Header=BB4_2981 Depth=3
	v_bfe_u32 v162, v15, 16, 3
	v_lshlrev_b32_e32 v166, 8, v15
	s_delay_alu instid0(VALU_DEP_2) | instskip(NEXT) | instid1(VALU_DEP_1)
	v_clz_i32_u32_e32 v164, v162
	v_min_u32_e32 v164, 32, v164
	s_delay_alu instid0(VALU_DEP_1) | instskip(SKIP_1) | instid1(VALU_DEP_2)
	v_subrev_nc_u32_e32 v165, 28, v164
	v_sub_nc_u32_e32 v164, 29, v164
	v_lshlrev_b32_e32 v163, v165, v163
	v_bfe_u32 v165, v15, 19, 4
	s_delay_alu instid0(VALU_DEP_1) | instskip(NEXT) | instid1(VALU_DEP_3)
	v_cmp_eq_u32_e32 vcc_lo, 0, v165
	v_dual_cndmask_b32 v164, v165, v164 :: v_dual_and_b32 v163, 7, v163
	s_delay_alu instid0(VALU_DEP_1) | instskip(NEXT) | instid1(VALU_DEP_2)
	v_dual_cndmask_b32 v162, v162, v163 :: v_dual_and_b32 v163, 0x80000000, v166
	v_lshl_add_u32 v164, v164, 23, 0x3b800000
	s_delay_alu instid0(VALU_DEP_2) | instskip(NEXT) | instid1(VALU_DEP_1)
	v_lshlrev_b32_e32 v162, 20, v162
	v_or3_b32 v162, v163, v164, v162
.LBB4_3209:                             ;   in Loop: Header=BB4_2981 Depth=3
	s_or_b32 exec_lo, exec_lo, s15
	v_lshrrev_b32_e32 v163, 16, v11
	s_mov_b32 s14, 0
	s_mov_b32 s29, exec_lo
                                        ; implicit-def: $sgpr15
	s_delay_alu instid0(VALU_DEP_1) | instskip(NEXT) | instid1(VALU_DEP_1)
	v_and_b32_e32 v165, 0xff, v163
	v_cmpx_lt_i16_e64 0x7f, v165
	s_xor_b32 s29, exec_lo, s29
	s_cbranch_execnz .LBB4_3356
; %bb.3210:                             ;   in Loop: Header=BB4_2981 Depth=3
	s_or_saveexec_b32 s29, s29
	v_mov_b32_e32 v164, s15
	s_xor_b32 exec_lo, exec_lo, s29
	s_cbranch_execnz .LBB4_3359
.LBB4_3211:                             ;   in Loop: Header=BB4_2981 Depth=3
	s_or_b32 exec_lo, exec_lo, s29
	s_and_saveexec_b32 s15, s14
	s_cbranch_execz .LBB4_3213
.LBB4_3212:                             ;   in Loop: Header=BB4_2981 Depth=3
	v_bfe_u32 v164, v11, 16, 3
	v_lshlrev_b32_e32 v167, 8, v11
	s_delay_alu instid0(VALU_DEP_2) | instskip(NEXT) | instid1(VALU_DEP_1)
	v_clz_i32_u32_e32 v165, v164
	v_min_u32_e32 v165, 32, v165
	s_delay_alu instid0(VALU_DEP_1) | instskip(SKIP_1) | instid1(VALU_DEP_2)
	v_subrev_nc_u32_e32 v166, 28, v165
	v_sub_nc_u32_e32 v165, 29, v165
	v_lshlrev_b32_e32 v163, v166, v163
	v_bfe_u32 v166, v11, 19, 4
	s_delay_alu instid0(VALU_DEP_2) | instskip(NEXT) | instid1(VALU_DEP_2)
	v_and_b32_e32 v163, 7, v163
	v_cmp_eq_u32_e32 vcc_lo, 0, v166
	v_cndmask_b32_e32 v165, v166, v165, vcc_lo
	s_delay_alu instid0(VALU_DEP_3) | instskip(SKIP_1) | instid1(VALU_DEP_3)
	v_cndmask_b32_e32 v163, v164, v163, vcc_lo
	v_and_b32_e32 v164, 0x80000000, v167
	v_lshl_add_u32 v165, v165, 23, 0x3b800000
	s_delay_alu instid0(VALU_DEP_3) | instskip(NEXT) | instid1(VALU_DEP_1)
	v_lshlrev_b32_e32 v163, 20, v163
	v_or3_b32 v164, v164, v165, v163
.LBB4_3213:                             ;   in Loop: Header=BB4_2981 Depth=3
	s_or_b32 exec_lo, exec_lo, s15
	s_delay_alu instid0(VALU_DEP_1) | instskip(NEXT) | instid1(VALU_DEP_1)
	v_add_f32_e32 v163, v162, v164
	v_and_b32_e32 v162, 0x7f800000, v163
	s_delay_alu instid0(VALU_DEP_1)
	v_cmp_ne_u32_e32 vcc_lo, 0x7f800000, v162
	v_mov_b32_e32 v162, 0x80
	s_and_saveexec_b32 s15, vcc_lo
	s_cbranch_execz .LBB4_3221
; %bb.3214:                             ;   in Loop: Header=BB4_2981 Depth=3
	v_mov_b32_e32 v162, 0
	s_mov_b32 s29, exec_lo
	v_cmpx_ne_u32_e32 0, v163
	s_cbranch_execz .LBB4_3220
; %bb.3215:                             ;   in Loop: Header=BB4_2981 Depth=3
	v_bfe_u32 v162, v163, 23, 8
	s_delay_alu instid0(VALU_DEP_1) | instskip(SKIP_1) | instid1(VALU_DEP_2)
	v_sub_nc_u32_e32 v165, 0x78, v162
	v_cmp_gt_u32_e32 vcc_lo, 0x79, v162
	v_dual_cndmask_b32 v165, 0, v165 :: v_dual_and_b32 v164, 0x7fffff, v163
	s_delay_alu instid0(VALU_DEP_1) | instskip(SKIP_2) | instid1(VALU_DEP_4)
	v_or_b32_e32 v166, 0x800000, v164
	v_cmp_eq_u32_e32 vcc_lo, 0, v162
	v_add_nc_u32_e32 v162, 0xffffff89, v162
	v_cndmask_b32_e64 v165, v165, 0x77, vcc_lo
	s_delay_alu instid0(VALU_DEP_2) | instskip(SKIP_1) | instid1(VALU_DEP_3)
	v_cndmask_b32_e64 v162, v162, 0xffffff8a, vcc_lo
	v_cndmask_b32_e32 v164, v166, v164, vcc_lo
	v_lshl_add_u32 v166, 0x100000, v165, -1
	v_lshlrev_b32_e64 v177, v165, 0x80000
	s_delay_alu instid0(VALU_DEP_3) | instskip(SKIP_1) | instid1(VALU_DEP_4)
	v_lshrrev_b32_e32 v167, v165, v164
	v_add_nc_u32_e32 v165, v165, v162
	v_and_b32_e32 v164, v166, v164
	s_delay_alu instid0(VALU_DEP_3) | instskip(NEXT) | instid1(VALU_DEP_2)
	v_bfe_u32 v176, v167, 20, 1
	v_cmp_eq_u32_e64 s14, v164, v177
	s_delay_alu instid0(VALU_DEP_2) | instskip(NEXT) | instid1(VALU_DEP_1)
	v_add_nc_u32_e32 v166, -1, v176
	v_cndmask_b32_e64 v164, 0, v166, s14
	v_lshrrev_b32_e32 v166, 23, v167
	s_mov_b32 s14, exec_lo
	s_delay_alu instid0(VALU_DEP_2) | instskip(NEXT) | instid1(VALU_DEP_2)
	v_add_nc_u32_e32 v164, v164, v167
	v_xor_b32_e32 v166, 1, v166
	s_delay_alu instid0(VALU_DEP_2) | instskip(NEXT) | instid1(VALU_DEP_1)
	v_and_b32_e32 v162, 0xfffff, v164
	v_add_nc_u32_e32 v164, v162, v167
                                        ; implicit-def: $vgpr162
	s_delay_alu instid0(VALU_DEP_3)
	v_cmpx_ne_u32_e64 v165, v166
	s_xor_b32 s14, exec_lo, s14
; %bb.3216:                             ;   in Loop: Header=BB4_2981 Depth=3
	s_delay_alu instid0(VALU_DEP_2) | instskip(SKIP_2) | instid1(VALU_DEP_2)
	v_cmp_lt_u32_e32 vcc_lo, 0xffffff, v164
	v_sub_nc_u32_e32 v162, v165, v166
	v_cndmask_b32_e64 v165, 0, 1, vcc_lo
	v_add_co_ci_u32_e32 v162, vcc_lo, 0, v162, vcc_lo
	s_delay_alu instid0(VALU_DEP_2)
	v_lshrrev_b32_e32 v164, v165, v164
; %bb.3217:                             ;   in Loop: Header=BB4_2981 Depth=3
	s_and_not1_saveexec_b32 s14, s14
; %bb.3218:                             ;   in Loop: Header=BB4_2981 Depth=3
	s_delay_alu instid0(VALU_DEP_1)
	v_bfe_u32 v162, v164, 23, 1
; %bb.3219:                             ;   in Loop: Header=BB4_2981 Depth=3
	s_or_b32 exec_lo, exec_lo, s14
	v_lshrrev_b32_e32 v164, 20, v164
	s_delay_alu instid0(VALU_DEP_2) | instskip(SKIP_2) | instid1(VALU_DEP_2)
	v_cmp_gt_i32_e32 vcc_lo, 16, v162
	v_min_i32_e32 v165, 15, v162
	v_lshrrev_b32_e32 v163, 24, v163
	v_dual_cndmask_b32 v164, 7, v164 :: v_dual_lshlrev_b32 v165, 3, v165
	s_delay_alu instid0(VALU_DEP_2) | instskip(NEXT) | instid1(VALU_DEP_2)
	v_and_b32_e32 v163, 0x80, v163
	v_or_b32_e32 v162, v162, v164
	v_and_b32_e32 v166, 7, v164
	s_delay_alu instid0(VALU_DEP_2) | instskip(SKIP_1) | instid1(VALU_DEP_1)
	v_cmp_ne_u32_e32 vcc_lo, 0, v162
	v_and_b32_e32 v165, 0xf8, v165
	v_or3_b32 v163, v165, v163, v166
	s_delay_alu instid0(VALU_DEP_1)
	v_cndmask_b32_e32 v162, 0, v163, vcc_lo
.LBB4_3220:                             ;   in Loop: Header=BB4_2981 Depth=3
	s_or_b32 exec_lo, exec_lo, s29
.LBB4_3221:                             ;   in Loop: Header=BB4_2981 Depth=3
	s_delay_alu instid0(SALU_CYCLE_1) | instskip(SKIP_3) | instid1(VALU_DEP_1)
	s_or_b32 exec_lo, exec_lo, s15
	v_lshrrev_b32_e32 v164, 24, v15
	s_mov_b32 s14, 0
	s_mov_b32 s29, exec_lo
                                        ; implicit-def: $sgpr15
	v_cmpx_lt_i16_e64 0x7f, v164
	s_xor_b32 s29, exec_lo, s29
	s_cbranch_execnz .LBB4_3360
; %bb.3222:                             ;   in Loop: Header=BB4_2981 Depth=3
	s_or_saveexec_b32 s29, s29
	v_mov_b32_e32 v163, s15
	s_xor_b32 exec_lo, exec_lo, s29
	s_cbranch_execnz .LBB4_3363
.LBB4_3223:                             ;   in Loop: Header=BB4_2981 Depth=3
	s_or_b32 exec_lo, exec_lo, s29
	s_and_saveexec_b32 s15, s14
	s_cbranch_execz .LBB4_3225
.LBB4_3224:                             ;   in Loop: Header=BB4_2981 Depth=3
	v_bfe_u32 v163, v15, 24, 3
	s_delay_alu instid0(VALU_DEP_1) | instskip(NEXT) | instid1(VALU_DEP_1)
	v_clz_i32_u32_e32 v165, v163
	v_min_u32_e32 v165, 32, v165
	s_delay_alu instid0(VALU_DEP_1) | instskip(SKIP_1) | instid1(VALU_DEP_2)
	v_subrev_nc_u32_e32 v166, 28, v165
	v_sub_nc_u32_e32 v165, 29, v165
	v_lshlrev_b32_e32 v164, v166, v164
	v_bfe_u32 v166, v15, 27, 4
	v_and_b32_e32 v15, 0x80000000, v15
	s_delay_alu instid0(VALU_DEP_2) | instskip(NEXT) | instid1(VALU_DEP_4)
	v_cmp_eq_u32_e32 vcc_lo, 0, v166
	v_dual_cndmask_b32 v165, v166, v165 :: v_dual_and_b32 v164, 7, v164
	s_delay_alu instid0(VALU_DEP_1) | instskip(NEXT) | instid1(VALU_DEP_2)
	v_cndmask_b32_e32 v163, v163, v164, vcc_lo
	v_lshl_add_u32 v164, v165, 23, 0x3b800000
	s_delay_alu instid0(VALU_DEP_2) | instskip(NEXT) | instid1(VALU_DEP_1)
	v_lshlrev_b32_e32 v163, 20, v163
	v_or3_b32 v163, v15, v164, v163
.LBB4_3225:                             ;   in Loop: Header=BB4_2981 Depth=3
	s_or_b32 exec_lo, exec_lo, s15
	v_lshrrev_b32_e32 v15, 24, v11
	s_mov_b32 s14, 0
	s_mov_b32 s29, exec_lo
                                        ; implicit-def: $sgpr15
	s_delay_alu instid0(VALU_DEP_1)
	v_cmpx_lt_i16_e32 0x7f, v15
	s_xor_b32 s29, exec_lo, s29
	s_cbranch_execnz .LBB4_3364
; %bb.3226:                             ;   in Loop: Header=BB4_2981 Depth=3
	s_or_saveexec_b32 s29, s29
	v_mov_b32_e32 v164, s15
	s_xor_b32 exec_lo, exec_lo, s29
	s_cbranch_execnz .LBB4_3367
.LBB4_3227:                             ;   in Loop: Header=BB4_2981 Depth=3
	s_or_b32 exec_lo, exec_lo, s29
	s_and_saveexec_b32 s15, s14
	s_cbranch_execz .LBB4_3229
.LBB4_3228:                             ;   in Loop: Header=BB4_2981 Depth=3
	v_bfe_u32 v164, v11, 24, 3
	s_delay_alu instid0(VALU_DEP_1) | instskip(NEXT) | instid1(VALU_DEP_1)
	v_clz_i32_u32_e32 v165, v164
	v_min_u32_e32 v165, 32, v165
	s_delay_alu instid0(VALU_DEP_1) | instskip(SKIP_1) | instid1(VALU_DEP_2)
	v_subrev_nc_u32_e32 v166, 28, v165
	v_sub_nc_u32_e32 v165, 29, v165
	v_lshlrev_b32_e32 v15, v166, v15
	v_bfe_u32 v166, v11, 27, 4
	v_and_b32_e32 v11, 0x80000000, v11
	s_delay_alu instid0(VALU_DEP_3) | instskip(NEXT) | instid1(VALU_DEP_3)
	v_and_b32_e32 v15, 7, v15
	v_cmp_eq_u32_e32 vcc_lo, 0, v166
	v_cndmask_b32_e32 v165, v166, v165, vcc_lo
	s_delay_alu instid0(VALU_DEP_3) | instskip(NEXT) | instid1(VALU_DEP_2)
	v_cndmask_b32_e32 v15, v164, v15, vcc_lo
	v_lshl_add_u32 v164, v165, 23, 0x3b800000
	s_delay_alu instid0(VALU_DEP_2) | instskip(NEXT) | instid1(VALU_DEP_1)
	v_lshlrev_b32_e32 v15, 20, v15
	v_or3_b32 v164, v11, v164, v15
.LBB4_3229:                             ;   in Loop: Header=BB4_2981 Depth=3
	s_or_b32 exec_lo, exec_lo, s15
	s_delay_alu instid0(VALU_DEP_1) | instskip(NEXT) | instid1(VALU_DEP_1)
	v_add_f32_e32 v11, v163, v164
	v_and_b32_e32 v15, 0x7f800000, v11
	s_delay_alu instid0(VALU_DEP_1)
	v_cmp_ne_u32_e32 vcc_lo, 0x7f800000, v15
	v_mov_b32_e32 v15, 0x8000
	s_and_saveexec_b32 s15, vcc_lo
	s_cbranch_execz .LBB4_3237
; %bb.3230:                             ;   in Loop: Header=BB4_2981 Depth=3
	v_mov_b32_e32 v15, 0
	s_mov_b32 s29, exec_lo
	v_cmpx_ne_u32_e32 0, v11
	s_cbranch_execz .LBB4_3236
; %bb.3231:                             ;   in Loop: Header=BB4_2981 Depth=3
	v_bfe_u32 v15, v11, 23, 8
	s_delay_alu instid0(VALU_DEP_1) | instskip(SKIP_1) | instid1(VALU_DEP_2)
	v_sub_nc_u32_e32 v164, 0x78, v15
	v_cmp_gt_u32_e32 vcc_lo, 0x79, v15
	v_dual_cndmask_b32 v164, 0, v164 :: v_dual_and_b32 v163, 0x7fffff, v11
	s_delay_alu instid0(VALU_DEP_1) | instskip(SKIP_2) | instid1(VALU_DEP_4)
	v_or_b32_e32 v165, 0x800000, v163
	v_cmp_eq_u32_e32 vcc_lo, 0, v15
	v_add_nc_u32_e32 v15, 0xffffff89, v15
	v_cndmask_b32_e64 v164, v164, 0x77, vcc_lo
	s_delay_alu instid0(VALU_DEP_4) | instskip(NEXT) | instid1(VALU_DEP_3)
	v_cndmask_b32_e32 v163, v165, v163, vcc_lo
	v_cndmask_b32_e64 v15, v15, 0xffffff8a, vcc_lo
	s_delay_alu instid0(VALU_DEP_3) | instskip(NEXT) | instid1(VALU_DEP_3)
	v_lshl_add_u32 v165, 0x100000, v164, -1
	v_lshrrev_b32_e32 v166, v164, v163
	v_lshlrev_b32_e64 v176, v164, 0x80000
	s_delay_alu instid0(VALU_DEP_4) | instskip(NEXT) | instid1(VALU_DEP_4)
	v_add_nc_u32_e32 v164, v164, v15
	v_and_b32_e32 v163, v165, v163
	s_delay_alu instid0(VALU_DEP_4) | instskip(NEXT) | instid1(VALU_DEP_2)
	v_bfe_u32 v167, v166, 20, 1
	v_cmp_eq_u32_e64 s14, v163, v176
	s_delay_alu instid0(VALU_DEP_2) | instskip(NEXT) | instid1(VALU_DEP_1)
	v_add_nc_u32_e32 v165, -1, v167
	v_cndmask_b32_e64 v163, 0, v165, s14
	v_lshrrev_b32_e32 v165, 23, v166
	s_mov_b32 s14, exec_lo
	s_delay_alu instid0(VALU_DEP_2) | instskip(NEXT) | instid1(VALU_DEP_2)
	v_add_nc_u32_e32 v163, v163, v166
	v_xor_b32_e32 v165, 1, v165
	s_delay_alu instid0(VALU_DEP_2) | instskip(NEXT) | instid1(VALU_DEP_1)
	v_and_b32_e32 v15, 0xfffff, v163
	v_add_nc_u32_e32 v163, v15, v166
                                        ; implicit-def: $vgpr15
	s_delay_alu instid0(VALU_DEP_3)
	v_cmpx_ne_u32_e64 v164, v165
	s_xor_b32 s14, exec_lo, s14
; %bb.3232:                             ;   in Loop: Header=BB4_2981 Depth=3
	s_delay_alu instid0(VALU_DEP_2) | instskip(SKIP_2) | instid1(VALU_DEP_2)
	v_cmp_lt_u32_e32 vcc_lo, 0xffffff, v163
	v_sub_nc_u32_e32 v15, v164, v165
	v_cndmask_b32_e64 v164, 0, 1, vcc_lo
	v_add_co_ci_u32_e32 v15, vcc_lo, 0, v15, vcc_lo
	s_delay_alu instid0(VALU_DEP_2)
	v_lshrrev_b32_e32 v163, v164, v163
; %bb.3233:                             ;   in Loop: Header=BB4_2981 Depth=3
	s_and_not1_saveexec_b32 s14, s14
; %bb.3234:                             ;   in Loop: Header=BB4_2981 Depth=3
	s_delay_alu instid0(VALU_DEP_1)
	v_bfe_u32 v15, v163, 23, 1
; %bb.3235:                             ;   in Loop: Header=BB4_2981 Depth=3
	s_or_b32 exec_lo, exec_lo, s14
	v_lshrrev_b32_e32 v163, 20, v163
	s_delay_alu instid0(VALU_DEP_2) | instskip(SKIP_2) | instid1(VALU_DEP_2)
	v_cmp_gt_i32_e32 vcc_lo, 16, v15
	v_min_i32_e32 v164, 15, v15
	v_lshrrev_b32_e32 v11, 24, v11
	v_dual_cndmask_b32 v163, 7, v163 :: v_dual_lshlrev_b32 v164, 3, v164
	s_delay_alu instid0(VALU_DEP_2) | instskip(NEXT) | instid1(VALU_DEP_2)
	v_and_b32_e32 v11, 0x80, v11
	v_or_b32_e32 v15, v15, v163
	v_and_b32_e32 v165, 7, v163
	s_delay_alu instid0(VALU_DEP_2) | instskip(SKIP_1) | instid1(VALU_DEP_1)
	v_cmp_ne_u32_e32 vcc_lo, 0, v15
	v_and_b32_e32 v164, 0xf8, v164
	v_or3_b32 v11, v11, v164, v165
	s_delay_alu instid0(VALU_DEP_1) | instskip(NEXT) | instid1(VALU_DEP_1)
	v_lshlrev_b32_e32 v11, 8, v11
	v_cndmask_b32_e32 v15, 0, v11, vcc_lo
.LBB4_3236:                             ;   in Loop: Header=BB4_2981 Depth=3
	s_or_b32 exec_lo, exec_lo, s29
.LBB4_3237:                             ;   in Loop: Header=BB4_2981 Depth=3
	s_delay_alu instid0(SALU_CYCLE_1)
	s_or_b32 exec_lo, exec_lo, s15
	v_or_b32_e32 v9, v9, v150
	v_and_b32_e32 v11, 0xff, v85
	v_lshlrev_b32_e32 v84, 8, v84
	v_and_b32_e32 v85, 0xff, v160
	v_lshlrev_b32_e32 v150, 8, v151
	v_or_b32_e32 v15, v15, v162
	v_and_b32_e32 v12, 0xff, v12
	v_lshlrev_b32_e32 v8, 24, v8
	v_lshlrev_b32_e32 v9, 16, v9
	;; [unrolled: 1-line block ×3, first 2 shown]
	v_perm_b32 v83, v84, v83, 0xc0c0500
	v_lshlrev_b32_e32 v10, 24, v10
	v_lshlrev_b32_e32 v84, 16, v85
	v_perm_b32 v13, v150, v13, 0xc0c0500
	v_and_b32_e32 v14, 0xff, v14
	v_lshlrev_b32_e32 v15, 16, v15
	v_or3_b32 v9, v149, v12, v9
	v_or3_b32 v8, v8, v11, v83
	;; [unrolled: 1-line block ×3, first 2 shown]
	s_mov_b64 s[14:15], 0
	v_or3_b32 v11, v161, v14, v15
	s_mov_b32 s29, -1
.LBB4_3238:                             ;   Parent Loop BB4_51 Depth=1
                                        ;     Parent Loop BB4_2119 Depth=2
                                        ;       Parent Loop BB4_2981 Depth=3
                                        ; =>      This Inner Loop Header: Depth=4
	s_cmp_eq_u32 s14, 0
	v_cndmask_b32_e64 v14, 0, 1, s29
	s_cselect_b32 vcc_lo, -1, 0
	s_cmp_eq_u32 s14, 1
	s_mov_b32 s29, 0
	s_cselect_b32 s14, -1, 0
	s_delay_alu instid0(SALU_CYCLE_1) | instskip(SKIP_1) | instid1(VALU_DEP_2)
	v_cndmask_b32_e64 v12, v16, v18, s14
	v_cndmask_b32_e64 v13, v17, v19, s14
	v_add_co_u32 v15, s15, 0x200, v12
	s_delay_alu instid0(VALU_DEP_1) | instskip(SKIP_1) | instid1(VALU_DEP_3)
	v_add_co_ci_u32_e64 v83, s15, 0, v13, s15
	v_cmp_ne_u32_e64 s15, 1, v14
	v_cndmask_b32_e64 v18, v18, v15, s14
	v_cndmask_b32_e32 v16, v16, v15, vcc_lo
	s_delay_alu instid0(VALU_DEP_4)
	v_cndmask_b32_e64 v19, v19, v83, s14
	v_cndmask_b32_e32 v17, v17, v83, vcc_lo
	s_and_b32 vcc_lo, exec_lo, s15
	s_mov_b64 s[14:15], 1
	global_store_b128 v[12:13], v[8:11], off glc slc dlc
	s_cbranch_vccz .LBB4_3238
; %bb.3239:                             ;   in Loop: Header=BB4_2981 Depth=3
	v_add_co_u32 v20, vcc_lo, v20, v117
	v_add_co_ci_u32_e32 v21, vcc_lo, v21, v118, vcc_lo
	v_add_co_u32 v22, vcc_lo, v22, v117
	v_sub_nc_u32_e32 v82, v82, v101
	v_add_co_ci_u32_e32 v23, vcc_lo, v23, v118, vcc_lo
	v_add_co_u32 v16, vcc_lo, v16, v103
	v_add_co_ci_u32_e32 v17, vcc_lo, v17, v115, vcc_lo
	s_delay_alu instid0(VALU_DEP_4) | instskip(SKIP_1) | instid1(VALU_DEP_1)
	v_cmp_gt_i32_e32 vcc_lo, 16, v82
	v_add_co_u32 v18, s14, v18, v103
	v_add_co_ci_u32_e64 v19, s14, v19, v115, s14
	v_sub_nc_u32_e32 v81, v81, v97
	s_or_b32 s30, vcc_lo, s30
	s_delay_alu instid0(SALU_CYCLE_1)
	s_and_not1_b32 exec_lo, exec_lo, s30
	s_cbranch_execnz .LBB4_2981
	s_branch .LBB4_3368
.LBB4_3240:                             ;   in Loop: Header=BB4_2981 Depth=3
	s_mov_b32 s14, -1
	s_mov_b32 s31, exec_lo
                                        ; implicit-def: $sgpr15
	v_cmpx_eq_u16_e32 0x80, v84
; %bb.3241:                             ;   in Loop: Header=BB4_2981 Depth=3
	s_mov_b32 s15, 0x7f800001
	s_xor_b32 s14, exec_lo, -1
; %bb.3242:                             ;   in Loop: Header=BB4_2981 Depth=3
	s_or_b32 exec_lo, exec_lo, s31
	s_delay_alu instid0(SALU_CYCLE_1)
	s_and_b32 s14, s14, exec_lo
                                        ; implicit-def: $vgpr84
	s_or_saveexec_b32 s29, s29
	v_mov_b32_e32 v83, s15
	s_xor_b32 exec_lo, exec_lo, s29
	s_cbranch_execz .LBB4_2983
.LBB4_3243:                             ;   in Loop: Header=BB4_2981 Depth=3
	v_cmp_ne_u16_e32 vcc_lo, 0, v84
	v_mov_b32_e32 v83, 0
	s_and_not1_b32 s14, s14, exec_lo
	s_and_b32 s15, vcc_lo, exec_lo
	s_delay_alu instid0(SALU_CYCLE_1)
	s_or_b32 s14, s14, s15
	s_or_b32 exec_lo, exec_lo, s29
	s_and_saveexec_b32 s15, s14
	s_cbranch_execnz .LBB4_2984
	s_branch .LBB4_2985
.LBB4_3244:                             ;   in Loop: Header=BB4_2981 Depth=3
	s_mov_b32 s14, -1
	s_mov_b32 s31, exec_lo
                                        ; implicit-def: $sgpr15
	v_cmpx_eq_u16_e32 0x80, v85
; %bb.3245:                             ;   in Loop: Header=BB4_2981 Depth=3
	s_mov_b32 s15, 0x7f800001
	s_xor_b32 s14, exec_lo, -1
; %bb.3246:                             ;   in Loop: Header=BB4_2981 Depth=3
	s_or_b32 exec_lo, exec_lo, s31
	s_delay_alu instid0(SALU_CYCLE_1)
	s_and_b32 s14, s14, exec_lo
                                        ; implicit-def: $vgpr85
	s_or_saveexec_b32 s29, s29
	v_mov_b32_e32 v84, s15
	s_xor_b32 exec_lo, exec_lo, s29
	s_cbranch_execz .LBB4_2987
.LBB4_3247:                             ;   in Loop: Header=BB4_2981 Depth=3
	v_cmp_ne_u16_e32 vcc_lo, 0, v85
	v_mov_b32_e32 v84, 0
	s_and_not1_b32 s14, s14, exec_lo
	s_and_b32 s15, vcc_lo, exec_lo
	s_delay_alu instid0(SALU_CYCLE_1)
	s_or_b32 s14, s14, s15
	s_or_b32 exec_lo, exec_lo, s29
	s_and_saveexec_b32 s15, s14
	s_cbranch_execnz .LBB4_2988
	s_branch .LBB4_2989
.LBB4_3248:                             ;   in Loop: Header=BB4_2981 Depth=3
	s_mov_b32 s14, -1
	s_mov_b32 s31, exec_lo
                                        ; implicit-def: $sgpr15
	v_cmpx_eq_u16_e32 0x80, v85
; %bb.3249:                             ;   in Loop: Header=BB4_2981 Depth=3
	s_mov_b32 s15, 0x7f800001
	s_xor_b32 s14, exec_lo, -1
; %bb.3250:                             ;   in Loop: Header=BB4_2981 Depth=3
	s_or_b32 exec_lo, exec_lo, s31
	s_delay_alu instid0(SALU_CYCLE_1)
	s_and_b32 s14, s14, exec_lo
	s_or_saveexec_b32 s29, s29
	v_mov_b32_e32 v84, s15
	s_xor_b32 exec_lo, exec_lo, s29
	s_cbranch_execz .LBB4_2999
.LBB4_3251:                             ;   in Loop: Header=BB4_2981 Depth=3
	v_cmp_ne_u16_e32 vcc_lo, 0, v85
	v_mov_b32_e32 v84, 0
	s_and_not1_b32 s14, s14, exec_lo
	s_and_b32 s15, vcc_lo, exec_lo
	s_delay_alu instid0(SALU_CYCLE_1)
	s_or_b32 s14, s14, s15
	s_or_b32 exec_lo, exec_lo, s29
	s_and_saveexec_b32 s15, s14
	s_cbranch_execnz .LBB4_3000
	s_branch .LBB4_3001
.LBB4_3252:                             ;   in Loop: Header=BB4_2981 Depth=3
	s_mov_b32 s14, -1
	s_mov_b32 s31, exec_lo
                                        ; implicit-def: $sgpr15
	v_cmpx_eq_u16_e32 0x80, v85
; %bb.3253:                             ;   in Loop: Header=BB4_2981 Depth=3
	s_mov_b32 s15, 0x7f800001
	s_xor_b32 s14, exec_lo, -1
; %bb.3254:                             ;   in Loop: Header=BB4_2981 Depth=3
	s_or_b32 exec_lo, exec_lo, s31
	s_delay_alu instid0(SALU_CYCLE_1)
	s_and_b32 s14, s14, exec_lo
	s_or_saveexec_b32 s29, s29
	v_mov_b32_e32 v149, s15
	s_xor_b32 exec_lo, exec_lo, s29
	s_cbranch_execz .LBB4_3003
.LBB4_3255:                             ;   in Loop: Header=BB4_2981 Depth=3
	v_cmp_ne_u16_e32 vcc_lo, 0, v85
	v_mov_b32_e32 v149, 0
	s_and_not1_b32 s14, s14, exec_lo
	s_and_b32 s15, vcc_lo, exec_lo
	s_delay_alu instid0(SALU_CYCLE_1)
	s_or_b32 s14, s14, s15
	s_or_b32 exec_lo, exec_lo, s29
	s_and_saveexec_b32 s15, s14
	s_cbranch_execnz .LBB4_3004
	s_branch .LBB4_3005
.LBB4_3256:                             ;   in Loop: Header=BB4_2981 Depth=3
	s_mov_b32 s14, -1
	s_mov_b32 s31, exec_lo
                                        ; implicit-def: $sgpr15
	v_cmpx_eq_u16_e64 0x80, v150
; %bb.3257:                             ;   in Loop: Header=BB4_2981 Depth=3
	s_mov_b32 s15, 0x7f800001
	s_xor_b32 s14, exec_lo, -1
; %bb.3258:                             ;   in Loop: Header=BB4_2981 Depth=3
	s_or_b32 exec_lo, exec_lo, s31
	s_delay_alu instid0(SALU_CYCLE_1)
	s_and_b32 s14, s14, exec_lo
                                        ; implicit-def: $vgpr150
	s_or_saveexec_b32 s29, s29
	v_mov_b32_e32 v85, s15
	s_xor_b32 exec_lo, exec_lo, s29
	s_cbranch_execz .LBB4_3015
.LBB4_3259:                             ;   in Loop: Header=BB4_2981 Depth=3
	v_cmp_ne_u16_e64 vcc_lo, 0, v150
	v_mov_b32_e32 v85, 0
	s_and_not1_b32 s14, s14, exec_lo
	s_delay_alu instid0(VALU_DEP_2) | instskip(NEXT) | instid1(SALU_CYCLE_1)
	s_and_b32 s15, vcc_lo, exec_lo
	s_or_b32 s14, s14, s15
	s_or_b32 exec_lo, exec_lo, s29
	s_and_saveexec_b32 s15, s14
	s_cbranch_execnz .LBB4_3016
	s_branch .LBB4_3017
.LBB4_3260:                             ;   in Loop: Header=BB4_2981 Depth=3
	s_mov_b32 s14, -1
	s_mov_b32 s31, exec_lo
                                        ; implicit-def: $sgpr15
	v_cmpx_eq_u16_e64 0x80, v151
; %bb.3261:                             ;   in Loop: Header=BB4_2981 Depth=3
	s_mov_b32 s15, 0x7f800001
	s_xor_b32 s14, exec_lo, -1
; %bb.3262:                             ;   in Loop: Header=BB4_2981 Depth=3
	s_or_b32 exec_lo, exec_lo, s31
	s_delay_alu instid0(SALU_CYCLE_1)
	s_and_b32 s14, s14, exec_lo
                                        ; implicit-def: $vgpr151
	s_or_saveexec_b32 s29, s29
	v_mov_b32_e32 v150, s15
	s_xor_b32 exec_lo, exec_lo, s29
	s_cbranch_execz .LBB4_3019
.LBB4_3263:                             ;   in Loop: Header=BB4_2981 Depth=3
	v_cmp_ne_u16_e64 vcc_lo, 0, v151
	v_mov_b32_e32 v150, 0
	s_and_not1_b32 s14, s14, exec_lo
	s_delay_alu instid0(VALU_DEP_2) | instskip(NEXT) | instid1(SALU_CYCLE_1)
	s_and_b32 s15, vcc_lo, exec_lo
	s_or_b32 s14, s14, s15
	s_or_b32 exec_lo, exec_lo, s29
	s_and_saveexec_b32 s15, s14
	s_cbranch_execnz .LBB4_3020
	s_branch .LBB4_3021
.LBB4_3264:                             ;   in Loop: Header=BB4_2981 Depth=3
	s_mov_b32 s14, -1
	s_mov_b32 s31, exec_lo
                                        ; implicit-def: $sgpr15
	v_cmpx_eq_u16_e64 0x80, v150
; %bb.3265:                             ;   in Loop: Header=BB4_2981 Depth=3
	s_mov_b32 s15, 0x7f800001
	s_xor_b32 s14, exec_lo, -1
; %bb.3266:                             ;   in Loop: Header=BB4_2981 Depth=3
	s_or_b32 exec_lo, exec_lo, s31
	s_delay_alu instid0(SALU_CYCLE_1)
	s_and_b32 s14, s14, exec_lo
	s_or_saveexec_b32 s29, s29
	v_mov_b32_e32 v149, s15
	s_xor_b32 exec_lo, exec_lo, s29
	s_cbranch_execz .LBB4_3031
.LBB4_3267:                             ;   in Loop: Header=BB4_2981 Depth=3
	v_cmp_ne_u16_e64 vcc_lo, 0, v150
	v_mov_b32_e32 v149, 0
	s_and_not1_b32 s14, s14, exec_lo
	s_delay_alu instid0(VALU_DEP_2) | instskip(NEXT) | instid1(SALU_CYCLE_1)
	s_and_b32 s15, vcc_lo, exec_lo
	s_or_b32 s14, s14, s15
	s_or_b32 exec_lo, exec_lo, s29
	s_and_saveexec_b32 s15, s14
	s_cbranch_execnz .LBB4_3032
	s_branch .LBB4_3033
.LBB4_3268:                             ;   in Loop: Header=BB4_2981 Depth=3
	s_mov_b32 s14, -1
	s_mov_b32 s31, exec_lo
                                        ; implicit-def: $sgpr15
	v_cmpx_eq_u16_e32 0x80, v12
; %bb.3269:                             ;   in Loop: Header=BB4_2981 Depth=3
	s_mov_b32 s15, 0x7f800001
	s_xor_b32 s14, exec_lo, -1
; %bb.3270:                             ;   in Loop: Header=BB4_2981 Depth=3
	s_or_b32 exec_lo, exec_lo, s31
	s_delay_alu instid0(SALU_CYCLE_1)
	s_and_b32 s14, s14, exec_lo
	s_or_saveexec_b32 s29, s29
	v_mov_b32_e32 v150, s15
	s_xor_b32 exec_lo, exec_lo, s29
	s_cbranch_execz .LBB4_3035
.LBB4_3271:                             ;   in Loop: Header=BB4_2981 Depth=3
	v_cmp_ne_u16_e32 vcc_lo, 0, v12
	v_mov_b32_e32 v150, 0
	s_and_not1_b32 s14, s14, exec_lo
	s_and_b32 s15, vcc_lo, exec_lo
	s_delay_alu instid0(SALU_CYCLE_1)
	s_or_b32 s14, s14, s15
	s_or_b32 exec_lo, exec_lo, s29
	s_and_saveexec_b32 s15, s14
	s_cbranch_execnz .LBB4_3036
	s_branch .LBB4_3037
.LBB4_3272:                             ;   in Loop: Header=BB4_2981 Depth=3
	s_mov_b32 s14, -1
	s_mov_b32 s31, exec_lo
                                        ; implicit-def: $sgpr15
	v_cmpx_eq_u16_e64 0x80, v149
; %bb.3273:                             ;   in Loop: Header=BB4_2981 Depth=3
	s_mov_b32 s15, 0x7f800001
	s_xor_b32 s14, exec_lo, -1
; %bb.3274:                             ;   in Loop: Header=BB4_2981 Depth=3
	s_or_b32 exec_lo, exec_lo, s31
	s_delay_alu instid0(SALU_CYCLE_1)
	s_and_b32 s14, s14, exec_lo
                                        ; implicit-def: $vgpr149
	s_or_saveexec_b32 s29, s29
	v_mov_b32_e32 v12, s15
	s_xor_b32 exec_lo, exec_lo, s29
	s_cbranch_execz .LBB4_3047
.LBB4_3275:                             ;   in Loop: Header=BB4_2981 Depth=3
	v_cmp_ne_u16_e64 vcc_lo, 0, v149
	v_mov_b32_e32 v12, 0
	s_and_not1_b32 s14, s14, exec_lo
	s_delay_alu instid0(VALU_DEP_2) | instskip(NEXT) | instid1(SALU_CYCLE_1)
	s_and_b32 s15, vcc_lo, exec_lo
	s_or_b32 s14, s14, s15
	s_or_b32 exec_lo, exec_lo, s29
	s_and_saveexec_b32 s15, s14
	s_cbranch_execnz .LBB4_3048
	s_branch .LBB4_3049
.LBB4_3276:                             ;   in Loop: Header=BB4_2981 Depth=3
	s_mov_b32 s14, -1
	s_mov_b32 s31, exec_lo
                                        ; implicit-def: $sgpr15
	v_cmpx_eq_u16_e64 0x80, v150
; %bb.3277:                             ;   in Loop: Header=BB4_2981 Depth=3
	s_mov_b32 s15, 0x7f800001
	s_xor_b32 s14, exec_lo, -1
; %bb.3278:                             ;   in Loop: Header=BB4_2981 Depth=3
	s_or_b32 exec_lo, exec_lo, s31
	s_delay_alu instid0(SALU_CYCLE_1)
	s_and_b32 s14, s14, exec_lo
                                        ; implicit-def: $vgpr150
	s_or_saveexec_b32 s29, s29
	v_mov_b32_e32 v149, s15
	s_xor_b32 exec_lo, exec_lo, s29
	s_cbranch_execz .LBB4_3051
.LBB4_3279:                             ;   in Loop: Header=BB4_2981 Depth=3
	v_cmp_ne_u16_e64 vcc_lo, 0, v150
	v_mov_b32_e32 v149, 0
	s_and_not1_b32 s14, s14, exec_lo
	s_delay_alu instid0(VALU_DEP_2) | instskip(NEXT) | instid1(SALU_CYCLE_1)
	s_and_b32 s15, vcc_lo, exec_lo
	s_or_b32 s14, s14, s15
	s_or_b32 exec_lo, exec_lo, s29
	s_and_saveexec_b32 s15, s14
	s_cbranch_execnz .LBB4_3052
	s_branch .LBB4_3053
.LBB4_3280:                             ;   in Loop: Header=BB4_2981 Depth=3
	s_mov_b32 s14, -1
	s_mov_b32 s31, exec_lo
                                        ; implicit-def: $sgpr15
	v_cmpx_eq_u16_e64 0x80, v150
; %bb.3281:                             ;   in Loop: Header=BB4_2981 Depth=3
	s_mov_b32 s15, 0x7f800001
	s_xor_b32 s14, exec_lo, -1
; %bb.3282:                             ;   in Loop: Header=BB4_2981 Depth=3
	s_or_b32 exec_lo, exec_lo, s31
	s_delay_alu instid0(SALU_CYCLE_1)
	s_and_b32 s14, s14, exec_lo
	s_or_saveexec_b32 s29, s29
	v_mov_b32_e32 v149, s15
	s_xor_b32 exec_lo, exec_lo, s29
	s_cbranch_execz .LBB4_3063
.LBB4_3283:                             ;   in Loop: Header=BB4_2981 Depth=3
	v_cmp_ne_u16_e64 vcc_lo, 0, v150
	v_mov_b32_e32 v149, 0
	s_and_not1_b32 s14, s14, exec_lo
	s_delay_alu instid0(VALU_DEP_2) | instskip(NEXT) | instid1(SALU_CYCLE_1)
	s_and_b32 s15, vcc_lo, exec_lo
	s_or_b32 s14, s14, s15
	s_or_b32 exec_lo, exec_lo, s29
	s_and_saveexec_b32 s15, s14
	s_cbranch_execnz .LBB4_3064
	s_branch .LBB4_3065
.LBB4_3284:                             ;   in Loop: Header=BB4_2981 Depth=3
	s_mov_b32 s14, -1
	s_mov_b32 s31, exec_lo
                                        ; implicit-def: $sgpr15
	v_cmpx_eq_u16_e64 0x80, v150
; %bb.3285:                             ;   in Loop: Header=BB4_2981 Depth=3
	s_mov_b32 s15, 0x7f800001
	s_xor_b32 s14, exec_lo, -1
; %bb.3286:                             ;   in Loop: Header=BB4_2981 Depth=3
	s_or_b32 exec_lo, exec_lo, s31
	s_delay_alu instid0(SALU_CYCLE_1)
	s_and_b32 s14, s14, exec_lo
	s_or_saveexec_b32 s29, s29
	v_mov_b32_e32 v151, s15
	s_xor_b32 exec_lo, exec_lo, s29
	s_cbranch_execz .LBB4_3067
.LBB4_3287:                             ;   in Loop: Header=BB4_2981 Depth=3
	v_cmp_ne_u16_e64 vcc_lo, 0, v150
	v_mov_b32_e32 v151, 0
	s_and_not1_b32 s14, s14, exec_lo
	s_delay_alu instid0(VALU_DEP_2) | instskip(NEXT) | instid1(SALU_CYCLE_1)
	s_and_b32 s15, vcc_lo, exec_lo
	s_or_b32 s14, s14, s15
	s_or_b32 exec_lo, exec_lo, s29
	s_and_saveexec_b32 s15, s14
	s_cbranch_execnz .LBB4_3068
	s_branch .LBB4_3069
.LBB4_3288:                             ;   in Loop: Header=BB4_2981 Depth=3
	s_mov_b32 s14, -1
	s_mov_b32 s31, exec_lo
                                        ; implicit-def: $sgpr15
	v_cmpx_eq_u16_e64 0x80, v160
; %bb.3289:                             ;   in Loop: Header=BB4_2981 Depth=3
	s_mov_b32 s15, 0x7f800001
	s_xor_b32 s14, exec_lo, -1
; %bb.3290:                             ;   in Loop: Header=BB4_2981 Depth=3
	s_or_b32 exec_lo, exec_lo, s31
	s_delay_alu instid0(SALU_CYCLE_1)
	s_and_b32 s14, s14, exec_lo
                                        ; implicit-def: $vgpr160
	s_or_saveexec_b32 s29, s29
	v_mov_b32_e32 v150, s15
	s_xor_b32 exec_lo, exec_lo, s29
	s_cbranch_execz .LBB4_3079
.LBB4_3291:                             ;   in Loop: Header=BB4_2981 Depth=3
	v_cmp_ne_u16_e64 vcc_lo, 0, v160
	v_mov_b32_e32 v150, 0
	s_and_not1_b32 s14, s14, exec_lo
	s_delay_alu instid0(VALU_DEP_2) | instskip(NEXT) | instid1(SALU_CYCLE_1)
	s_and_b32 s15, vcc_lo, exec_lo
	s_or_b32 s14, s14, s15
	s_or_b32 exec_lo, exec_lo, s29
	s_and_saveexec_b32 s15, s14
	s_cbranch_execnz .LBB4_3080
	s_branch .LBB4_3081
.LBB4_3292:                             ;   in Loop: Header=BB4_2981 Depth=3
	s_mov_b32 s14, -1
	s_mov_b32 s31, exec_lo
                                        ; implicit-def: $sgpr15
	v_cmpx_eq_u16_e64 0x80, v161
; %bb.3293:                             ;   in Loop: Header=BB4_2981 Depth=3
	s_mov_b32 s15, 0x7f800001
	s_xor_b32 s14, exec_lo, -1
; %bb.3294:                             ;   in Loop: Header=BB4_2981 Depth=3
	s_or_b32 exec_lo, exec_lo, s31
	s_delay_alu instid0(SALU_CYCLE_1)
	s_and_b32 s14, s14, exec_lo
                                        ; implicit-def: $vgpr161
	s_or_saveexec_b32 s29, s29
	v_mov_b32_e32 v160, s15
	s_xor_b32 exec_lo, exec_lo, s29
	s_cbranch_execz .LBB4_3083
.LBB4_3295:                             ;   in Loop: Header=BB4_2981 Depth=3
	v_cmp_ne_u16_e64 vcc_lo, 0, v161
	v_mov_b32_e32 v160, 0
	s_and_not1_b32 s14, s14, exec_lo
	s_delay_alu instid0(VALU_DEP_2) | instskip(NEXT) | instid1(SALU_CYCLE_1)
	s_and_b32 s15, vcc_lo, exec_lo
	s_or_b32 s14, s14, s15
	s_or_b32 exec_lo, exec_lo, s29
	s_and_saveexec_b32 s15, s14
	s_cbranch_execnz .LBB4_3084
	s_branch .LBB4_3085
.LBB4_3296:                             ;   in Loop: Header=BB4_2981 Depth=3
	s_mov_b32 s14, -1
	s_mov_b32 s31, exec_lo
                                        ; implicit-def: $sgpr15
	v_cmpx_eq_u16_e64 0x80, v160
; %bb.3297:                             ;   in Loop: Header=BB4_2981 Depth=3
	s_mov_b32 s15, 0x7f800001
	s_xor_b32 s14, exec_lo, -1
; %bb.3298:                             ;   in Loop: Header=BB4_2981 Depth=3
	s_or_b32 exec_lo, exec_lo, s31
	s_delay_alu instid0(SALU_CYCLE_1)
	s_and_b32 s14, s14, exec_lo
	s_or_saveexec_b32 s29, s29
	v_mov_b32_e32 v151, s15
	s_xor_b32 exec_lo, exec_lo, s29
	s_cbranch_execz .LBB4_3095
.LBB4_3299:                             ;   in Loop: Header=BB4_2981 Depth=3
	v_cmp_ne_u16_e64 vcc_lo, 0, v160
	v_mov_b32_e32 v151, 0
	s_and_not1_b32 s14, s14, exec_lo
	s_delay_alu instid0(VALU_DEP_2) | instskip(NEXT) | instid1(SALU_CYCLE_1)
	s_and_b32 s15, vcc_lo, exec_lo
	s_or_b32 s14, s14, s15
	s_or_b32 exec_lo, exec_lo, s29
	s_and_saveexec_b32 s15, s14
	s_cbranch_execnz .LBB4_3096
	s_branch .LBB4_3097
.LBB4_3300:                             ;   in Loop: Header=BB4_2981 Depth=3
	s_mov_b32 s14, -1
	s_mov_b32 s31, exec_lo
                                        ; implicit-def: $sgpr15
	v_cmpx_eq_u16_e32 0x80, v13
; %bb.3301:                             ;   in Loop: Header=BB4_2981 Depth=3
	s_mov_b32 s15, 0x7f800001
	s_xor_b32 s14, exec_lo, -1
; %bb.3302:                             ;   in Loop: Header=BB4_2981 Depth=3
	s_or_b32 exec_lo, exec_lo, s31
	s_delay_alu instid0(SALU_CYCLE_1)
	s_and_b32 s14, s14, exec_lo
	s_or_saveexec_b32 s29, s29
	v_mov_b32_e32 v160, s15
	s_xor_b32 exec_lo, exec_lo, s29
	s_cbranch_execz .LBB4_3099
.LBB4_3303:                             ;   in Loop: Header=BB4_2981 Depth=3
	v_cmp_ne_u16_e32 vcc_lo, 0, v13
	v_mov_b32_e32 v160, 0
	s_and_not1_b32 s14, s14, exec_lo
	s_and_b32 s15, vcc_lo, exec_lo
	s_delay_alu instid0(SALU_CYCLE_1)
	s_or_b32 s14, s14, s15
	s_or_b32 exec_lo, exec_lo, s29
	s_and_saveexec_b32 s15, s14
	s_cbranch_execnz .LBB4_3100
	s_branch .LBB4_3101
.LBB4_3304:                             ;   in Loop: Header=BB4_2981 Depth=3
	s_mov_b32 s14, -1
	s_mov_b32 s31, exec_lo
                                        ; implicit-def: $sgpr15
	v_cmpx_eq_u16_e64 0x80, v151
; %bb.3305:                             ;   in Loop: Header=BB4_2981 Depth=3
	s_mov_b32 s15, 0x7f800001
	s_xor_b32 s14, exec_lo, -1
; %bb.3306:                             ;   in Loop: Header=BB4_2981 Depth=3
	s_or_b32 exec_lo, exec_lo, s31
	s_delay_alu instid0(SALU_CYCLE_1)
	s_and_b32 s14, s14, exec_lo
                                        ; implicit-def: $vgpr151
	s_or_saveexec_b32 s29, s29
	v_mov_b32_e32 v13, s15
	s_xor_b32 exec_lo, exec_lo, s29
	s_cbranch_execz .LBB4_3111
.LBB4_3307:                             ;   in Loop: Header=BB4_2981 Depth=3
	v_cmp_ne_u16_e64 vcc_lo, 0, v151
	v_mov_b32_e32 v13, 0
	s_and_not1_b32 s14, s14, exec_lo
	s_delay_alu instid0(VALU_DEP_2) | instskip(NEXT) | instid1(SALU_CYCLE_1)
	s_and_b32 s15, vcc_lo, exec_lo
	s_or_b32 s14, s14, s15
	s_or_b32 exec_lo, exec_lo, s29
	s_and_saveexec_b32 s15, s14
	s_cbranch_execnz .LBB4_3112
	s_branch .LBB4_3113
.LBB4_3308:                             ;   in Loop: Header=BB4_2981 Depth=3
	s_mov_b32 s14, -1
	s_mov_b32 s31, exec_lo
                                        ; implicit-def: $sgpr15
	v_cmpx_eq_u16_e64 0x80, v160
; %bb.3309:                             ;   in Loop: Header=BB4_2981 Depth=3
	s_mov_b32 s15, 0x7f800001
	s_xor_b32 s14, exec_lo, -1
; %bb.3310:                             ;   in Loop: Header=BB4_2981 Depth=3
	s_or_b32 exec_lo, exec_lo, s31
	s_delay_alu instid0(SALU_CYCLE_1)
	s_and_b32 s14, s14, exec_lo
                                        ; implicit-def: $vgpr160
	s_or_saveexec_b32 s29, s29
	v_mov_b32_e32 v151, s15
	s_xor_b32 exec_lo, exec_lo, s29
	s_cbranch_execz .LBB4_3115
.LBB4_3311:                             ;   in Loop: Header=BB4_2981 Depth=3
	v_cmp_ne_u16_e64 vcc_lo, 0, v160
	v_mov_b32_e32 v151, 0
	s_and_not1_b32 s14, s14, exec_lo
	s_delay_alu instid0(VALU_DEP_2) | instskip(NEXT) | instid1(SALU_CYCLE_1)
	s_and_b32 s15, vcc_lo, exec_lo
	s_or_b32 s14, s14, s15
	s_or_b32 exec_lo, exec_lo, s29
	s_and_saveexec_b32 s15, s14
	s_cbranch_execnz .LBB4_3116
	s_branch .LBB4_3117
.LBB4_3312:                             ;   in Loop: Header=BB4_2981 Depth=3
	s_mov_b32 s14, -1
	s_mov_b32 s31, exec_lo
                                        ; implicit-def: $sgpr15
	v_cmpx_eq_u16_e64 0x80, v160
; %bb.3313:                             ;   in Loop: Header=BB4_2981 Depth=3
	s_mov_b32 s15, 0x7f800001
	s_xor_b32 s14, exec_lo, -1
; %bb.3314:                             ;   in Loop: Header=BB4_2981 Depth=3
	s_or_b32 exec_lo, exec_lo, s31
	s_delay_alu instid0(SALU_CYCLE_1)
	s_and_b32 s14, s14, exec_lo
	s_or_saveexec_b32 s29, s29
	v_mov_b32_e32 v151, s15
	s_xor_b32 exec_lo, exec_lo, s29
	s_cbranch_execz .LBB4_3127
.LBB4_3315:                             ;   in Loop: Header=BB4_2981 Depth=3
	v_cmp_ne_u16_e64 vcc_lo, 0, v160
	v_mov_b32_e32 v151, 0
	s_and_not1_b32 s14, s14, exec_lo
	s_delay_alu instid0(VALU_DEP_2) | instskip(NEXT) | instid1(SALU_CYCLE_1)
	s_and_b32 s15, vcc_lo, exec_lo
	s_or_b32 s14, s14, s15
	s_or_b32 exec_lo, exec_lo, s29
	s_and_saveexec_b32 s15, s14
	s_cbranch_execnz .LBB4_3128
	s_branch .LBB4_3129
.LBB4_3316:                             ;   in Loop: Header=BB4_2981 Depth=3
	s_mov_b32 s14, -1
	s_mov_b32 s31, exec_lo
                                        ; implicit-def: $sgpr15
	v_cmpx_eq_u16_e64 0x80, v160
; %bb.3317:                             ;   in Loop: Header=BB4_2981 Depth=3
	s_mov_b32 s15, 0x7f800001
	s_xor_b32 s14, exec_lo, -1
; %bb.3318:                             ;   in Loop: Header=BB4_2981 Depth=3
	s_or_b32 exec_lo, exec_lo, s31
	s_delay_alu instid0(SALU_CYCLE_1)
	s_and_b32 s14, s14, exec_lo
	s_or_saveexec_b32 s29, s29
	v_mov_b32_e32 v161, s15
	s_xor_b32 exec_lo, exec_lo, s29
	s_cbranch_execz .LBB4_3131
.LBB4_3319:                             ;   in Loop: Header=BB4_2981 Depth=3
	v_cmp_ne_u16_e64 vcc_lo, 0, v160
	v_mov_b32_e32 v161, 0
	s_and_not1_b32 s14, s14, exec_lo
	s_delay_alu instid0(VALU_DEP_2) | instskip(NEXT) | instid1(SALU_CYCLE_1)
	s_and_b32 s15, vcc_lo, exec_lo
	s_or_b32 s14, s14, s15
	s_or_b32 exec_lo, exec_lo, s29
	s_and_saveexec_b32 s15, s14
	s_cbranch_execnz .LBB4_3132
	s_branch .LBB4_3133
.LBB4_3320:                             ;   in Loop: Header=BB4_2981 Depth=3
	s_mov_b32 s14, -1
	s_mov_b32 s31, exec_lo
                                        ; implicit-def: $sgpr15
	v_cmpx_eq_u16_e64 0x80, v162
; %bb.3321:                             ;   in Loop: Header=BB4_2981 Depth=3
	s_mov_b32 s15, 0x7f800001
	s_xor_b32 s14, exec_lo, -1
; %bb.3322:                             ;   in Loop: Header=BB4_2981 Depth=3
	s_or_b32 exec_lo, exec_lo, s31
	s_delay_alu instid0(SALU_CYCLE_1)
	s_and_b32 s14, s14, exec_lo
                                        ; implicit-def: $vgpr162
	s_or_saveexec_b32 s29, s29
	v_mov_b32_e32 v160, s15
	s_xor_b32 exec_lo, exec_lo, s29
	s_cbranch_execz .LBB4_3143
.LBB4_3323:                             ;   in Loop: Header=BB4_2981 Depth=3
	v_cmp_ne_u16_e64 vcc_lo, 0, v162
	v_mov_b32_e32 v160, 0
	s_and_not1_b32 s14, s14, exec_lo
	s_delay_alu instid0(VALU_DEP_2) | instskip(NEXT) | instid1(SALU_CYCLE_1)
	s_and_b32 s15, vcc_lo, exec_lo
	s_or_b32 s14, s14, s15
	s_or_b32 exec_lo, exec_lo, s29
	s_and_saveexec_b32 s15, s14
	s_cbranch_execnz .LBB4_3144
	s_branch .LBB4_3145
.LBB4_3324:                             ;   in Loop: Header=BB4_2981 Depth=3
	s_mov_b32 s14, -1
	s_mov_b32 s31, exec_lo
                                        ; implicit-def: $sgpr15
	v_cmpx_eq_u16_e64 0x80, v163
; %bb.3325:                             ;   in Loop: Header=BB4_2981 Depth=3
	s_mov_b32 s15, 0x7f800001
	s_xor_b32 s14, exec_lo, -1
; %bb.3326:                             ;   in Loop: Header=BB4_2981 Depth=3
	s_or_b32 exec_lo, exec_lo, s31
	s_delay_alu instid0(SALU_CYCLE_1)
	s_and_b32 s14, s14, exec_lo
                                        ; implicit-def: $vgpr163
	s_or_saveexec_b32 s29, s29
	v_mov_b32_e32 v162, s15
	s_xor_b32 exec_lo, exec_lo, s29
	s_cbranch_execz .LBB4_3147
.LBB4_3327:                             ;   in Loop: Header=BB4_2981 Depth=3
	v_cmp_ne_u16_e64 vcc_lo, 0, v163
	v_mov_b32_e32 v162, 0
	s_and_not1_b32 s14, s14, exec_lo
	s_delay_alu instid0(VALU_DEP_2) | instskip(NEXT) | instid1(SALU_CYCLE_1)
	s_and_b32 s15, vcc_lo, exec_lo
	s_or_b32 s14, s14, s15
	s_or_b32 exec_lo, exec_lo, s29
	s_and_saveexec_b32 s15, s14
	s_cbranch_execnz .LBB4_3148
	s_branch .LBB4_3149
.LBB4_3328:                             ;   in Loop: Header=BB4_2981 Depth=3
	s_mov_b32 s14, -1
	s_mov_b32 s31, exec_lo
                                        ; implicit-def: $sgpr15
	v_cmpx_eq_u16_e64 0x80, v162
; %bb.3329:                             ;   in Loop: Header=BB4_2981 Depth=3
	s_mov_b32 s15, 0x7f800001
	s_xor_b32 s14, exec_lo, -1
; %bb.3330:                             ;   in Loop: Header=BB4_2981 Depth=3
	s_or_b32 exec_lo, exec_lo, s31
	s_delay_alu instid0(SALU_CYCLE_1)
	s_and_b32 s14, s14, exec_lo
	s_or_saveexec_b32 s29, s29
	v_mov_b32_e32 v161, s15
	s_xor_b32 exec_lo, exec_lo, s29
	s_cbranch_execz .LBB4_3159
.LBB4_3331:                             ;   in Loop: Header=BB4_2981 Depth=3
	v_cmp_ne_u16_e64 vcc_lo, 0, v162
	v_mov_b32_e32 v161, 0
	s_and_not1_b32 s14, s14, exec_lo
	s_delay_alu instid0(VALU_DEP_2) | instskip(NEXT) | instid1(SALU_CYCLE_1)
	s_and_b32 s15, vcc_lo, exec_lo
	s_or_b32 s14, s14, s15
	s_or_b32 exec_lo, exec_lo, s29
	s_and_saveexec_b32 s15, s14
	s_cbranch_execnz .LBB4_3160
	s_branch .LBB4_3161
.LBB4_3332:                             ;   in Loop: Header=BB4_2981 Depth=3
	s_mov_b32 s14, -1
	s_mov_b32 s31, exec_lo
                                        ; implicit-def: $sgpr15
	v_cmpx_eq_u16_e32 0x80, v14
; %bb.3333:                             ;   in Loop: Header=BB4_2981 Depth=3
	s_mov_b32 s15, 0x7f800001
	s_xor_b32 s14, exec_lo, -1
; %bb.3334:                             ;   in Loop: Header=BB4_2981 Depth=3
	s_or_b32 exec_lo, exec_lo, s31
	s_delay_alu instid0(SALU_CYCLE_1)
	s_and_b32 s14, s14, exec_lo
	s_or_saveexec_b32 s29, s29
	v_mov_b32_e32 v162, s15
	s_xor_b32 exec_lo, exec_lo, s29
	s_cbranch_execz .LBB4_3163
.LBB4_3335:                             ;   in Loop: Header=BB4_2981 Depth=3
	v_cmp_ne_u16_e32 vcc_lo, 0, v14
	v_mov_b32_e32 v162, 0
	s_and_not1_b32 s14, s14, exec_lo
	s_and_b32 s15, vcc_lo, exec_lo
	s_delay_alu instid0(SALU_CYCLE_1)
	s_or_b32 s14, s14, s15
	s_or_b32 exec_lo, exec_lo, s29
	s_and_saveexec_b32 s15, s14
	s_cbranch_execnz .LBB4_3164
	s_branch .LBB4_3165
.LBB4_3336:                             ;   in Loop: Header=BB4_2981 Depth=3
	s_mov_b32 s14, -1
	s_mov_b32 s31, exec_lo
                                        ; implicit-def: $sgpr15
	v_cmpx_eq_u16_e64 0x80, v161
; %bb.3337:                             ;   in Loop: Header=BB4_2981 Depth=3
	s_mov_b32 s15, 0x7f800001
	s_xor_b32 s14, exec_lo, -1
; %bb.3338:                             ;   in Loop: Header=BB4_2981 Depth=3
	s_or_b32 exec_lo, exec_lo, s31
	s_delay_alu instid0(SALU_CYCLE_1)
	s_and_b32 s14, s14, exec_lo
                                        ; implicit-def: $vgpr161
	s_or_saveexec_b32 s29, s29
	v_mov_b32_e32 v14, s15
	s_xor_b32 exec_lo, exec_lo, s29
	s_cbranch_execz .LBB4_3175
.LBB4_3339:                             ;   in Loop: Header=BB4_2981 Depth=3
	v_cmp_ne_u16_e64 vcc_lo, 0, v161
	v_mov_b32_e32 v14, 0
	s_and_not1_b32 s14, s14, exec_lo
	s_delay_alu instid0(VALU_DEP_2) | instskip(NEXT) | instid1(SALU_CYCLE_1)
	s_and_b32 s15, vcc_lo, exec_lo
	s_or_b32 s14, s14, s15
	s_or_b32 exec_lo, exec_lo, s29
	s_and_saveexec_b32 s15, s14
	s_cbranch_execnz .LBB4_3176
	s_branch .LBB4_3177
.LBB4_3340:                             ;   in Loop: Header=BB4_2981 Depth=3
	s_mov_b32 s14, -1
	s_mov_b32 s31, exec_lo
                                        ; implicit-def: $sgpr15
	v_cmpx_eq_u16_e64 0x80, v162
; %bb.3341:                             ;   in Loop: Header=BB4_2981 Depth=3
	s_mov_b32 s15, 0x7f800001
	s_xor_b32 s14, exec_lo, -1
; %bb.3342:                             ;   in Loop: Header=BB4_2981 Depth=3
	s_or_b32 exec_lo, exec_lo, s31
	s_delay_alu instid0(SALU_CYCLE_1)
	s_and_b32 s14, s14, exec_lo
                                        ; implicit-def: $vgpr162
	s_or_saveexec_b32 s29, s29
	v_mov_b32_e32 v161, s15
	s_xor_b32 exec_lo, exec_lo, s29
	s_cbranch_execz .LBB4_3179
.LBB4_3343:                             ;   in Loop: Header=BB4_2981 Depth=3
	v_cmp_ne_u16_e64 vcc_lo, 0, v162
	v_mov_b32_e32 v161, 0
	s_and_not1_b32 s14, s14, exec_lo
	s_delay_alu instid0(VALU_DEP_2) | instskip(NEXT) | instid1(SALU_CYCLE_1)
	s_and_b32 s15, vcc_lo, exec_lo
	s_or_b32 s14, s14, s15
	s_or_b32 exec_lo, exec_lo, s29
	s_and_saveexec_b32 s15, s14
	s_cbranch_execnz .LBB4_3180
	s_branch .LBB4_3181
.LBB4_3344:                             ;   in Loop: Header=BB4_2981 Depth=3
	s_mov_b32 s14, -1
	s_mov_b32 s31, exec_lo
                                        ; implicit-def: $sgpr15
	v_cmpx_eq_u16_e64 0x80, v162
; %bb.3345:                             ;   in Loop: Header=BB4_2981 Depth=3
	s_mov_b32 s15, 0x7f800001
	s_xor_b32 s14, exec_lo, -1
; %bb.3346:                             ;   in Loop: Header=BB4_2981 Depth=3
	s_or_b32 exec_lo, exec_lo, s31
	s_delay_alu instid0(SALU_CYCLE_1)
	s_and_b32 s14, s14, exec_lo
	s_or_saveexec_b32 s29, s29
	v_mov_b32_e32 v161, s15
	s_xor_b32 exec_lo, exec_lo, s29
	s_cbranch_execz .LBB4_3191
.LBB4_3347:                             ;   in Loop: Header=BB4_2981 Depth=3
	v_cmp_ne_u16_e64 vcc_lo, 0, v162
	v_mov_b32_e32 v161, 0
	s_and_not1_b32 s14, s14, exec_lo
	s_delay_alu instid0(VALU_DEP_2) | instskip(NEXT) | instid1(SALU_CYCLE_1)
	s_and_b32 s15, vcc_lo, exec_lo
	s_or_b32 s14, s14, s15
	s_or_b32 exec_lo, exec_lo, s29
	s_and_saveexec_b32 s15, s14
	s_cbranch_execnz .LBB4_3192
	s_branch .LBB4_3193
.LBB4_3348:                             ;   in Loop: Header=BB4_2981 Depth=3
	s_mov_b32 s14, -1
	s_mov_b32 s31, exec_lo
                                        ; implicit-def: $sgpr15
	v_cmpx_eq_u16_e64 0x80, v162
; %bb.3349:                             ;   in Loop: Header=BB4_2981 Depth=3
	s_mov_b32 s15, 0x7f800001
	s_xor_b32 s14, exec_lo, -1
; %bb.3350:                             ;   in Loop: Header=BB4_2981 Depth=3
	s_or_b32 exec_lo, exec_lo, s31
	s_delay_alu instid0(SALU_CYCLE_1)
	s_and_b32 s14, s14, exec_lo
	s_or_saveexec_b32 s29, s29
	v_mov_b32_e32 v163, s15
	s_xor_b32 exec_lo, exec_lo, s29
	s_cbranch_execz .LBB4_3195
.LBB4_3351:                             ;   in Loop: Header=BB4_2981 Depth=3
	v_cmp_ne_u16_e64 vcc_lo, 0, v162
	v_mov_b32_e32 v163, 0
	s_and_not1_b32 s14, s14, exec_lo
	s_delay_alu instid0(VALU_DEP_2) | instskip(NEXT) | instid1(SALU_CYCLE_1)
	s_and_b32 s15, vcc_lo, exec_lo
	s_or_b32 s14, s14, s15
	s_or_b32 exec_lo, exec_lo, s29
	s_and_saveexec_b32 s15, s14
	s_cbranch_execnz .LBB4_3196
	s_branch .LBB4_3197
.LBB4_3352:                             ;   in Loop: Header=BB4_2981 Depth=3
	s_mov_b32 s14, -1
	s_mov_b32 s31, exec_lo
                                        ; implicit-def: $sgpr15
	v_cmpx_eq_u16_e64 0x80, v164
; %bb.3353:                             ;   in Loop: Header=BB4_2981 Depth=3
	s_mov_b32 s15, 0x7f800001
	s_xor_b32 s14, exec_lo, -1
; %bb.3354:                             ;   in Loop: Header=BB4_2981 Depth=3
	s_or_b32 exec_lo, exec_lo, s31
	s_delay_alu instid0(SALU_CYCLE_1)
	s_and_b32 s14, s14, exec_lo
                                        ; implicit-def: $vgpr164
	s_or_saveexec_b32 s29, s29
	v_mov_b32_e32 v162, s15
	s_xor_b32 exec_lo, exec_lo, s29
	s_cbranch_execz .LBB4_3207
.LBB4_3355:                             ;   in Loop: Header=BB4_2981 Depth=3
	v_cmp_ne_u16_e64 vcc_lo, 0, v164
	v_mov_b32_e32 v162, 0
	s_and_not1_b32 s14, s14, exec_lo
	s_delay_alu instid0(VALU_DEP_2) | instskip(NEXT) | instid1(SALU_CYCLE_1)
	s_and_b32 s15, vcc_lo, exec_lo
	s_or_b32 s14, s14, s15
	s_or_b32 exec_lo, exec_lo, s29
	s_and_saveexec_b32 s15, s14
	s_cbranch_execnz .LBB4_3208
	s_branch .LBB4_3209
.LBB4_3356:                             ;   in Loop: Header=BB4_2981 Depth=3
	s_mov_b32 s14, -1
	s_mov_b32 s31, exec_lo
                                        ; implicit-def: $sgpr15
	v_cmpx_eq_u16_e64 0x80, v165
; %bb.3357:                             ;   in Loop: Header=BB4_2981 Depth=3
	s_mov_b32 s15, 0x7f800001
	s_xor_b32 s14, exec_lo, -1
; %bb.3358:                             ;   in Loop: Header=BB4_2981 Depth=3
	s_or_b32 exec_lo, exec_lo, s31
	s_delay_alu instid0(SALU_CYCLE_1)
	s_and_b32 s14, s14, exec_lo
                                        ; implicit-def: $vgpr165
	s_or_saveexec_b32 s29, s29
	v_mov_b32_e32 v164, s15
	s_xor_b32 exec_lo, exec_lo, s29
	s_cbranch_execz .LBB4_3211
.LBB4_3359:                             ;   in Loop: Header=BB4_2981 Depth=3
	v_cmp_ne_u16_e64 vcc_lo, 0, v165
	v_mov_b32_e32 v164, 0
	s_and_not1_b32 s14, s14, exec_lo
	s_delay_alu instid0(VALU_DEP_2) | instskip(NEXT) | instid1(SALU_CYCLE_1)
	s_and_b32 s15, vcc_lo, exec_lo
	s_or_b32 s14, s14, s15
	s_or_b32 exec_lo, exec_lo, s29
	s_and_saveexec_b32 s15, s14
	s_cbranch_execnz .LBB4_3212
	s_branch .LBB4_3213
.LBB4_3360:                             ;   in Loop: Header=BB4_2981 Depth=3
	s_mov_b32 s14, -1
	s_mov_b32 s31, exec_lo
                                        ; implicit-def: $sgpr15
	v_cmpx_eq_u16_e64 0x80, v164
; %bb.3361:                             ;   in Loop: Header=BB4_2981 Depth=3
	s_mov_b32 s15, 0x7f800001
	s_xor_b32 s14, exec_lo, -1
; %bb.3362:                             ;   in Loop: Header=BB4_2981 Depth=3
	s_or_b32 exec_lo, exec_lo, s31
	s_delay_alu instid0(SALU_CYCLE_1)
	s_and_b32 s14, s14, exec_lo
	s_or_saveexec_b32 s29, s29
	v_mov_b32_e32 v163, s15
	s_xor_b32 exec_lo, exec_lo, s29
	s_cbranch_execz .LBB4_3223
.LBB4_3363:                             ;   in Loop: Header=BB4_2981 Depth=3
	v_cmp_ne_u16_e64 vcc_lo, 0, v164
	v_mov_b32_e32 v163, 0
	s_and_not1_b32 s14, s14, exec_lo
	s_delay_alu instid0(VALU_DEP_2) | instskip(NEXT) | instid1(SALU_CYCLE_1)
	s_and_b32 s15, vcc_lo, exec_lo
	s_or_b32 s14, s14, s15
	s_or_b32 exec_lo, exec_lo, s29
	s_and_saveexec_b32 s15, s14
	s_cbranch_execnz .LBB4_3224
	s_branch .LBB4_3225
.LBB4_3364:                             ;   in Loop: Header=BB4_2981 Depth=3
	s_mov_b32 s14, -1
	s_mov_b32 s31, exec_lo
                                        ; implicit-def: $sgpr15
	v_cmpx_eq_u16_e32 0x80, v15
; %bb.3365:                             ;   in Loop: Header=BB4_2981 Depth=3
	s_mov_b32 s15, 0x7f800001
	s_xor_b32 s14, exec_lo, -1
; %bb.3366:                             ;   in Loop: Header=BB4_2981 Depth=3
	s_or_b32 exec_lo, exec_lo, s31
	s_delay_alu instid0(SALU_CYCLE_1)
	s_and_b32 s14, s14, exec_lo
	s_or_saveexec_b32 s29, s29
	v_mov_b32_e32 v164, s15
	s_xor_b32 exec_lo, exec_lo, s29
	s_cbranch_execz .LBB4_3227
.LBB4_3367:                             ;   in Loop: Header=BB4_2981 Depth=3
	v_cmp_ne_u16_e32 vcc_lo, 0, v15
	v_mov_b32_e32 v164, 0
	s_and_not1_b32 s14, s14, exec_lo
	s_and_b32 s15, vcc_lo, exec_lo
	s_delay_alu instid0(SALU_CYCLE_1)
	s_or_b32 s14, s14, s15
	s_or_b32 exec_lo, exec_lo, s29
	s_and_saveexec_b32 s15, s14
	s_cbranch_execnz .LBB4_3228
	s_branch .LBB4_3229
.LBB4_3368:                             ;   in Loop: Header=BB4_2119 Depth=2
	s_or_b32 exec_lo, exec_lo, s30
.LBB4_3369:                             ;   in Loop: Header=BB4_2119 Depth=2
	s_delay_alu instid0(SALU_CYCLE_1) | instskip(SKIP_3) | instid1(VALU_DEP_1)
	s_or_b32 exec_lo, exec_lo, s17
	v_dual_mov_b32 v16, 0 :: v_dual_and_b32 v9, 15, v148
	s_mov_b32 s14, 0
	s_mov_b32 s15, exec_lo
                                        ; implicit-def: $vgpr18
                                        ; implicit-def: $vgpr8
	v_cndmask_b32_e64 v17, v80, v9, s13
	s_delay_alu instid0(VALU_DEP_1)
	v_cmpx_ne_u32_e32 0, v17
	s_cbranch_execz .LBB4_3371
; %bb.3370:                             ;   in Loop: Header=BB4_2119 Depth=2
	v_cmp_lt_i32_e32 vcc_lo, 0, v81
	v_sub_nc_u32_e32 v9, v80, v9
	s_mov_b32 s14, exec_lo
	v_cndmask_b32_e32 v8, 0, v97, vcc_lo
	s_delay_alu instid0(VALU_DEP_2) | instskip(NEXT) | instid1(VALU_DEP_2)
	v_cndmask_b32_e64 v9, 0, v9, s13
	v_sub_nc_u32_e32 v8, v8, v81
	s_delay_alu instid0(VALU_DEP_2) | instskip(NEXT) | instid1(VALU_DEP_2)
	v_add3_u32 v16, v2, v69, v9
	v_lshl_add_u32 v18, v8, 5, v70
	s_delay_alu instid0(VALU_DEP_1) | instskip(NEXT) | instid1(VALU_DEP_1)
	v_ashrrev_i32_e32 v8, 31, v18
	v_lshrrev_b32_e32 v8, 27, v8
	s_delay_alu instid0(VALU_DEP_1) | instskip(NEXT) | instid1(VALU_DEP_1)
	v_add_nc_u32_e32 v8, v18, v8
	v_ashrrev_i32_e32 v8, 5, v8
.LBB4_3371:                             ;   in Loop: Header=BB4_2119 Depth=2
	s_or_b32 exec_lo, exec_lo, s15
	s_delay_alu instid0(SALU_CYCLE_1)
	s_and_b32 s13, s14, exec_lo
.LBB4_3372:                             ;   in Loop: Header=BB4_2119 Depth=2
	s_or_b32 exec_lo, exec_lo, s16
.LBB4_3373:                             ;   in Loop: Header=BB4_2119 Depth=2
	s_and_saveexec_b32 s15, s13
	s_cbranch_execz .LBB4_3795
; %bb.3374:                             ;   in Loop: Header=BB4_2119 Depth=2
	v_ashrrev_i32_e32 v2, 31, v17
	s_mov_b32 s14, exec_lo
	s_delay_alu instid0(VALU_DEP_1) | instskip(NEXT) | instid1(VALU_DEP_1)
	v_lshrrev_b32_e32 v2, 23, v2
	v_add_nc_u32_e32 v2, v17, v2
	s_delay_alu instid0(VALU_DEP_1) | instskip(NEXT) | instid1(VALU_DEP_1)
	v_ashrrev_i32_e32 v19, 9, v2
	v_sub_nc_u32_e32 v2, v19, v8
	s_delay_alu instid0(VALU_DEP_1)
	v_cmpx_lt_i32_e32 0, v2
	s_cbranch_execz .LBB4_3763
; %bb.3375:                             ;   in Loop: Header=BB4_2119 Depth=2
	s_cbranch_execnz .LBB4_6431
; %bb.3376:                             ;   in Loop: Header=BB4_2119 Depth=2
	v_ashrrev_i32_e32 v9, 31, v18
	v_lshlrev_b32_e32 v8, 9, v8
	s_mov_b32 s16, 0
	s_delay_alu instid0(VALU_DEP_2) | instskip(NEXT) | instid1(VALU_DEP_1)
	v_lshrrev_b32_e32 v9, 27, v9
	v_add_nc_u32_e32 v13, v18, v9
	ds_load_b128 v[9:12], v0
	v_and_b32_e32 v13, 0xffffffe0, v13
	s_delay_alu instid0(VALU_DEP_1) | instskip(NEXT) | instid1(VALU_DEP_1)
	v_sub_nc_u32_e32 v13, v18, v13
	v_add3_u32 v13, v16, v13, v8
	s_delay_alu instid0(VALU_DEP_1) | instskip(SKIP_2) | instid1(VALU_DEP_2)
	v_ashrrev_i32_e32 v14, 31, v13
	s_waitcnt lgkmcnt(0)
	v_add_co_u32 v8, vcc_lo, v9, v13
	v_add_co_ci_u32_e32 v9, vcc_lo, v10, v14, vcc_lo
	v_add_co_u32 v10, vcc_lo, v11, v13
	v_add_co_ci_u32_e32 v11, vcc_lo, v12, v14, vcc_lo
	s_delay_alu instid0(VALU_DEP_3) | instskip(NEXT) | instid1(VALU_DEP_2)
	v_dual_mov_b32 v13, v9 :: v_dual_mov_b32 v12, v8
	v_dual_mov_b32 v15, v11 :: v_dual_mov_b32 v14, v10
	s_branch .LBB4_3380
.LBB4_3377:                             ;   in Loop: Header=BB4_3380 Depth=3
	s_or_b32 exec_lo, exec_lo, s13
	s_delay_alu instid0(VALU_DEP_1) | instskip(NEXT) | instid1(VALU_DEP_2)
	v_lshrrev_b32_e32 v69, 20, v69
	v_cmp_gt_i32_e32 vcc_lo, 16, v21
	v_lshrrev_b32_e32 v20, 24, v20
	v_min_i32_e32 v81, 15, v21
	s_delay_alu instid0(VALU_DEP_2) | instskip(NEXT) | instid1(VALU_DEP_2)
	v_dual_cndmask_b32 v69, 7, v69 :: v_dual_and_b32 v20, 0x80, v20
	v_lshlrev_b32_e32 v81, 3, v81
	s_delay_alu instid0(VALU_DEP_2) | instskip(NEXT) | instid1(VALU_DEP_1)
	v_or_b32_e32 v21, v21, v69
	v_cmp_ne_u32_e32 vcc_lo, 0, v21
	v_and_b32_e32 v84, 7, v69
	s_delay_alu instid0(VALU_DEP_1) | instskip(NEXT) | instid1(VALU_DEP_1)
	v_or3_b32 v20, v81, v20, v84
	v_cndmask_b32_e32 v21, 0, v20, vcc_lo
.LBB4_3378:                             ;   in Loop: Header=BB4_3380 Depth=3
	s_or_b32 exec_lo, exec_lo, s29
.LBB4_3379:                             ;   in Loop: Header=BB4_3380 Depth=3
	s_delay_alu instid0(SALU_CYCLE_1)
	s_or_b32 exec_lo, exec_lo, s17
	v_add_co_u32 v8, vcc_lo, v8, v117
	v_add_co_ci_u32_e32 v9, vcc_lo, v9, v118, vcc_lo
	v_add_co_u32 v10, vcc_lo, v10, v117
	v_sub_nc_u32_e32 v2, v2, v97
	v_add_co_ci_u32_e32 v11, vcc_lo, v11, v118, vcc_lo
	s_clause 0xf
	flat_store_b8 v[12:13], v22 glc slc dlc
	flat_store_b8 v[12:13], v70 offset:32 glc slc dlc
	flat_store_b8 v[12:13], v82 offset:64 glc slc dlc
	;; [unrolled: 1-line block ×15, first 2 shown]
	s_clause 0xf
	flat_store_b8 v[14:15], v22 glc slc dlc
	flat_store_b8 v[14:15], v70 offset:32 glc slc dlc
	flat_store_b8 v[14:15], v82 offset:64 glc slc dlc
	;; [unrolled: 1-line block ×15, first 2 shown]
	v_add_co_u32 v12, vcc_lo, v12, v117
	v_add_co_ci_u32_e32 v13, vcc_lo, v13, v118, vcc_lo
	v_cmp_gt_i32_e32 vcc_lo, 1, v2
	v_add_co_u32 v14, s13, v14, v117
	s_delay_alu instid0(VALU_DEP_1) | instskip(SKIP_1) | instid1(SALU_CYCLE_1)
	v_add_co_ci_u32_e64 v15, s13, v15, v118, s13
	s_or_b32 s16, vcc_lo, s16
	s_and_not1_b32 exec_lo, exec_lo, s16
	s_cbranch_execz .LBB4_3762
.LBB4_3380:                             ;   Parent Loop BB4_51 Depth=1
                                        ;     Parent Loop BB4_2119 Depth=2
                                        ; =>    This Inner Loop Header: Depth=3
	s_clause 0xf
	flat_load_u8 v41, v[8:9] slc dlc
	flat_load_u8 v183, v[8:9] offset:32 slc dlc
	flat_load_u8 v182, v[8:9] offset:64 slc dlc
	;; [unrolled: 1-line block ×15, first 2 shown]
	s_clause 0xf
	flat_load_u8 v22, v[10:11] slc dlc
	flat_load_u8 v70, v[10:11] offset:32 slc dlc
	flat_load_u8 v82, v[10:11] offset:64 slc dlc
	;; [unrolled: 1-line block ×15, first 2 shown]
	s_mov_b32 s13, 0
	s_mov_b32 s29, exec_lo
                                        ; implicit-def: $sgpr17
	s_waitcnt vmcnt(31) lgkmcnt(31)
	v_cmpx_lt_i16_e32 0x7f, v41
	s_xor_b32 s29, exec_lo, s29
	s_cbranch_execnz .LBB4_3634
; %bb.3381:                             ;   in Loop: Header=BB4_3380 Depth=3
	s_or_saveexec_b32 s29, s29
	v_mov_b32_e32 v40, s17
	s_xor_b32 exec_lo, exec_lo, s29
	s_cbranch_execnz .LBB4_3637
.LBB4_3382:                             ;   in Loop: Header=BB4_3380 Depth=3
	s_or_b32 exec_lo, exec_lo, s29
	s_and_saveexec_b32 s17, s13
	s_cbranch_execz .LBB4_3384
.LBB4_3383:                             ;   in Loop: Header=BB4_3380 Depth=3
	v_and_b32_e32 v40, 0xffff, v41
	s_delay_alu instid0(VALU_DEP_1) | instskip(NEXT) | instid1(VALU_DEP_1)
	v_and_b32_e32 v42, 7, v40
	v_clz_i32_u32_e32 v43, v42
	s_delay_alu instid0(VALU_DEP_1) | instskip(NEXT) | instid1(VALU_DEP_1)
	v_min_u32_e32 v43, 32, v43
	v_subrev_nc_u32_e32 v44, 28, v43
	v_sub_nc_u32_e32 v43, 29, v43
	s_delay_alu instid0(VALU_DEP_2) | instskip(SKIP_1) | instid1(VALU_DEP_2)
	v_lshlrev_b32_e32 v44, v44, v40
	v_bfe_u32 v40, v40, 3, 4
	v_and_b32_e32 v44, 7, v44
	s_delay_alu instid0(VALU_DEP_2) | instskip(SKIP_1) | instid1(VALU_DEP_1)
	v_cmp_eq_u32_e32 vcc_lo, 0, v40
	v_dual_cndmask_b32 v40, v40, v43 :: v_dual_lshlrev_b32 v41, 24, v41
	v_dual_cndmask_b32 v42, v42, v44 :: v_dual_and_b32 v41, 0x80000000, v41
	s_delay_alu instid0(VALU_DEP_2) | instskip(NEXT) | instid1(VALU_DEP_2)
	v_lshl_add_u32 v40, v40, 23, 0x3b800000
	v_lshlrev_b32_e32 v42, 20, v42
	s_delay_alu instid0(VALU_DEP_1)
	v_or3_b32 v40, v41, v40, v42
.LBB4_3384:                             ;   in Loop: Header=BB4_3380 Depth=3
	s_or_b32 exec_lo, exec_lo, s17
	s_waitcnt vmcnt(15) lgkmcnt(15)
	v_and_b32_e32 v42, 0xff, v22
	s_mov_b32 s13, 0
	s_mov_b32 s29, exec_lo
                                        ; implicit-def: $sgpr17
	s_delay_alu instid0(VALU_DEP_1)
	v_cmpx_lt_i16_e32 0x7f, v42
	s_xor_b32 s29, exec_lo, s29
	s_cbranch_execnz .LBB4_3638
; %bb.3385:                             ;   in Loop: Header=BB4_3380 Depth=3
	s_or_saveexec_b32 s29, s29
	v_mov_b32_e32 v41, s17
	s_xor_b32 exec_lo, exec_lo, s29
	s_cbranch_execnz .LBB4_3641
.LBB4_3386:                             ;   in Loop: Header=BB4_3380 Depth=3
	s_or_b32 exec_lo, exec_lo, s29
	s_and_saveexec_b32 s17, s13
	s_cbranch_execz .LBB4_3388
.LBB4_3387:                             ;   in Loop: Header=BB4_3380 Depth=3
	v_and_b32_e32 v41, 7, v22
	v_lshrrev_b16 v44, 3, v22
	s_delay_alu instid0(VALU_DEP_2) | instskip(NEXT) | instid1(VALU_DEP_1)
	v_clz_i32_u32_e32 v42, v41
	v_min_u32_e32 v42, 32, v42
	s_delay_alu instid0(VALU_DEP_1) | instskip(SKIP_1) | instid1(VALU_DEP_2)
	v_subrev_nc_u32_e32 v43, 28, v42
	v_sub_nc_u32_e32 v42, 29, v42
	v_lshlrev_b32_e32 v43, v43, v22
	v_lshlrev_b32_e32 v22, 24, v22
	s_delay_alu instid0(VALU_DEP_2) | instskip(SKIP_1) | instid1(VALU_DEP_3)
	v_and_b32_e32 v43, 7, v43
	v_and_b32_e32 v44, 15, v44
	;; [unrolled: 1-line block ×3, first 2 shown]
	s_delay_alu instid0(VALU_DEP_2) | instskip(NEXT) | instid1(VALU_DEP_4)
	v_cmp_eq_u32_e32 vcc_lo, 0, v44
	v_dual_cndmask_b32 v41, v41, v43 :: v_dual_cndmask_b32 v42, v44, v42
	s_delay_alu instid0(VALU_DEP_1) | instskip(NEXT) | instid1(VALU_DEP_2)
	v_lshlrev_b32_e32 v41, 20, v41
	v_lshl_add_u32 v42, v42, 23, 0x3b800000
	s_delay_alu instid0(VALU_DEP_1)
	v_or3_b32 v41, v22, v42, v41
.LBB4_3388:                             ;   in Loop: Header=BB4_3380 Depth=3
	s_or_b32 exec_lo, exec_lo, s17
	s_delay_alu instid0(VALU_DEP_1) | instskip(NEXT) | instid1(VALU_DEP_1)
	v_add_f32_e32 v40, v40, v41
	v_and_b32_e32 v22, 0x7f800000, v40
	s_delay_alu instid0(VALU_DEP_1)
	v_cmp_ne_u32_e32 vcc_lo, 0x7f800000, v22
	v_mov_b32_e32 v22, 0x80
	s_and_saveexec_b32 s17, vcc_lo
	s_cbranch_execz .LBB4_3396
; %bb.3389:                             ;   in Loop: Header=BB4_3380 Depth=3
	v_mov_b32_e32 v22, 0
	s_mov_b32 s29, exec_lo
	v_cmpx_ne_u32_e32 0, v40
	s_cbranch_execz .LBB4_3395
; %bb.3390:                             ;   in Loop: Header=BB4_3380 Depth=3
	v_bfe_u32 v22, v40, 23, 8
	s_delay_alu instid0(VALU_DEP_1) | instskip(SKIP_1) | instid1(VALU_DEP_2)
	v_sub_nc_u32_e32 v42, 0x78, v22
	v_cmp_gt_u32_e32 vcc_lo, 0x79, v22
	v_dual_cndmask_b32 v42, 0, v42 :: v_dual_and_b32 v41, 0x7fffff, v40
	s_delay_alu instid0(VALU_DEP_1) | instskip(SKIP_2) | instid1(VALU_DEP_4)
	v_or_b32_e32 v43, 0x800000, v41
	v_cmp_eq_u32_e32 vcc_lo, 0, v22
	v_add_nc_u32_e32 v22, 0xffffff89, v22
	v_cndmask_b32_e64 v42, v42, 0x77, vcc_lo
	s_delay_alu instid0(VALU_DEP_4) | instskip(NEXT) | instid1(VALU_DEP_3)
	v_cndmask_b32_e32 v41, v43, v41, vcc_lo
	v_cndmask_b32_e64 v22, v22, 0xffffff8a, vcc_lo
	s_delay_alu instid0(VALU_DEP_3) | instskip(NEXT) | instid1(VALU_DEP_3)
	v_lshl_add_u32 v43, 0x100000, v42, -1
	v_lshrrev_b32_e32 v44, v42, v41
	v_lshlrev_b32_e64 v46, v42, 0x80000
	s_delay_alu instid0(VALU_DEP_4) | instskip(NEXT) | instid1(VALU_DEP_4)
	v_add_nc_u32_e32 v42, v42, v22
	v_and_b32_e32 v41, v43, v41
	s_delay_alu instid0(VALU_DEP_4) | instskip(NEXT) | instid1(VALU_DEP_2)
	v_bfe_u32 v45, v44, 20, 1
	v_cmp_eq_u32_e64 s13, v41, v46
	s_delay_alu instid0(VALU_DEP_2) | instskip(NEXT) | instid1(VALU_DEP_1)
	v_add_nc_u32_e32 v43, -1, v45
	v_cndmask_b32_e64 v41, 0, v43, s13
	v_lshrrev_b32_e32 v43, 23, v44
	s_mov_b32 s13, exec_lo
	s_delay_alu instid0(VALU_DEP_2) | instskip(NEXT) | instid1(VALU_DEP_2)
	v_add_nc_u32_e32 v41, v41, v44
	v_xor_b32_e32 v43, 1, v43
	s_delay_alu instid0(VALU_DEP_2) | instskip(NEXT) | instid1(VALU_DEP_1)
	v_and_b32_e32 v22, 0xfffff, v41
	v_add_nc_u32_e32 v41, v22, v44
                                        ; implicit-def: $vgpr22
	s_delay_alu instid0(VALU_DEP_3)
	v_cmpx_ne_u32_e64 v42, v43
	s_xor_b32 s13, exec_lo, s13
; %bb.3391:                             ;   in Loop: Header=BB4_3380 Depth=3
	s_delay_alu instid0(VALU_DEP_2) | instskip(SKIP_2) | instid1(VALU_DEP_2)
	v_cmp_lt_u32_e32 vcc_lo, 0xffffff, v41
	v_sub_nc_u32_e32 v22, v42, v43
	v_cndmask_b32_e64 v42, 0, 1, vcc_lo
	v_add_co_ci_u32_e32 v22, vcc_lo, 0, v22, vcc_lo
	s_delay_alu instid0(VALU_DEP_2)
	v_lshrrev_b32_e32 v41, v42, v41
; %bb.3392:                             ;   in Loop: Header=BB4_3380 Depth=3
	s_and_not1_saveexec_b32 s13, s13
; %bb.3393:                             ;   in Loop: Header=BB4_3380 Depth=3
	s_delay_alu instid0(VALU_DEP_1)
	v_bfe_u32 v22, v41, 23, 1
; %bb.3394:                             ;   in Loop: Header=BB4_3380 Depth=3
	s_or_b32 exec_lo, exec_lo, s13
	v_lshrrev_b32_e32 v41, 20, v41
	s_delay_alu instid0(VALU_DEP_2) | instskip(SKIP_2) | instid1(VALU_DEP_2)
	v_cmp_gt_i32_e32 vcc_lo, 16, v22
	v_lshrrev_b32_e32 v40, 24, v40
	v_min_i32_e32 v42, 15, v22
	v_dual_cndmask_b32 v41, 7, v41 :: v_dual_and_b32 v40, 0x80, v40
	s_delay_alu instid0(VALU_DEP_2) | instskip(NEXT) | instid1(VALU_DEP_2)
	v_lshlrev_b32_e32 v42, 3, v42
	v_or_b32_e32 v22, v22, v41
	s_delay_alu instid0(VALU_DEP_1) | instskip(SKIP_1) | instid1(VALU_DEP_1)
	v_cmp_ne_u32_e32 vcc_lo, 0, v22
	v_and_b32_e32 v43, 7, v41
	v_or3_b32 v40, v42, v40, v43
	s_delay_alu instid0(VALU_DEP_1)
	v_cndmask_b32_e32 v22, 0, v40, vcc_lo
.LBB4_3395:                             ;   in Loop: Header=BB4_3380 Depth=3
	s_or_b32 exec_lo, exec_lo, s29
.LBB4_3396:                             ;   in Loop: Header=BB4_3380 Depth=3
	s_delay_alu instid0(SALU_CYCLE_1) | instskip(SKIP_3) | instid1(VALU_DEP_1)
	s_or_b32 exec_lo, exec_lo, s17
	v_and_b32_e32 v41, 0xff, v183
	s_mov_b32 s13, 0
	s_mov_b32 s29, exec_lo
                                        ; implicit-def: $sgpr17
	v_cmpx_lt_i16_e32 0x7f, v41
	s_xor_b32 s29, exec_lo, s29
	s_cbranch_execnz .LBB4_3642
; %bb.3397:                             ;   in Loop: Header=BB4_3380 Depth=3
	s_or_saveexec_b32 s29, s29
	v_mov_b32_e32 v40, s17
	s_xor_b32 exec_lo, exec_lo, s29
	s_cbranch_execnz .LBB4_3645
.LBB4_3398:                             ;   in Loop: Header=BB4_3380 Depth=3
	s_or_b32 exec_lo, exec_lo, s29
	s_and_saveexec_b32 s17, s13
	s_cbranch_execz .LBB4_3400
.LBB4_3399:                             ;   in Loop: Header=BB4_3380 Depth=3
	v_lshrrev_b16 v43, 3, v183
	s_delay_alu instid0(VALU_DEP_1) | instskip(NEXT) | instid1(VALU_DEP_1)
	v_and_b32_e32 v43, 15, v43
	v_cmp_eq_u32_e32 vcc_lo, 0, v43
	v_and_b32_e32 v40, 7, v183
	s_delay_alu instid0(VALU_DEP_1) | instskip(NEXT) | instid1(VALU_DEP_1)
	v_clz_i32_u32_e32 v41, v40
	v_min_u32_e32 v41, 32, v41
	s_delay_alu instid0(VALU_DEP_1) | instskip(SKIP_1) | instid1(VALU_DEP_1)
	v_subrev_nc_u32_e32 v42, 28, v41
	v_sub_nc_u32_e32 v41, 29, v41
	v_dual_cndmask_b32 v41, v43, v41 :: v_dual_lshlrev_b32 v42, v42, v183
	v_lshlrev_b32_e32 v183, 24, v183
	s_delay_alu instid0(VALU_DEP_2) | instskip(NEXT) | instid1(VALU_DEP_3)
	v_and_b32_e32 v42, 7, v42
	v_lshl_add_u32 v41, v41, 23, 0x3b800000
	s_delay_alu instid0(VALU_DEP_2) | instskip(NEXT) | instid1(VALU_DEP_1)
	v_dual_cndmask_b32 v40, v40, v42 :: v_dual_and_b32 v183, 0x80000000, v183
	v_lshlrev_b32_e32 v40, 20, v40
	s_delay_alu instid0(VALU_DEP_1)
	v_or3_b32 v40, v183, v41, v40
.LBB4_3400:                             ;   in Loop: Header=BB4_3380 Depth=3
	s_or_b32 exec_lo, exec_lo, s17
	s_waitcnt vmcnt(14) lgkmcnt(14)
	v_and_b32_e32 v41, 0xff, v70
	s_mov_b32 s13, 0
	s_mov_b32 s29, exec_lo
                                        ; implicit-def: $sgpr17
	s_delay_alu instid0(VALU_DEP_1)
	v_cmpx_lt_i16_e32 0x7f, v41
	s_xor_b32 s29, exec_lo, s29
	s_cbranch_execnz .LBB4_3646
; %bb.3401:                             ;   in Loop: Header=BB4_3380 Depth=3
	s_or_saveexec_b32 s29, s29
	v_mov_b32_e32 v183, s17
	s_xor_b32 exec_lo, exec_lo, s29
	s_cbranch_execnz .LBB4_3649
.LBB4_3402:                             ;   in Loop: Header=BB4_3380 Depth=3
	s_or_b32 exec_lo, exec_lo, s29
	s_and_saveexec_b32 s17, s13
	s_cbranch_execz .LBB4_3404
.LBB4_3403:                             ;   in Loop: Header=BB4_3380 Depth=3
	v_and_b32_e32 v183, 7, v70
	v_lshrrev_b16 v43, 3, v70
	s_delay_alu instid0(VALU_DEP_2) | instskip(NEXT) | instid1(VALU_DEP_2)
	v_clz_i32_u32_e32 v41, v183
	v_and_b32_e32 v43, 15, v43
	s_delay_alu instid0(VALU_DEP_2) | instskip(NEXT) | instid1(VALU_DEP_2)
	v_min_u32_e32 v41, 32, v41
	v_cmp_eq_u32_e32 vcc_lo, 0, v43
	s_delay_alu instid0(VALU_DEP_2) | instskip(SKIP_1) | instid1(VALU_DEP_1)
	v_subrev_nc_u32_e32 v42, 28, v41
	v_sub_nc_u32_e32 v41, 29, v41
	v_dual_cndmask_b32 v41, v43, v41 :: v_dual_lshlrev_b32 v42, v42, v70
	v_lshlrev_b32_e32 v70, 24, v70
	s_delay_alu instid0(VALU_DEP_2) | instskip(NEXT) | instid1(VALU_DEP_3)
	v_and_b32_e32 v42, 7, v42
	v_lshl_add_u32 v41, v41, 23, 0x3b800000
	s_delay_alu instid0(VALU_DEP_3) | instskip(NEXT) | instid1(VALU_DEP_3)
	v_and_b32_e32 v70, 0x80000000, v70
	v_cndmask_b32_e32 v183, v183, v42, vcc_lo
	s_delay_alu instid0(VALU_DEP_1) | instskip(NEXT) | instid1(VALU_DEP_1)
	v_lshlrev_b32_e32 v183, 20, v183
	v_or3_b32 v183, v70, v41, v183
.LBB4_3404:                             ;   in Loop: Header=BB4_3380 Depth=3
	s_or_b32 exec_lo, exec_lo, s17
	s_delay_alu instid0(VALU_DEP_1) | instskip(NEXT) | instid1(VALU_DEP_1)
	v_add_f32_e32 v183, v40, v183
	v_and_b32_e32 v70, 0x7f800000, v183
	s_delay_alu instid0(VALU_DEP_1)
	v_cmp_ne_u32_e32 vcc_lo, 0x7f800000, v70
	v_mov_b32_e32 v70, 0x80
	s_and_saveexec_b32 s17, vcc_lo
	s_cbranch_execz .LBB4_3412
; %bb.3405:                             ;   in Loop: Header=BB4_3380 Depth=3
	v_mov_b32_e32 v70, 0
	s_mov_b32 s29, exec_lo
	v_cmpx_ne_u32_e32 0, v183
	s_cbranch_execz .LBB4_3411
; %bb.3406:                             ;   in Loop: Header=BB4_3380 Depth=3
	v_bfe_u32 v70, v183, 23, 8
	s_delay_alu instid0(VALU_DEP_1) | instskip(SKIP_1) | instid1(VALU_DEP_2)
	v_sub_nc_u32_e32 v41, 0x78, v70
	v_cmp_gt_u32_e32 vcc_lo, 0x79, v70
	v_dual_cndmask_b32 v41, 0, v41 :: v_dual_and_b32 v40, 0x7fffff, v183
	s_delay_alu instid0(VALU_DEP_1) | instskip(SKIP_2) | instid1(VALU_DEP_4)
	v_or_b32_e32 v42, 0x800000, v40
	v_cmp_eq_u32_e32 vcc_lo, 0, v70
	v_add_nc_u32_e32 v70, 0xffffff89, v70
	v_cndmask_b32_e64 v41, v41, 0x77, vcc_lo
	s_delay_alu instid0(VALU_DEP_2) | instskip(SKIP_1) | instid1(VALU_DEP_3)
	v_cndmask_b32_e64 v70, v70, 0xffffff8a, vcc_lo
	v_cndmask_b32_e32 v40, v42, v40, vcc_lo
	v_lshl_add_u32 v42, 0x100000, v41, -1
	v_lshlrev_b32_e64 v45, v41, 0x80000
	s_delay_alu instid0(VALU_DEP_3) | instskip(SKIP_1) | instid1(VALU_DEP_4)
	v_lshrrev_b32_e32 v43, v41, v40
	v_add_nc_u32_e32 v41, v41, v70
	v_and_b32_e32 v40, v42, v40
	s_delay_alu instid0(VALU_DEP_3) | instskip(NEXT) | instid1(VALU_DEP_2)
	v_bfe_u32 v44, v43, 20, 1
	v_cmp_eq_u32_e64 s13, v40, v45
	s_delay_alu instid0(VALU_DEP_2) | instskip(NEXT) | instid1(VALU_DEP_1)
	v_add_nc_u32_e32 v42, -1, v44
	v_cndmask_b32_e64 v40, 0, v42, s13
	v_lshrrev_b32_e32 v42, 23, v43
	s_mov_b32 s13, exec_lo
	s_delay_alu instid0(VALU_DEP_2) | instskip(NEXT) | instid1(VALU_DEP_2)
	v_add_nc_u32_e32 v40, v40, v43
	v_xor_b32_e32 v42, 1, v42
	s_delay_alu instid0(VALU_DEP_2) | instskip(NEXT) | instid1(VALU_DEP_1)
	v_and_b32_e32 v70, 0xfffff, v40
	v_add_nc_u32_e32 v40, v70, v43
                                        ; implicit-def: $vgpr70
	s_delay_alu instid0(VALU_DEP_3)
	v_cmpx_ne_u32_e64 v41, v42
	s_xor_b32 s13, exec_lo, s13
; %bb.3407:                             ;   in Loop: Header=BB4_3380 Depth=3
	s_delay_alu instid0(VALU_DEP_2) | instskip(SKIP_2) | instid1(VALU_DEP_2)
	v_cmp_lt_u32_e32 vcc_lo, 0xffffff, v40
	v_sub_nc_u32_e32 v70, v41, v42
	v_cndmask_b32_e64 v41, 0, 1, vcc_lo
	v_add_co_ci_u32_e32 v70, vcc_lo, 0, v70, vcc_lo
	s_delay_alu instid0(VALU_DEP_2)
	v_lshrrev_b32_e32 v40, v41, v40
; %bb.3408:                             ;   in Loop: Header=BB4_3380 Depth=3
	s_and_not1_saveexec_b32 s13, s13
; %bb.3409:                             ;   in Loop: Header=BB4_3380 Depth=3
	s_delay_alu instid0(VALU_DEP_1)
	v_bfe_u32 v70, v40, 23, 1
; %bb.3410:                             ;   in Loop: Header=BB4_3380 Depth=3
	s_or_b32 exec_lo, exec_lo, s13
	v_lshrrev_b32_e32 v40, 20, v40
	s_delay_alu instid0(VALU_DEP_2) | instskip(SKIP_2) | instid1(VALU_DEP_2)
	v_cmp_gt_i32_e32 vcc_lo, 16, v70
	v_lshrrev_b32_e32 v183, 24, v183
	v_min_i32_e32 v41, 15, v70
	v_dual_cndmask_b32 v40, 7, v40 :: v_dual_and_b32 v183, 0x80, v183
	s_delay_alu instid0(VALU_DEP_1) | instskip(SKIP_1) | instid1(VALU_DEP_2)
	v_or_b32_e32 v70, v70, v40
	v_and_b32_e32 v42, 7, v40
	v_cmp_ne_u32_e32 vcc_lo, 0, v70
	v_lshlrev_b32_e32 v41, 3, v41
	s_delay_alu instid0(VALU_DEP_1) | instskip(NEXT) | instid1(VALU_DEP_1)
	v_or3_b32 v183, v41, v183, v42
	v_cndmask_b32_e32 v70, 0, v183, vcc_lo
.LBB4_3411:                             ;   in Loop: Header=BB4_3380 Depth=3
	s_or_b32 exec_lo, exec_lo, s29
.LBB4_3412:                             ;   in Loop: Header=BB4_3380 Depth=3
	s_delay_alu instid0(SALU_CYCLE_1) | instskip(SKIP_3) | instid1(VALU_DEP_1)
	s_or_b32 exec_lo, exec_lo, s17
	v_and_b32_e32 v40, 0xff, v182
	s_mov_b32 s13, 0
	s_mov_b32 s29, exec_lo
                                        ; implicit-def: $sgpr17
	v_cmpx_lt_i16_e32 0x7f, v40
	s_xor_b32 s29, exec_lo, s29
	s_cbranch_execnz .LBB4_3650
; %bb.3413:                             ;   in Loop: Header=BB4_3380 Depth=3
	s_or_saveexec_b32 s29, s29
	v_mov_b32_e32 v183, s17
	s_xor_b32 exec_lo, exec_lo, s29
	s_cbranch_execnz .LBB4_3653
.LBB4_3414:                             ;   in Loop: Header=BB4_3380 Depth=3
	s_or_b32 exec_lo, exec_lo, s29
	s_and_saveexec_b32 s17, s13
	s_cbranch_execz .LBB4_3416
.LBB4_3415:                             ;   in Loop: Header=BB4_3380 Depth=3
	v_lshrrev_b16 v42, 3, v182
	s_delay_alu instid0(VALU_DEP_1) | instskip(NEXT) | instid1(VALU_DEP_1)
	v_and_b32_e32 v42, 15, v42
	v_cmp_eq_u32_e32 vcc_lo, 0, v42
	v_and_b32_e32 v183, 7, v182
	s_delay_alu instid0(VALU_DEP_1) | instskip(NEXT) | instid1(VALU_DEP_1)
	v_clz_i32_u32_e32 v40, v183
	v_min_u32_e32 v40, 32, v40
	s_delay_alu instid0(VALU_DEP_1) | instskip(SKIP_1) | instid1(VALU_DEP_1)
	v_subrev_nc_u32_e32 v41, 28, v40
	v_sub_nc_u32_e32 v40, 29, v40
	v_dual_cndmask_b32 v40, v42, v40 :: v_dual_lshlrev_b32 v41, v41, v182
	v_lshlrev_b32_e32 v182, 24, v182
	s_delay_alu instid0(VALU_DEP_2) | instskip(NEXT) | instid1(VALU_DEP_3)
	v_and_b32_e32 v41, 7, v41
	v_lshl_add_u32 v40, v40, 23, 0x3b800000
	s_delay_alu instid0(VALU_DEP_2) | instskip(NEXT) | instid1(VALU_DEP_1)
	v_dual_cndmask_b32 v183, v183, v41 :: v_dual_and_b32 v182, 0x80000000, v182
	v_lshlrev_b32_e32 v183, 20, v183
	s_delay_alu instid0(VALU_DEP_1)
	v_or3_b32 v183, v182, v40, v183
.LBB4_3416:                             ;   in Loop: Header=BB4_3380 Depth=3
	s_or_b32 exec_lo, exec_lo, s17
	s_waitcnt vmcnt(13) lgkmcnt(13)
	v_and_b32_e32 v40, 0xff, v82
	s_mov_b32 s13, 0
	s_mov_b32 s29, exec_lo
                                        ; implicit-def: $sgpr17
	s_delay_alu instid0(VALU_DEP_1)
	v_cmpx_lt_i16_e32 0x7f, v40
	s_xor_b32 s29, exec_lo, s29
	s_cbranch_execnz .LBB4_3654
; %bb.3417:                             ;   in Loop: Header=BB4_3380 Depth=3
	s_or_saveexec_b32 s29, s29
	v_mov_b32_e32 v182, s17
	s_xor_b32 exec_lo, exec_lo, s29
	s_cbranch_execnz .LBB4_3657
.LBB4_3418:                             ;   in Loop: Header=BB4_3380 Depth=3
	s_or_b32 exec_lo, exec_lo, s29
	s_and_saveexec_b32 s17, s13
	s_cbranch_execz .LBB4_3420
.LBB4_3419:                             ;   in Loop: Header=BB4_3380 Depth=3
	v_and_b32_e32 v182, 7, v82
	v_lshrrev_b16 v42, 3, v82
	s_delay_alu instid0(VALU_DEP_2) | instskip(NEXT) | instid1(VALU_DEP_2)
	v_clz_i32_u32_e32 v40, v182
	v_and_b32_e32 v42, 15, v42
	s_delay_alu instid0(VALU_DEP_2) | instskip(NEXT) | instid1(VALU_DEP_2)
	v_min_u32_e32 v40, 32, v40
	v_cmp_eq_u32_e32 vcc_lo, 0, v42
	s_delay_alu instid0(VALU_DEP_2) | instskip(SKIP_1) | instid1(VALU_DEP_1)
	v_subrev_nc_u32_e32 v41, 28, v40
	v_sub_nc_u32_e32 v40, 29, v40
	v_dual_cndmask_b32 v40, v42, v40 :: v_dual_lshlrev_b32 v41, v41, v82
	v_lshlrev_b32_e32 v82, 24, v82
	s_delay_alu instid0(VALU_DEP_2) | instskip(NEXT) | instid1(VALU_DEP_3)
	v_and_b32_e32 v41, 7, v41
	v_lshl_add_u32 v40, v40, 23, 0x3b800000
	s_delay_alu instid0(VALU_DEP_3) | instskip(NEXT) | instid1(VALU_DEP_3)
	v_and_b32_e32 v82, 0x80000000, v82
	v_cndmask_b32_e32 v182, v182, v41, vcc_lo
	s_delay_alu instid0(VALU_DEP_1) | instskip(NEXT) | instid1(VALU_DEP_1)
	v_lshlrev_b32_e32 v182, 20, v182
	v_or3_b32 v182, v82, v40, v182
.LBB4_3420:                             ;   in Loop: Header=BB4_3380 Depth=3
	s_or_b32 exec_lo, exec_lo, s17
	s_delay_alu instid0(VALU_DEP_1) | instskip(NEXT) | instid1(VALU_DEP_1)
	v_add_f32_e32 v182, v183, v182
	v_and_b32_e32 v82, 0x7f800000, v182
	s_delay_alu instid0(VALU_DEP_1)
	v_cmp_ne_u32_e32 vcc_lo, 0x7f800000, v82
	v_mov_b32_e32 v82, 0x80
	s_and_saveexec_b32 s17, vcc_lo
	s_cbranch_execz .LBB4_3428
; %bb.3421:                             ;   in Loop: Header=BB4_3380 Depth=3
	v_mov_b32_e32 v82, 0
	s_mov_b32 s29, exec_lo
	v_cmpx_ne_u32_e32 0, v182
	s_cbranch_execz .LBB4_3427
; %bb.3422:                             ;   in Loop: Header=BB4_3380 Depth=3
	v_bfe_u32 v82, v182, 23, 8
	s_delay_alu instid0(VALU_DEP_1) | instskip(SKIP_1) | instid1(VALU_DEP_2)
	v_sub_nc_u32_e32 v40, 0x78, v82
	v_cmp_gt_u32_e32 vcc_lo, 0x79, v82
	v_dual_cndmask_b32 v40, 0, v40 :: v_dual_and_b32 v183, 0x7fffff, v182
	s_delay_alu instid0(VALU_DEP_1) | instskip(SKIP_2) | instid1(VALU_DEP_4)
	v_or_b32_e32 v41, 0x800000, v183
	v_cmp_eq_u32_e32 vcc_lo, 0, v82
	v_add_nc_u32_e32 v82, 0xffffff89, v82
	v_cndmask_b32_e64 v40, v40, 0x77, vcc_lo
	s_delay_alu instid0(VALU_DEP_4) | instskip(NEXT) | instid1(VALU_DEP_3)
	v_cndmask_b32_e32 v183, v41, v183, vcc_lo
	v_cndmask_b32_e64 v82, v82, 0xffffff8a, vcc_lo
	s_delay_alu instid0(VALU_DEP_3) | instskip(NEXT) | instid1(VALU_DEP_3)
	v_lshl_add_u32 v41, 0x100000, v40, -1
	v_lshrrev_b32_e32 v42, v40, v183
	v_lshlrev_b32_e64 v44, v40, 0x80000
	s_delay_alu instid0(VALU_DEP_4) | instskip(NEXT) | instid1(VALU_DEP_4)
	v_add_nc_u32_e32 v40, v40, v82
	v_and_b32_e32 v183, v41, v183
	s_delay_alu instid0(VALU_DEP_4) | instskip(NEXT) | instid1(VALU_DEP_2)
	v_bfe_u32 v43, v42, 20, 1
	v_cmp_eq_u32_e64 s13, v183, v44
	s_delay_alu instid0(VALU_DEP_2) | instskip(NEXT) | instid1(VALU_DEP_1)
	v_add_nc_u32_e32 v41, -1, v43
	v_cndmask_b32_e64 v183, 0, v41, s13
	v_lshrrev_b32_e32 v41, 23, v42
	s_mov_b32 s13, exec_lo
	s_delay_alu instid0(VALU_DEP_2) | instskip(NEXT) | instid1(VALU_DEP_2)
	v_add_nc_u32_e32 v183, v183, v42
	v_xor_b32_e32 v41, 1, v41
	s_delay_alu instid0(VALU_DEP_2) | instskip(NEXT) | instid1(VALU_DEP_1)
	v_and_b32_e32 v82, 0xfffff, v183
	v_add_nc_u32_e32 v183, v82, v42
                                        ; implicit-def: $vgpr82
	s_delay_alu instid0(VALU_DEP_3)
	v_cmpx_ne_u32_e64 v40, v41
	s_xor_b32 s13, exec_lo, s13
; %bb.3423:                             ;   in Loop: Header=BB4_3380 Depth=3
	s_delay_alu instid0(VALU_DEP_2) | instskip(SKIP_2) | instid1(VALU_DEP_2)
	v_cmp_lt_u32_e32 vcc_lo, 0xffffff, v183
	v_sub_nc_u32_e32 v82, v40, v41
	v_cndmask_b32_e64 v40, 0, 1, vcc_lo
	v_add_co_ci_u32_e32 v82, vcc_lo, 0, v82, vcc_lo
	s_delay_alu instid0(VALU_DEP_2)
	v_lshrrev_b32_e32 v183, v40, v183
; %bb.3424:                             ;   in Loop: Header=BB4_3380 Depth=3
	s_and_not1_saveexec_b32 s13, s13
; %bb.3425:                             ;   in Loop: Header=BB4_3380 Depth=3
	s_delay_alu instid0(VALU_DEP_1)
	v_bfe_u32 v82, v183, 23, 1
; %bb.3426:                             ;   in Loop: Header=BB4_3380 Depth=3
	s_or_b32 exec_lo, exec_lo, s13
	v_lshrrev_b32_e32 v183, 20, v183
	s_delay_alu instid0(VALU_DEP_2) | instskip(SKIP_2) | instid1(VALU_DEP_2)
	v_cmp_gt_i32_e32 vcc_lo, 16, v82
	v_lshrrev_b32_e32 v182, 24, v182
	v_min_i32_e32 v40, 15, v82
	v_dual_cndmask_b32 v183, 7, v183 :: v_dual_and_b32 v182, 0x80, v182
	s_delay_alu instid0(VALU_DEP_2) | instskip(NEXT) | instid1(VALU_DEP_2)
	v_lshlrev_b32_e32 v40, 3, v40
	v_or_b32_e32 v82, v82, v183
	s_delay_alu instid0(VALU_DEP_1) | instskip(SKIP_1) | instid1(VALU_DEP_1)
	v_cmp_ne_u32_e32 vcc_lo, 0, v82
	v_and_b32_e32 v41, 7, v183
	v_or3_b32 v182, v40, v182, v41
	s_delay_alu instid0(VALU_DEP_1)
	v_cndmask_b32_e32 v82, 0, v182, vcc_lo
.LBB4_3427:                             ;   in Loop: Header=BB4_3380 Depth=3
	s_or_b32 exec_lo, exec_lo, s29
.LBB4_3428:                             ;   in Loop: Header=BB4_3380 Depth=3
	s_delay_alu instid0(SALU_CYCLE_1) | instskip(SKIP_3) | instid1(VALU_DEP_1)
	s_or_b32 exec_lo, exec_lo, s17
	v_and_b32_e32 v183, 0xff, v181
	s_mov_b32 s13, 0
	s_mov_b32 s29, exec_lo
                                        ; implicit-def: $sgpr17
	v_cmpx_lt_i16_e64 0x7f, v183
	s_xor_b32 s29, exec_lo, s29
	s_cbranch_execnz .LBB4_3658
; %bb.3429:                             ;   in Loop: Header=BB4_3380 Depth=3
	s_or_saveexec_b32 s29, s29
	v_mov_b32_e32 v182, s17
	s_xor_b32 exec_lo, exec_lo, s29
	s_cbranch_execnz .LBB4_3661
.LBB4_3430:                             ;   in Loop: Header=BB4_3380 Depth=3
	s_or_b32 exec_lo, exec_lo, s29
	s_and_saveexec_b32 s17, s13
	s_cbranch_execz .LBB4_3432
.LBB4_3431:                             ;   in Loop: Header=BB4_3380 Depth=3
	v_lshrrev_b16 v41, 3, v181
	s_delay_alu instid0(VALU_DEP_1) | instskip(NEXT) | instid1(VALU_DEP_1)
	v_and_b32_e32 v41, 15, v41
	v_cmp_eq_u32_e32 vcc_lo, 0, v41
	v_and_b32_e32 v182, 7, v181
	s_delay_alu instid0(VALU_DEP_1) | instskip(NEXT) | instid1(VALU_DEP_1)
	v_clz_i32_u32_e32 v183, v182
	v_min_u32_e32 v183, 32, v183
	s_delay_alu instid0(VALU_DEP_1) | instskip(SKIP_1) | instid1(VALU_DEP_1)
	v_subrev_nc_u32_e32 v40, 28, v183
	v_sub_nc_u32_e32 v183, 29, v183
	v_dual_cndmask_b32 v183, v41, v183 :: v_dual_lshlrev_b32 v40, v40, v181
	v_lshlrev_b32_e32 v181, 24, v181
	s_delay_alu instid0(VALU_DEP_2) | instskip(NEXT) | instid1(VALU_DEP_3)
	v_and_b32_e32 v40, 7, v40
	v_lshl_add_u32 v183, v183, 23, 0x3b800000
	s_delay_alu instid0(VALU_DEP_2) | instskip(NEXT) | instid1(VALU_DEP_1)
	v_dual_cndmask_b32 v182, v182, v40 :: v_dual_and_b32 v181, 0x80000000, v181
	v_lshlrev_b32_e32 v182, 20, v182
	s_delay_alu instid0(VALU_DEP_1)
	v_or3_b32 v182, v181, v183, v182
.LBB4_3432:                             ;   in Loop: Header=BB4_3380 Depth=3
	s_or_b32 exec_lo, exec_lo, s17
	s_waitcnt vmcnt(12) lgkmcnt(12)
	v_and_b32_e32 v183, 0xff, v85
	s_mov_b32 s13, 0
	s_mov_b32 s29, exec_lo
                                        ; implicit-def: $sgpr17
	s_delay_alu instid0(VALU_DEP_1)
	v_cmpx_lt_i16_e64 0x7f, v183
	s_xor_b32 s29, exec_lo, s29
	s_cbranch_execnz .LBB4_3662
; %bb.3433:                             ;   in Loop: Header=BB4_3380 Depth=3
	s_or_saveexec_b32 s29, s29
	v_mov_b32_e32 v181, s17
	s_xor_b32 exec_lo, exec_lo, s29
	s_cbranch_execnz .LBB4_3665
.LBB4_3434:                             ;   in Loop: Header=BB4_3380 Depth=3
	s_or_b32 exec_lo, exec_lo, s29
	s_and_saveexec_b32 s17, s13
	s_cbranch_execz .LBB4_3436
.LBB4_3435:                             ;   in Loop: Header=BB4_3380 Depth=3
	v_and_b32_e32 v181, 7, v85
	v_lshrrev_b16 v41, 3, v85
	s_delay_alu instid0(VALU_DEP_2) | instskip(NEXT) | instid1(VALU_DEP_2)
	v_clz_i32_u32_e32 v183, v181
	v_and_b32_e32 v41, 15, v41
	s_delay_alu instid0(VALU_DEP_2) | instskip(NEXT) | instid1(VALU_DEP_2)
	v_min_u32_e32 v183, 32, v183
	v_cmp_eq_u32_e32 vcc_lo, 0, v41
	s_delay_alu instid0(VALU_DEP_2) | instskip(SKIP_1) | instid1(VALU_DEP_1)
	v_subrev_nc_u32_e32 v40, 28, v183
	v_sub_nc_u32_e32 v183, 29, v183
	v_dual_cndmask_b32 v183, v41, v183 :: v_dual_lshlrev_b32 v40, v40, v85
	v_lshlrev_b32_e32 v85, 24, v85
	s_delay_alu instid0(VALU_DEP_2) | instskip(NEXT) | instid1(VALU_DEP_3)
	v_and_b32_e32 v40, 7, v40
	v_lshl_add_u32 v183, v183, 23, 0x3b800000
	s_delay_alu instid0(VALU_DEP_3) | instskip(NEXT) | instid1(VALU_DEP_3)
	v_and_b32_e32 v85, 0x80000000, v85
	v_cndmask_b32_e32 v181, v181, v40, vcc_lo
	s_delay_alu instid0(VALU_DEP_1) | instskip(NEXT) | instid1(VALU_DEP_1)
	v_lshlrev_b32_e32 v181, 20, v181
	v_or3_b32 v181, v85, v183, v181
.LBB4_3436:                             ;   in Loop: Header=BB4_3380 Depth=3
	s_or_b32 exec_lo, exec_lo, s17
	s_delay_alu instid0(VALU_DEP_1) | instskip(NEXT) | instid1(VALU_DEP_1)
	v_add_f32_e32 v181, v182, v181
	v_and_b32_e32 v85, 0x7f800000, v181
	s_delay_alu instid0(VALU_DEP_1)
	v_cmp_ne_u32_e32 vcc_lo, 0x7f800000, v85
	v_mov_b32_e32 v85, 0x80
	s_and_saveexec_b32 s17, vcc_lo
	s_cbranch_execz .LBB4_3444
; %bb.3437:                             ;   in Loop: Header=BB4_3380 Depth=3
	v_mov_b32_e32 v85, 0
	s_mov_b32 s29, exec_lo
	v_cmpx_ne_u32_e32 0, v181
	s_cbranch_execz .LBB4_3443
; %bb.3438:                             ;   in Loop: Header=BB4_3380 Depth=3
	v_bfe_u32 v85, v181, 23, 8
	s_delay_alu instid0(VALU_DEP_1) | instskip(SKIP_1) | instid1(VALU_DEP_2)
	v_sub_nc_u32_e32 v183, 0x78, v85
	v_cmp_gt_u32_e32 vcc_lo, 0x79, v85
	v_dual_cndmask_b32 v183, 0, v183 :: v_dual_and_b32 v182, 0x7fffff, v181
	s_delay_alu instid0(VALU_DEP_1) | instskip(SKIP_2) | instid1(VALU_DEP_4)
	v_or_b32_e32 v40, 0x800000, v182
	v_cmp_eq_u32_e32 vcc_lo, 0, v85
	v_add_nc_u32_e32 v85, 0xffffff89, v85
	v_cndmask_b32_e64 v183, v183, 0x77, vcc_lo
	s_delay_alu instid0(VALU_DEP_4) | instskip(NEXT) | instid1(VALU_DEP_3)
	v_cndmask_b32_e32 v182, v40, v182, vcc_lo
	v_cndmask_b32_e64 v85, v85, 0xffffff8a, vcc_lo
	s_delay_alu instid0(VALU_DEP_3) | instskip(NEXT) | instid1(VALU_DEP_3)
	v_lshl_add_u32 v40, 0x100000, v183, -1
	v_lshrrev_b32_e32 v41, v183, v182
	v_lshlrev_b32_e64 v43, v183, 0x80000
	s_delay_alu instid0(VALU_DEP_4) | instskip(NEXT) | instid1(VALU_DEP_4)
	v_add_nc_u32_e32 v183, v183, v85
	v_and_b32_e32 v182, v40, v182
	s_delay_alu instid0(VALU_DEP_4) | instskip(NEXT) | instid1(VALU_DEP_2)
	v_bfe_u32 v42, v41, 20, 1
	v_cmp_eq_u32_e64 s13, v182, v43
	s_delay_alu instid0(VALU_DEP_2) | instskip(NEXT) | instid1(VALU_DEP_1)
	v_add_nc_u32_e32 v40, -1, v42
	v_cndmask_b32_e64 v182, 0, v40, s13
	v_lshrrev_b32_e32 v40, 23, v41
	s_mov_b32 s13, exec_lo
	s_delay_alu instid0(VALU_DEP_2) | instskip(NEXT) | instid1(VALU_DEP_2)
	v_add_nc_u32_e32 v182, v182, v41
	v_xor_b32_e32 v40, 1, v40
	s_delay_alu instid0(VALU_DEP_2) | instskip(NEXT) | instid1(VALU_DEP_1)
	v_and_b32_e32 v85, 0xfffff, v182
	v_add_nc_u32_e32 v182, v85, v41
                                        ; implicit-def: $vgpr85
	s_delay_alu instid0(VALU_DEP_3)
	v_cmpx_ne_u32_e64 v183, v40
	s_xor_b32 s13, exec_lo, s13
; %bb.3439:                             ;   in Loop: Header=BB4_3380 Depth=3
	s_delay_alu instid0(VALU_DEP_2) | instskip(SKIP_2) | instid1(VALU_DEP_2)
	v_cmp_lt_u32_e32 vcc_lo, 0xffffff, v182
	v_sub_nc_u32_e32 v85, v183, v40
	v_cndmask_b32_e64 v183, 0, 1, vcc_lo
	v_add_co_ci_u32_e32 v85, vcc_lo, 0, v85, vcc_lo
	s_delay_alu instid0(VALU_DEP_2)
	v_lshrrev_b32_e32 v182, v183, v182
; %bb.3440:                             ;   in Loop: Header=BB4_3380 Depth=3
	s_and_not1_saveexec_b32 s13, s13
; %bb.3441:                             ;   in Loop: Header=BB4_3380 Depth=3
	s_delay_alu instid0(VALU_DEP_1)
	v_bfe_u32 v85, v182, 23, 1
; %bb.3442:                             ;   in Loop: Header=BB4_3380 Depth=3
	s_or_b32 exec_lo, exec_lo, s13
	v_lshrrev_b32_e32 v182, 20, v182
	s_delay_alu instid0(VALU_DEP_2) | instskip(SKIP_2) | instid1(VALU_DEP_2)
	v_cmp_gt_i32_e32 vcc_lo, 16, v85
	v_lshrrev_b32_e32 v181, 24, v181
	v_min_i32_e32 v183, 15, v85
	v_dual_cndmask_b32 v182, 7, v182 :: v_dual_and_b32 v181, 0x80, v181
	s_delay_alu instid0(VALU_DEP_2) | instskip(NEXT) | instid1(VALU_DEP_2)
	v_lshlrev_b32_e32 v183, 3, v183
	v_or_b32_e32 v85, v85, v182
	s_delay_alu instid0(VALU_DEP_1) | instskip(SKIP_1) | instid1(VALU_DEP_1)
	v_cmp_ne_u32_e32 vcc_lo, 0, v85
	v_and_b32_e32 v40, 7, v182
	v_or3_b32 v181, v183, v181, v40
	s_delay_alu instid0(VALU_DEP_1)
	v_cndmask_b32_e32 v85, 0, v181, vcc_lo
.LBB4_3443:                             ;   in Loop: Header=BB4_3380 Depth=3
	s_or_b32 exec_lo, exec_lo, s29
.LBB4_3444:                             ;   in Loop: Header=BB4_3380 Depth=3
	s_delay_alu instid0(SALU_CYCLE_1) | instskip(SKIP_3) | instid1(VALU_DEP_1)
	s_or_b32 exec_lo, exec_lo, s17
	v_and_b32_e32 v182, 0xff, v180
	s_mov_b32 s13, 0
	s_mov_b32 s29, exec_lo
                                        ; implicit-def: $sgpr17
	v_cmpx_lt_i16_e64 0x7f, v182
	s_xor_b32 s29, exec_lo, s29
	s_cbranch_execnz .LBB4_3666
; %bb.3445:                             ;   in Loop: Header=BB4_3380 Depth=3
	s_or_saveexec_b32 s29, s29
	v_mov_b32_e32 v181, s17
	s_xor_b32 exec_lo, exec_lo, s29
	s_cbranch_execnz .LBB4_3669
.LBB4_3446:                             ;   in Loop: Header=BB4_3380 Depth=3
	s_or_b32 exec_lo, exec_lo, s29
	s_and_saveexec_b32 s17, s13
	s_cbranch_execz .LBB4_3448
.LBB4_3447:                             ;   in Loop: Header=BB4_3380 Depth=3
	v_lshrrev_b16 v40, 3, v180
	s_delay_alu instid0(VALU_DEP_1) | instskip(NEXT) | instid1(VALU_DEP_1)
	v_and_b32_e32 v40, 15, v40
	v_cmp_eq_u32_e32 vcc_lo, 0, v40
	v_and_b32_e32 v181, 7, v180
	s_delay_alu instid0(VALU_DEP_1) | instskip(NEXT) | instid1(VALU_DEP_1)
	v_clz_i32_u32_e32 v182, v181
	v_min_u32_e32 v182, 32, v182
	s_delay_alu instid0(VALU_DEP_1) | instskip(SKIP_1) | instid1(VALU_DEP_1)
	v_subrev_nc_u32_e32 v183, 28, v182
	v_sub_nc_u32_e32 v182, 29, v182
	v_dual_cndmask_b32 v182, v40, v182 :: v_dual_lshlrev_b32 v183, v183, v180
	v_lshlrev_b32_e32 v180, 24, v180
	s_delay_alu instid0(VALU_DEP_2) | instskip(NEXT) | instid1(VALU_DEP_3)
	v_and_b32_e32 v183, 7, v183
	v_lshl_add_u32 v182, v182, 23, 0x3b800000
	s_delay_alu instid0(VALU_DEP_2) | instskip(NEXT) | instid1(VALU_DEP_1)
	v_dual_cndmask_b32 v181, v181, v183 :: v_dual_and_b32 v180, 0x80000000, v180
	v_lshlrev_b32_e32 v181, 20, v181
	s_delay_alu instid0(VALU_DEP_1)
	v_or3_b32 v181, v180, v182, v181
.LBB4_3448:                             ;   in Loop: Header=BB4_3380 Depth=3
	s_or_b32 exec_lo, exec_lo, s17
	s_waitcnt vmcnt(11) lgkmcnt(11)
	v_and_b32_e32 v182, 0xff, v151
	s_mov_b32 s13, 0
	s_mov_b32 s29, exec_lo
                                        ; implicit-def: $sgpr17
	s_delay_alu instid0(VALU_DEP_1)
	v_cmpx_lt_i16_e64 0x7f, v182
	s_xor_b32 s29, exec_lo, s29
	s_cbranch_execnz .LBB4_3670
; %bb.3449:                             ;   in Loop: Header=BB4_3380 Depth=3
	s_or_saveexec_b32 s29, s29
	v_mov_b32_e32 v180, s17
	s_xor_b32 exec_lo, exec_lo, s29
	s_cbranch_execnz .LBB4_3673
.LBB4_3450:                             ;   in Loop: Header=BB4_3380 Depth=3
	s_or_b32 exec_lo, exec_lo, s29
	s_and_saveexec_b32 s17, s13
	s_cbranch_execz .LBB4_3452
.LBB4_3451:                             ;   in Loop: Header=BB4_3380 Depth=3
	v_and_b32_e32 v180, 7, v151
	v_lshrrev_b16 v40, 3, v151
	s_delay_alu instid0(VALU_DEP_2) | instskip(NEXT) | instid1(VALU_DEP_2)
	v_clz_i32_u32_e32 v182, v180
	v_and_b32_e32 v40, 15, v40
	s_delay_alu instid0(VALU_DEP_2) | instskip(NEXT) | instid1(VALU_DEP_2)
	v_min_u32_e32 v182, 32, v182
	v_cmp_eq_u32_e32 vcc_lo, 0, v40
	s_delay_alu instid0(VALU_DEP_2) | instskip(SKIP_1) | instid1(VALU_DEP_1)
	v_subrev_nc_u32_e32 v183, 28, v182
	v_sub_nc_u32_e32 v182, 29, v182
	v_dual_cndmask_b32 v182, v40, v182 :: v_dual_lshlrev_b32 v183, v183, v151
	v_lshlrev_b32_e32 v151, 24, v151
	s_delay_alu instid0(VALU_DEP_2) | instskip(NEXT) | instid1(VALU_DEP_3)
	v_and_b32_e32 v183, 7, v183
	v_lshl_add_u32 v182, v182, 23, 0x3b800000
	s_delay_alu instid0(VALU_DEP_3) | instskip(NEXT) | instid1(VALU_DEP_3)
	v_and_b32_e32 v151, 0x80000000, v151
	v_cndmask_b32_e32 v180, v180, v183, vcc_lo
	s_delay_alu instid0(VALU_DEP_1) | instskip(NEXT) | instid1(VALU_DEP_1)
	v_lshlrev_b32_e32 v180, 20, v180
	v_or3_b32 v180, v151, v182, v180
.LBB4_3452:                             ;   in Loop: Header=BB4_3380 Depth=3
	s_or_b32 exec_lo, exec_lo, s17
	s_delay_alu instid0(VALU_DEP_1) | instskip(NEXT) | instid1(VALU_DEP_1)
	v_add_f32_e32 v180, v181, v180
	v_and_b32_e32 v151, 0x7f800000, v180
	s_delay_alu instid0(VALU_DEP_1)
	v_cmp_ne_u32_e32 vcc_lo, 0x7f800000, v151
	v_mov_b32_e32 v151, 0x80
	s_and_saveexec_b32 s17, vcc_lo
	s_cbranch_execz .LBB4_3460
; %bb.3453:                             ;   in Loop: Header=BB4_3380 Depth=3
	v_mov_b32_e32 v151, 0
	s_mov_b32 s29, exec_lo
	v_cmpx_ne_u32_e32 0, v180
	s_cbranch_execz .LBB4_3459
; %bb.3454:                             ;   in Loop: Header=BB4_3380 Depth=3
	v_bfe_u32 v151, v180, 23, 8
	s_delay_alu instid0(VALU_DEP_1) | instskip(SKIP_1) | instid1(VALU_DEP_2)
	v_sub_nc_u32_e32 v182, 0x78, v151
	v_cmp_gt_u32_e32 vcc_lo, 0x79, v151
	v_dual_cndmask_b32 v182, 0, v182 :: v_dual_and_b32 v181, 0x7fffff, v180
	s_delay_alu instid0(VALU_DEP_1) | instskip(SKIP_2) | instid1(VALU_DEP_4)
	v_or_b32_e32 v183, 0x800000, v181
	v_cmp_eq_u32_e32 vcc_lo, 0, v151
	v_add_nc_u32_e32 v151, 0xffffff89, v151
	v_cndmask_b32_e64 v182, v182, 0x77, vcc_lo
	s_delay_alu instid0(VALU_DEP_2) | instskip(SKIP_1) | instid1(VALU_DEP_3)
	v_cndmask_b32_e64 v151, v151, 0xffffff8a, vcc_lo
	v_cndmask_b32_e32 v181, v183, v181, vcc_lo
	v_lshl_add_u32 v183, 0x100000, v182, -1
	v_lshlrev_b32_e64 v42, v182, 0x80000
	s_delay_alu instid0(VALU_DEP_3) | instskip(SKIP_1) | instid1(VALU_DEP_4)
	v_lshrrev_b32_e32 v40, v182, v181
	v_add_nc_u32_e32 v182, v182, v151
	v_and_b32_e32 v181, v183, v181
	s_delay_alu instid0(VALU_DEP_3) | instskip(NEXT) | instid1(VALU_DEP_2)
	v_bfe_u32 v41, v40, 20, 1
	v_cmp_eq_u32_e64 s13, v181, v42
	s_delay_alu instid0(VALU_DEP_2) | instskip(NEXT) | instid1(VALU_DEP_1)
	v_add_nc_u32_e32 v183, -1, v41
	v_cndmask_b32_e64 v181, 0, v183, s13
	v_lshrrev_b32_e32 v183, 23, v40
	s_mov_b32 s13, exec_lo
	s_delay_alu instid0(VALU_DEP_2) | instskip(NEXT) | instid1(VALU_DEP_2)
	v_add_nc_u32_e32 v181, v181, v40
	v_xor_b32_e32 v183, 1, v183
	s_delay_alu instid0(VALU_DEP_2) | instskip(NEXT) | instid1(VALU_DEP_1)
	v_and_b32_e32 v151, 0xfffff, v181
	v_add_nc_u32_e32 v181, v151, v40
                                        ; implicit-def: $vgpr151
	s_delay_alu instid0(VALU_DEP_3)
	v_cmpx_ne_u32_e64 v182, v183
	s_xor_b32 s13, exec_lo, s13
; %bb.3455:                             ;   in Loop: Header=BB4_3380 Depth=3
	s_delay_alu instid0(VALU_DEP_2) | instskip(SKIP_2) | instid1(VALU_DEP_2)
	v_cmp_lt_u32_e32 vcc_lo, 0xffffff, v181
	v_sub_nc_u32_e32 v151, v182, v183
	v_cndmask_b32_e64 v182, 0, 1, vcc_lo
	v_add_co_ci_u32_e32 v151, vcc_lo, 0, v151, vcc_lo
	s_delay_alu instid0(VALU_DEP_2)
	v_lshrrev_b32_e32 v181, v182, v181
; %bb.3456:                             ;   in Loop: Header=BB4_3380 Depth=3
	s_and_not1_saveexec_b32 s13, s13
; %bb.3457:                             ;   in Loop: Header=BB4_3380 Depth=3
	s_delay_alu instid0(VALU_DEP_1)
	v_bfe_u32 v151, v181, 23, 1
; %bb.3458:                             ;   in Loop: Header=BB4_3380 Depth=3
	s_or_b32 exec_lo, exec_lo, s13
	v_lshrrev_b32_e32 v181, 20, v181
	s_delay_alu instid0(VALU_DEP_2) | instskip(SKIP_2) | instid1(VALU_DEP_2)
	v_cmp_gt_i32_e32 vcc_lo, 16, v151
	v_lshrrev_b32_e32 v180, 24, v180
	v_min_i32_e32 v182, 15, v151
	v_dual_cndmask_b32 v181, 7, v181 :: v_dual_and_b32 v180, 0x80, v180
	s_delay_alu instid0(VALU_DEP_1) | instskip(SKIP_1) | instid1(VALU_DEP_2)
	v_or_b32_e32 v151, v151, v181
	v_and_b32_e32 v183, 7, v181
	v_cmp_ne_u32_e32 vcc_lo, 0, v151
	v_lshlrev_b32_e32 v182, 3, v182
	s_delay_alu instid0(VALU_DEP_1) | instskip(NEXT) | instid1(VALU_DEP_1)
	v_or3_b32 v180, v182, v180, v183
	v_cndmask_b32_e32 v151, 0, v180, vcc_lo
.LBB4_3459:                             ;   in Loop: Header=BB4_3380 Depth=3
	s_or_b32 exec_lo, exec_lo, s29
.LBB4_3460:                             ;   in Loop: Header=BB4_3380 Depth=3
	s_delay_alu instid0(SALU_CYCLE_1) | instskip(SKIP_3) | instid1(VALU_DEP_1)
	s_or_b32 exec_lo, exec_lo, s17
	v_and_b32_e32 v181, 0xff, v179
	s_mov_b32 s13, 0
	s_mov_b32 s29, exec_lo
                                        ; implicit-def: $sgpr17
	v_cmpx_lt_i16_e64 0x7f, v181
	s_xor_b32 s29, exec_lo, s29
	s_cbranch_execnz .LBB4_3674
; %bb.3461:                             ;   in Loop: Header=BB4_3380 Depth=3
	s_or_saveexec_b32 s29, s29
	v_mov_b32_e32 v180, s17
	s_xor_b32 exec_lo, exec_lo, s29
	s_cbranch_execnz .LBB4_3677
.LBB4_3462:                             ;   in Loop: Header=BB4_3380 Depth=3
	s_or_b32 exec_lo, exec_lo, s29
	s_and_saveexec_b32 s17, s13
	s_cbranch_execz .LBB4_3464
.LBB4_3463:                             ;   in Loop: Header=BB4_3380 Depth=3
	v_lshrrev_b16 v183, 3, v179
	s_delay_alu instid0(VALU_DEP_1) | instskip(NEXT) | instid1(VALU_DEP_1)
	v_and_b32_e32 v183, 15, v183
	v_cmp_eq_u32_e32 vcc_lo, 0, v183
	v_and_b32_e32 v180, 7, v179
	s_delay_alu instid0(VALU_DEP_1) | instskip(NEXT) | instid1(VALU_DEP_1)
	v_clz_i32_u32_e32 v181, v180
	v_min_u32_e32 v181, 32, v181
	s_delay_alu instid0(VALU_DEP_1) | instskip(SKIP_1) | instid1(VALU_DEP_1)
	v_subrev_nc_u32_e32 v182, 28, v181
	v_sub_nc_u32_e32 v181, 29, v181
	v_dual_cndmask_b32 v181, v183, v181 :: v_dual_lshlrev_b32 v182, v182, v179
	v_lshlrev_b32_e32 v179, 24, v179
	s_delay_alu instid0(VALU_DEP_2) | instskip(NEXT) | instid1(VALU_DEP_3)
	v_and_b32_e32 v182, 7, v182
	v_lshl_add_u32 v181, v181, 23, 0x3b800000
	s_delay_alu instid0(VALU_DEP_2) | instskip(NEXT) | instid1(VALU_DEP_1)
	v_dual_cndmask_b32 v180, v180, v182 :: v_dual_and_b32 v179, 0x80000000, v179
	v_lshlrev_b32_e32 v180, 20, v180
	s_delay_alu instid0(VALU_DEP_1)
	v_or3_b32 v180, v179, v181, v180
.LBB4_3464:                             ;   in Loop: Header=BB4_3380 Depth=3
	s_or_b32 exec_lo, exec_lo, s17
	s_waitcnt vmcnt(10) lgkmcnt(10)
	v_and_b32_e32 v181, 0xff, v162
	s_mov_b32 s13, 0
	s_mov_b32 s29, exec_lo
                                        ; implicit-def: $sgpr17
	s_delay_alu instid0(VALU_DEP_1)
	v_cmpx_lt_i16_e64 0x7f, v181
	s_xor_b32 s29, exec_lo, s29
	s_cbranch_execnz .LBB4_3678
; %bb.3465:                             ;   in Loop: Header=BB4_3380 Depth=3
	s_or_saveexec_b32 s29, s29
	v_mov_b32_e32 v179, s17
	s_xor_b32 exec_lo, exec_lo, s29
	s_cbranch_execnz .LBB4_3681
.LBB4_3466:                             ;   in Loop: Header=BB4_3380 Depth=3
	s_or_b32 exec_lo, exec_lo, s29
	s_and_saveexec_b32 s17, s13
	s_cbranch_execz .LBB4_3468
.LBB4_3467:                             ;   in Loop: Header=BB4_3380 Depth=3
	v_and_b32_e32 v179, 7, v162
	v_lshrrev_b16 v183, 3, v162
	s_delay_alu instid0(VALU_DEP_2) | instskip(NEXT) | instid1(VALU_DEP_2)
	v_clz_i32_u32_e32 v181, v179
	v_and_b32_e32 v183, 15, v183
	s_delay_alu instid0(VALU_DEP_2) | instskip(NEXT) | instid1(VALU_DEP_2)
	v_min_u32_e32 v181, 32, v181
	v_cmp_eq_u32_e32 vcc_lo, 0, v183
	s_delay_alu instid0(VALU_DEP_2) | instskip(SKIP_1) | instid1(VALU_DEP_1)
	v_subrev_nc_u32_e32 v182, 28, v181
	v_sub_nc_u32_e32 v181, 29, v181
	v_dual_cndmask_b32 v181, v183, v181 :: v_dual_lshlrev_b32 v182, v182, v162
	v_lshlrev_b32_e32 v162, 24, v162
	s_delay_alu instid0(VALU_DEP_2) | instskip(NEXT) | instid1(VALU_DEP_3)
	v_and_b32_e32 v182, 7, v182
	v_lshl_add_u32 v181, v181, 23, 0x3b800000
	s_delay_alu instid0(VALU_DEP_3) | instskip(NEXT) | instid1(VALU_DEP_3)
	v_and_b32_e32 v162, 0x80000000, v162
	v_cndmask_b32_e32 v179, v179, v182, vcc_lo
	s_delay_alu instid0(VALU_DEP_1) | instskip(NEXT) | instid1(VALU_DEP_1)
	v_lshlrev_b32_e32 v179, 20, v179
	v_or3_b32 v179, v162, v181, v179
.LBB4_3468:                             ;   in Loop: Header=BB4_3380 Depth=3
	s_or_b32 exec_lo, exec_lo, s17
	s_delay_alu instid0(VALU_DEP_1) | instskip(NEXT) | instid1(VALU_DEP_1)
	v_add_f32_e32 v179, v180, v179
	v_and_b32_e32 v162, 0x7f800000, v179
	s_delay_alu instid0(VALU_DEP_1)
	v_cmp_ne_u32_e32 vcc_lo, 0x7f800000, v162
	v_mov_b32_e32 v162, 0x80
	s_and_saveexec_b32 s17, vcc_lo
	s_cbranch_execz .LBB4_3476
; %bb.3469:                             ;   in Loop: Header=BB4_3380 Depth=3
	v_mov_b32_e32 v162, 0
	s_mov_b32 s29, exec_lo
	v_cmpx_ne_u32_e32 0, v179
	s_cbranch_execz .LBB4_3475
; %bb.3470:                             ;   in Loop: Header=BB4_3380 Depth=3
	v_bfe_u32 v162, v179, 23, 8
	s_delay_alu instid0(VALU_DEP_1) | instskip(SKIP_1) | instid1(VALU_DEP_2)
	v_sub_nc_u32_e32 v181, 0x78, v162
	v_cmp_gt_u32_e32 vcc_lo, 0x79, v162
	v_dual_cndmask_b32 v181, 0, v181 :: v_dual_and_b32 v180, 0x7fffff, v179
	s_delay_alu instid0(VALU_DEP_1) | instskip(SKIP_2) | instid1(VALU_DEP_4)
	v_or_b32_e32 v182, 0x800000, v180
	v_cmp_eq_u32_e32 vcc_lo, 0, v162
	v_add_nc_u32_e32 v162, 0xffffff89, v162
	v_cndmask_b32_e64 v181, v181, 0x77, vcc_lo
	s_delay_alu instid0(VALU_DEP_2) | instskip(SKIP_1) | instid1(VALU_DEP_3)
	v_cndmask_b32_e64 v162, v162, 0xffffff8a, vcc_lo
	v_cndmask_b32_e32 v180, v182, v180, vcc_lo
	v_lshl_add_u32 v182, 0x100000, v181, -1
	v_lshlrev_b32_e64 v41, v181, 0x80000
	s_delay_alu instid0(VALU_DEP_3) | instskip(SKIP_1) | instid1(VALU_DEP_4)
	v_lshrrev_b32_e32 v183, v181, v180
	v_add_nc_u32_e32 v181, v181, v162
	v_and_b32_e32 v180, v182, v180
	s_delay_alu instid0(VALU_DEP_3) | instskip(NEXT) | instid1(VALU_DEP_2)
	v_bfe_u32 v40, v183, 20, 1
	v_cmp_eq_u32_e64 s13, v180, v41
	s_delay_alu instid0(VALU_DEP_2) | instskip(NEXT) | instid1(VALU_DEP_1)
	v_add_nc_u32_e32 v182, -1, v40
	v_cndmask_b32_e64 v180, 0, v182, s13
	v_lshrrev_b32_e32 v182, 23, v183
	s_mov_b32 s13, exec_lo
	s_delay_alu instid0(VALU_DEP_2) | instskip(NEXT) | instid1(VALU_DEP_2)
	v_add_nc_u32_e32 v180, v180, v183
	v_xor_b32_e32 v182, 1, v182
	s_delay_alu instid0(VALU_DEP_2) | instskip(NEXT) | instid1(VALU_DEP_1)
	v_and_b32_e32 v162, 0xfffff, v180
	v_add_nc_u32_e32 v180, v162, v183
                                        ; implicit-def: $vgpr162
	s_delay_alu instid0(VALU_DEP_3)
	v_cmpx_ne_u32_e64 v181, v182
	s_xor_b32 s13, exec_lo, s13
; %bb.3471:                             ;   in Loop: Header=BB4_3380 Depth=3
	s_delay_alu instid0(VALU_DEP_2) | instskip(SKIP_2) | instid1(VALU_DEP_2)
	v_cmp_lt_u32_e32 vcc_lo, 0xffffff, v180
	v_sub_nc_u32_e32 v162, v181, v182
	v_cndmask_b32_e64 v181, 0, 1, vcc_lo
	v_add_co_ci_u32_e32 v162, vcc_lo, 0, v162, vcc_lo
	s_delay_alu instid0(VALU_DEP_2)
	v_lshrrev_b32_e32 v180, v181, v180
; %bb.3472:                             ;   in Loop: Header=BB4_3380 Depth=3
	s_and_not1_saveexec_b32 s13, s13
; %bb.3473:                             ;   in Loop: Header=BB4_3380 Depth=3
	s_delay_alu instid0(VALU_DEP_1)
	v_bfe_u32 v162, v180, 23, 1
; %bb.3474:                             ;   in Loop: Header=BB4_3380 Depth=3
	s_or_b32 exec_lo, exec_lo, s13
	v_lshrrev_b32_e32 v180, 20, v180
	s_delay_alu instid0(VALU_DEP_2) | instskip(SKIP_2) | instid1(VALU_DEP_2)
	v_cmp_gt_i32_e32 vcc_lo, 16, v162
	v_lshrrev_b32_e32 v179, 24, v179
	v_min_i32_e32 v181, 15, v162
	v_dual_cndmask_b32 v180, 7, v180 :: v_dual_and_b32 v179, 0x80, v179
	s_delay_alu instid0(VALU_DEP_1) | instskip(SKIP_1) | instid1(VALU_DEP_2)
	v_or_b32_e32 v162, v162, v180
	v_and_b32_e32 v182, 7, v180
	v_cmp_ne_u32_e32 vcc_lo, 0, v162
	v_lshlrev_b32_e32 v181, 3, v181
	s_delay_alu instid0(VALU_DEP_1) | instskip(NEXT) | instid1(VALU_DEP_1)
	v_or3_b32 v179, v181, v179, v182
	v_cndmask_b32_e32 v162, 0, v179, vcc_lo
.LBB4_3475:                             ;   in Loop: Header=BB4_3380 Depth=3
	s_or_b32 exec_lo, exec_lo, s29
.LBB4_3476:                             ;   in Loop: Header=BB4_3380 Depth=3
	s_delay_alu instid0(SALU_CYCLE_1) | instskip(SKIP_3) | instid1(VALU_DEP_1)
	s_or_b32 exec_lo, exec_lo, s17
	v_and_b32_e32 v180, 0xff, v178
	s_mov_b32 s13, 0
	s_mov_b32 s29, exec_lo
                                        ; implicit-def: $sgpr17
	v_cmpx_lt_i16_e64 0x7f, v180
	s_xor_b32 s29, exec_lo, s29
	s_cbranch_execnz .LBB4_3682
; %bb.3477:                             ;   in Loop: Header=BB4_3380 Depth=3
	s_or_saveexec_b32 s29, s29
	v_mov_b32_e32 v179, s17
	s_xor_b32 exec_lo, exec_lo, s29
	s_cbranch_execnz .LBB4_3685
.LBB4_3478:                             ;   in Loop: Header=BB4_3380 Depth=3
	s_or_b32 exec_lo, exec_lo, s29
	s_and_saveexec_b32 s17, s13
	s_cbranch_execz .LBB4_3480
.LBB4_3479:                             ;   in Loop: Header=BB4_3380 Depth=3
	v_lshrrev_b16 v182, 3, v178
	s_delay_alu instid0(VALU_DEP_1) | instskip(NEXT) | instid1(VALU_DEP_1)
	v_and_b32_e32 v182, 15, v182
	v_cmp_eq_u32_e32 vcc_lo, 0, v182
	v_and_b32_e32 v179, 7, v178
	s_delay_alu instid0(VALU_DEP_1) | instskip(NEXT) | instid1(VALU_DEP_1)
	v_clz_i32_u32_e32 v180, v179
	v_min_u32_e32 v180, 32, v180
	s_delay_alu instid0(VALU_DEP_1) | instskip(SKIP_1) | instid1(VALU_DEP_1)
	v_subrev_nc_u32_e32 v181, 28, v180
	v_sub_nc_u32_e32 v180, 29, v180
	v_dual_cndmask_b32 v180, v182, v180 :: v_dual_lshlrev_b32 v181, v181, v178
	v_lshlrev_b32_e32 v178, 24, v178
	s_delay_alu instid0(VALU_DEP_2) | instskip(NEXT) | instid1(VALU_DEP_3)
	v_and_b32_e32 v181, 7, v181
	v_lshl_add_u32 v180, v180, 23, 0x3b800000
	s_delay_alu instid0(VALU_DEP_2) | instskip(NEXT) | instid1(VALU_DEP_1)
	v_dual_cndmask_b32 v179, v179, v181 :: v_dual_and_b32 v178, 0x80000000, v178
	v_lshlrev_b32_e32 v179, 20, v179
	s_delay_alu instid0(VALU_DEP_1)
	v_or3_b32 v179, v178, v180, v179
.LBB4_3480:                             ;   in Loop: Header=BB4_3380 Depth=3
	s_or_b32 exec_lo, exec_lo, s17
	s_waitcnt vmcnt(9) lgkmcnt(9)
	v_and_b32_e32 v180, 0xff, v165
	s_mov_b32 s13, 0
	s_mov_b32 s29, exec_lo
                                        ; implicit-def: $sgpr17
	s_delay_alu instid0(VALU_DEP_1)
	v_cmpx_lt_i16_e64 0x7f, v180
	s_xor_b32 s29, exec_lo, s29
	s_cbranch_execnz .LBB4_3686
; %bb.3481:                             ;   in Loop: Header=BB4_3380 Depth=3
	s_or_saveexec_b32 s29, s29
	v_mov_b32_e32 v178, s17
	s_xor_b32 exec_lo, exec_lo, s29
	s_cbranch_execnz .LBB4_3689
.LBB4_3482:                             ;   in Loop: Header=BB4_3380 Depth=3
	s_or_b32 exec_lo, exec_lo, s29
	s_and_saveexec_b32 s17, s13
	s_cbranch_execz .LBB4_3484
.LBB4_3483:                             ;   in Loop: Header=BB4_3380 Depth=3
	v_and_b32_e32 v178, 7, v165
	v_lshrrev_b16 v182, 3, v165
	s_delay_alu instid0(VALU_DEP_2) | instskip(NEXT) | instid1(VALU_DEP_2)
	v_clz_i32_u32_e32 v180, v178
	v_and_b32_e32 v182, 15, v182
	s_delay_alu instid0(VALU_DEP_2) | instskip(NEXT) | instid1(VALU_DEP_2)
	v_min_u32_e32 v180, 32, v180
	v_cmp_eq_u32_e32 vcc_lo, 0, v182
	s_delay_alu instid0(VALU_DEP_2) | instskip(SKIP_1) | instid1(VALU_DEP_1)
	v_subrev_nc_u32_e32 v181, 28, v180
	v_sub_nc_u32_e32 v180, 29, v180
	v_dual_cndmask_b32 v180, v182, v180 :: v_dual_lshlrev_b32 v181, v181, v165
	v_lshlrev_b32_e32 v165, 24, v165
	s_delay_alu instid0(VALU_DEP_2) | instskip(NEXT) | instid1(VALU_DEP_3)
	v_and_b32_e32 v181, 7, v181
	v_lshl_add_u32 v180, v180, 23, 0x3b800000
	s_delay_alu instid0(VALU_DEP_3) | instskip(NEXT) | instid1(VALU_DEP_3)
	v_and_b32_e32 v165, 0x80000000, v165
	v_cndmask_b32_e32 v178, v178, v181, vcc_lo
	s_delay_alu instid0(VALU_DEP_1) | instskip(NEXT) | instid1(VALU_DEP_1)
	v_lshlrev_b32_e32 v178, 20, v178
	v_or3_b32 v178, v165, v180, v178
.LBB4_3484:                             ;   in Loop: Header=BB4_3380 Depth=3
	s_or_b32 exec_lo, exec_lo, s17
	s_delay_alu instid0(VALU_DEP_1) | instskip(NEXT) | instid1(VALU_DEP_1)
	v_add_f32_e32 v178, v179, v178
	v_and_b32_e32 v165, 0x7f800000, v178
	s_delay_alu instid0(VALU_DEP_1)
	v_cmp_ne_u32_e32 vcc_lo, 0x7f800000, v165
	v_mov_b32_e32 v165, 0x80
	s_and_saveexec_b32 s17, vcc_lo
	s_cbranch_execz .LBB4_3492
; %bb.3485:                             ;   in Loop: Header=BB4_3380 Depth=3
	v_mov_b32_e32 v165, 0
	s_mov_b32 s29, exec_lo
	v_cmpx_ne_u32_e32 0, v178
	s_cbranch_execz .LBB4_3491
; %bb.3486:                             ;   in Loop: Header=BB4_3380 Depth=3
	v_bfe_u32 v165, v178, 23, 8
	s_delay_alu instid0(VALU_DEP_1) | instskip(SKIP_1) | instid1(VALU_DEP_2)
	v_sub_nc_u32_e32 v180, 0x78, v165
	v_cmp_gt_u32_e32 vcc_lo, 0x79, v165
	v_dual_cndmask_b32 v180, 0, v180 :: v_dual_and_b32 v179, 0x7fffff, v178
	s_delay_alu instid0(VALU_DEP_1) | instskip(SKIP_2) | instid1(VALU_DEP_4)
	v_or_b32_e32 v181, 0x800000, v179
	v_cmp_eq_u32_e32 vcc_lo, 0, v165
	v_add_nc_u32_e32 v165, 0xffffff89, v165
	v_cndmask_b32_e64 v180, v180, 0x77, vcc_lo
	s_delay_alu instid0(VALU_DEP_2) | instskip(SKIP_1) | instid1(VALU_DEP_3)
	v_cndmask_b32_e64 v165, v165, 0xffffff8a, vcc_lo
	v_cndmask_b32_e32 v179, v181, v179, vcc_lo
	v_lshl_add_u32 v181, 0x100000, v180, -1
	v_lshlrev_b32_e64 v40, v180, 0x80000
	s_delay_alu instid0(VALU_DEP_3) | instskip(SKIP_1) | instid1(VALU_DEP_4)
	v_lshrrev_b32_e32 v182, v180, v179
	v_add_nc_u32_e32 v180, v180, v165
	v_and_b32_e32 v179, v181, v179
	s_delay_alu instid0(VALU_DEP_3) | instskip(NEXT) | instid1(VALU_DEP_2)
	v_bfe_u32 v183, v182, 20, 1
	v_cmp_eq_u32_e64 s13, v179, v40
	s_delay_alu instid0(VALU_DEP_2) | instskip(NEXT) | instid1(VALU_DEP_1)
	v_add_nc_u32_e32 v181, -1, v183
	v_cndmask_b32_e64 v179, 0, v181, s13
	v_lshrrev_b32_e32 v181, 23, v182
	s_mov_b32 s13, exec_lo
	s_delay_alu instid0(VALU_DEP_2) | instskip(NEXT) | instid1(VALU_DEP_2)
	v_add_nc_u32_e32 v179, v179, v182
	v_xor_b32_e32 v181, 1, v181
	s_delay_alu instid0(VALU_DEP_2) | instskip(NEXT) | instid1(VALU_DEP_1)
	v_and_b32_e32 v165, 0xfffff, v179
	v_add_nc_u32_e32 v179, v165, v182
                                        ; implicit-def: $vgpr165
	s_delay_alu instid0(VALU_DEP_3)
	v_cmpx_ne_u32_e64 v180, v181
	s_xor_b32 s13, exec_lo, s13
; %bb.3487:                             ;   in Loop: Header=BB4_3380 Depth=3
	s_delay_alu instid0(VALU_DEP_2) | instskip(SKIP_2) | instid1(VALU_DEP_2)
	v_cmp_lt_u32_e32 vcc_lo, 0xffffff, v179
	v_sub_nc_u32_e32 v165, v180, v181
	v_cndmask_b32_e64 v180, 0, 1, vcc_lo
	v_add_co_ci_u32_e32 v165, vcc_lo, 0, v165, vcc_lo
	s_delay_alu instid0(VALU_DEP_2)
	v_lshrrev_b32_e32 v179, v180, v179
; %bb.3488:                             ;   in Loop: Header=BB4_3380 Depth=3
	s_and_not1_saveexec_b32 s13, s13
; %bb.3489:                             ;   in Loop: Header=BB4_3380 Depth=3
	s_delay_alu instid0(VALU_DEP_1)
	v_bfe_u32 v165, v179, 23, 1
; %bb.3490:                             ;   in Loop: Header=BB4_3380 Depth=3
	s_or_b32 exec_lo, exec_lo, s13
	v_lshrrev_b32_e32 v179, 20, v179
	s_delay_alu instid0(VALU_DEP_2) | instskip(SKIP_2) | instid1(VALU_DEP_2)
	v_cmp_gt_i32_e32 vcc_lo, 16, v165
	v_lshrrev_b32_e32 v178, 24, v178
	v_min_i32_e32 v180, 15, v165
	v_dual_cndmask_b32 v179, 7, v179 :: v_dual_and_b32 v178, 0x80, v178
	s_delay_alu instid0(VALU_DEP_1) | instskip(SKIP_1) | instid1(VALU_DEP_2)
	v_or_b32_e32 v165, v165, v179
	v_and_b32_e32 v181, 7, v179
	v_cmp_ne_u32_e32 vcc_lo, 0, v165
	v_lshlrev_b32_e32 v180, 3, v180
	s_delay_alu instid0(VALU_DEP_1) | instskip(NEXT) | instid1(VALU_DEP_1)
	v_or3_b32 v178, v180, v178, v181
	v_cndmask_b32_e32 v165, 0, v178, vcc_lo
.LBB4_3491:                             ;   in Loop: Header=BB4_3380 Depth=3
	s_or_b32 exec_lo, exec_lo, s29
.LBB4_3492:                             ;   in Loop: Header=BB4_3380 Depth=3
	s_delay_alu instid0(SALU_CYCLE_1) | instskip(SKIP_3) | instid1(VALU_DEP_1)
	s_or_b32 exec_lo, exec_lo, s17
	v_and_b32_e32 v179, 0xff, v177
	s_mov_b32 s13, 0
	s_mov_b32 s29, exec_lo
                                        ; implicit-def: $sgpr17
	v_cmpx_lt_i16_e64 0x7f, v179
	s_xor_b32 s29, exec_lo, s29
	s_cbranch_execnz .LBB4_3690
; %bb.3493:                             ;   in Loop: Header=BB4_3380 Depth=3
	s_or_saveexec_b32 s29, s29
	v_mov_b32_e32 v178, s17
	s_xor_b32 exec_lo, exec_lo, s29
	s_cbranch_execnz .LBB4_3693
.LBB4_3494:                             ;   in Loop: Header=BB4_3380 Depth=3
	s_or_b32 exec_lo, exec_lo, s29
	s_and_saveexec_b32 s17, s13
	s_cbranch_execz .LBB4_3496
.LBB4_3495:                             ;   in Loop: Header=BB4_3380 Depth=3
	v_lshrrev_b16 v181, 3, v177
	s_delay_alu instid0(VALU_DEP_1) | instskip(NEXT) | instid1(VALU_DEP_1)
	v_and_b32_e32 v181, 15, v181
	v_cmp_eq_u32_e32 vcc_lo, 0, v181
	v_and_b32_e32 v178, 7, v177
	s_delay_alu instid0(VALU_DEP_1) | instskip(NEXT) | instid1(VALU_DEP_1)
	v_clz_i32_u32_e32 v179, v178
	v_min_u32_e32 v179, 32, v179
	s_delay_alu instid0(VALU_DEP_1) | instskip(SKIP_1) | instid1(VALU_DEP_1)
	v_subrev_nc_u32_e32 v180, 28, v179
	v_sub_nc_u32_e32 v179, 29, v179
	v_dual_cndmask_b32 v179, v181, v179 :: v_dual_lshlrev_b32 v180, v180, v177
	v_lshlrev_b32_e32 v177, 24, v177
	s_delay_alu instid0(VALU_DEP_2) | instskip(NEXT) | instid1(VALU_DEP_3)
	v_and_b32_e32 v180, 7, v180
	v_lshl_add_u32 v179, v179, 23, 0x3b800000
	s_delay_alu instid0(VALU_DEP_2) | instskip(NEXT) | instid1(VALU_DEP_1)
	v_dual_cndmask_b32 v178, v178, v180 :: v_dual_and_b32 v177, 0x80000000, v177
	v_lshlrev_b32_e32 v178, 20, v178
	s_delay_alu instid0(VALU_DEP_1)
	v_or3_b32 v178, v177, v179, v178
.LBB4_3496:                             ;   in Loop: Header=BB4_3380 Depth=3
	s_or_b32 exec_lo, exec_lo, s17
	s_waitcnt vmcnt(8) lgkmcnt(8)
	v_and_b32_e32 v179, 0xff, v176
	s_mov_b32 s13, 0
	s_mov_b32 s29, exec_lo
                                        ; implicit-def: $sgpr17
	s_delay_alu instid0(VALU_DEP_1)
	v_cmpx_lt_i16_e64 0x7f, v179
	s_xor_b32 s29, exec_lo, s29
	s_cbranch_execnz .LBB4_3694
; %bb.3497:                             ;   in Loop: Header=BB4_3380 Depth=3
	s_or_saveexec_b32 s29, s29
	v_mov_b32_e32 v177, s17
	s_xor_b32 exec_lo, exec_lo, s29
	s_cbranch_execnz .LBB4_3697
.LBB4_3498:                             ;   in Loop: Header=BB4_3380 Depth=3
	s_or_b32 exec_lo, exec_lo, s29
	s_and_saveexec_b32 s17, s13
	s_cbranch_execz .LBB4_3500
.LBB4_3499:                             ;   in Loop: Header=BB4_3380 Depth=3
	v_and_b32_e32 v177, 7, v176
	v_lshrrev_b16 v181, 3, v176
	s_delay_alu instid0(VALU_DEP_2) | instskip(NEXT) | instid1(VALU_DEP_2)
	v_clz_i32_u32_e32 v179, v177
	v_and_b32_e32 v181, 15, v181
	s_delay_alu instid0(VALU_DEP_2) | instskip(NEXT) | instid1(VALU_DEP_2)
	v_min_u32_e32 v179, 32, v179
	v_cmp_eq_u32_e32 vcc_lo, 0, v181
	s_delay_alu instid0(VALU_DEP_2) | instskip(SKIP_1) | instid1(VALU_DEP_1)
	v_subrev_nc_u32_e32 v180, 28, v179
	v_sub_nc_u32_e32 v179, 29, v179
	v_dual_cndmask_b32 v179, v181, v179 :: v_dual_lshlrev_b32 v180, v180, v176
	v_lshlrev_b32_e32 v176, 24, v176
	s_delay_alu instid0(VALU_DEP_2) | instskip(NEXT) | instid1(VALU_DEP_3)
	v_and_b32_e32 v180, 7, v180
	v_lshl_add_u32 v179, v179, 23, 0x3b800000
	s_delay_alu instid0(VALU_DEP_3) | instskip(NEXT) | instid1(VALU_DEP_3)
	v_and_b32_e32 v176, 0x80000000, v176
	v_cndmask_b32_e32 v177, v177, v180, vcc_lo
	s_delay_alu instid0(VALU_DEP_1) | instskip(NEXT) | instid1(VALU_DEP_1)
	v_lshlrev_b32_e32 v177, 20, v177
	v_or3_b32 v177, v176, v179, v177
.LBB4_3500:                             ;   in Loop: Header=BB4_3380 Depth=3
	s_or_b32 exec_lo, exec_lo, s17
	s_delay_alu instid0(VALU_DEP_1) | instskip(NEXT) | instid1(VALU_DEP_1)
	v_add_f32_e32 v177, v178, v177
	v_and_b32_e32 v176, 0x7f800000, v177
	s_delay_alu instid0(VALU_DEP_1)
	v_cmp_ne_u32_e32 vcc_lo, 0x7f800000, v176
	v_mov_b32_e32 v176, 0x80
	s_and_saveexec_b32 s17, vcc_lo
	s_cbranch_execz .LBB4_3508
; %bb.3501:                             ;   in Loop: Header=BB4_3380 Depth=3
	v_mov_b32_e32 v176, 0
	s_mov_b32 s29, exec_lo
	v_cmpx_ne_u32_e32 0, v177
	s_cbranch_execz .LBB4_3507
; %bb.3502:                             ;   in Loop: Header=BB4_3380 Depth=3
	v_bfe_u32 v176, v177, 23, 8
	s_delay_alu instid0(VALU_DEP_1) | instskip(SKIP_1) | instid1(VALU_DEP_2)
	v_sub_nc_u32_e32 v179, 0x78, v176
	v_cmp_gt_u32_e32 vcc_lo, 0x79, v176
	v_dual_cndmask_b32 v179, 0, v179 :: v_dual_and_b32 v178, 0x7fffff, v177
	s_delay_alu instid0(VALU_DEP_1) | instskip(SKIP_2) | instid1(VALU_DEP_4)
	v_or_b32_e32 v180, 0x800000, v178
	v_cmp_eq_u32_e32 vcc_lo, 0, v176
	v_add_nc_u32_e32 v176, 0xffffff89, v176
	v_cndmask_b32_e64 v179, v179, 0x77, vcc_lo
	s_delay_alu instid0(VALU_DEP_2) | instskip(SKIP_1) | instid1(VALU_DEP_3)
	v_cndmask_b32_e64 v176, v176, 0xffffff8a, vcc_lo
	v_cndmask_b32_e32 v178, v180, v178, vcc_lo
	v_lshl_add_u32 v180, 0x100000, v179, -1
	v_lshlrev_b32_e64 v183, v179, 0x80000
	s_delay_alu instid0(VALU_DEP_3) | instskip(SKIP_1) | instid1(VALU_DEP_4)
	v_lshrrev_b32_e32 v181, v179, v178
	v_add_nc_u32_e32 v179, v179, v176
	v_and_b32_e32 v178, v180, v178
	s_delay_alu instid0(VALU_DEP_3) | instskip(NEXT) | instid1(VALU_DEP_2)
	v_bfe_u32 v182, v181, 20, 1
	v_cmp_eq_u32_e64 s13, v178, v183
	s_delay_alu instid0(VALU_DEP_2) | instskip(NEXT) | instid1(VALU_DEP_1)
	v_add_nc_u32_e32 v180, -1, v182
	v_cndmask_b32_e64 v178, 0, v180, s13
	v_lshrrev_b32_e32 v180, 23, v181
	s_mov_b32 s13, exec_lo
	s_delay_alu instid0(VALU_DEP_2) | instskip(NEXT) | instid1(VALU_DEP_2)
	v_add_nc_u32_e32 v178, v178, v181
	v_xor_b32_e32 v180, 1, v180
	s_delay_alu instid0(VALU_DEP_2) | instskip(NEXT) | instid1(VALU_DEP_1)
	v_and_b32_e32 v176, 0xfffff, v178
	v_add_nc_u32_e32 v178, v176, v181
                                        ; implicit-def: $vgpr176
	s_delay_alu instid0(VALU_DEP_3)
	v_cmpx_ne_u32_e64 v179, v180
	s_xor_b32 s13, exec_lo, s13
; %bb.3503:                             ;   in Loop: Header=BB4_3380 Depth=3
	s_delay_alu instid0(VALU_DEP_2) | instskip(SKIP_2) | instid1(VALU_DEP_2)
	v_cmp_lt_u32_e32 vcc_lo, 0xffffff, v178
	v_sub_nc_u32_e32 v176, v179, v180
	v_cndmask_b32_e64 v179, 0, 1, vcc_lo
	v_add_co_ci_u32_e32 v176, vcc_lo, 0, v176, vcc_lo
	s_delay_alu instid0(VALU_DEP_2)
	v_lshrrev_b32_e32 v178, v179, v178
; %bb.3504:                             ;   in Loop: Header=BB4_3380 Depth=3
	s_and_not1_saveexec_b32 s13, s13
; %bb.3505:                             ;   in Loop: Header=BB4_3380 Depth=3
	s_delay_alu instid0(VALU_DEP_1)
	v_bfe_u32 v176, v178, 23, 1
; %bb.3506:                             ;   in Loop: Header=BB4_3380 Depth=3
	s_or_b32 exec_lo, exec_lo, s13
	v_lshrrev_b32_e32 v178, 20, v178
	s_delay_alu instid0(VALU_DEP_2) | instskip(SKIP_2) | instid1(VALU_DEP_2)
	v_cmp_gt_i32_e32 vcc_lo, 16, v176
	v_lshrrev_b32_e32 v177, 24, v177
	v_min_i32_e32 v179, 15, v176
	v_dual_cndmask_b32 v178, 7, v178 :: v_dual_and_b32 v177, 0x80, v177
	s_delay_alu instid0(VALU_DEP_1) | instskip(SKIP_1) | instid1(VALU_DEP_2)
	v_or_b32_e32 v176, v176, v178
	v_and_b32_e32 v180, 7, v178
	v_cmp_ne_u32_e32 vcc_lo, 0, v176
	v_lshlrev_b32_e32 v179, 3, v179
	s_delay_alu instid0(VALU_DEP_1) | instskip(NEXT) | instid1(VALU_DEP_1)
	v_or3_b32 v177, v179, v177, v180
	v_cndmask_b32_e32 v176, 0, v177, vcc_lo
.LBB4_3507:                             ;   in Loop: Header=BB4_3380 Depth=3
	s_or_b32 exec_lo, exec_lo, s29
.LBB4_3508:                             ;   in Loop: Header=BB4_3380 Depth=3
	s_delay_alu instid0(SALU_CYCLE_1) | instskip(SKIP_3) | instid1(VALU_DEP_1)
	s_or_b32 exec_lo, exec_lo, s17
	v_and_b32_e32 v178, 0xff, v167
	s_mov_b32 s13, 0
	s_mov_b32 s29, exec_lo
                                        ; implicit-def: $sgpr17
	v_cmpx_lt_i16_e64 0x7f, v178
	s_xor_b32 s29, exec_lo, s29
	s_cbranch_execnz .LBB4_3698
; %bb.3509:                             ;   in Loop: Header=BB4_3380 Depth=3
	s_or_saveexec_b32 s29, s29
	v_mov_b32_e32 v177, s17
	s_xor_b32 exec_lo, exec_lo, s29
	s_cbranch_execnz .LBB4_3701
.LBB4_3510:                             ;   in Loop: Header=BB4_3380 Depth=3
	s_or_b32 exec_lo, exec_lo, s29
	s_and_saveexec_b32 s17, s13
	s_cbranch_execz .LBB4_3512
.LBB4_3511:                             ;   in Loop: Header=BB4_3380 Depth=3
	v_lshrrev_b16 v180, 3, v167
	s_delay_alu instid0(VALU_DEP_1) | instskip(NEXT) | instid1(VALU_DEP_1)
	v_and_b32_e32 v180, 15, v180
	v_cmp_eq_u32_e32 vcc_lo, 0, v180
	v_and_b32_e32 v177, 7, v167
	s_delay_alu instid0(VALU_DEP_1) | instskip(NEXT) | instid1(VALU_DEP_1)
	v_clz_i32_u32_e32 v178, v177
	v_min_u32_e32 v178, 32, v178
	s_delay_alu instid0(VALU_DEP_1) | instskip(SKIP_1) | instid1(VALU_DEP_1)
	v_subrev_nc_u32_e32 v179, 28, v178
	v_sub_nc_u32_e32 v178, 29, v178
	v_dual_cndmask_b32 v178, v180, v178 :: v_dual_lshlrev_b32 v179, v179, v167
	v_lshlrev_b32_e32 v167, 24, v167
	s_delay_alu instid0(VALU_DEP_2) | instskip(NEXT) | instid1(VALU_DEP_3)
	v_and_b32_e32 v179, 7, v179
	v_lshl_add_u32 v178, v178, 23, 0x3b800000
	s_delay_alu instid0(VALU_DEP_3) | instskip(NEXT) | instid1(VALU_DEP_3)
	v_and_b32_e32 v167, 0x80000000, v167
	v_cndmask_b32_e32 v177, v177, v179, vcc_lo
	s_delay_alu instid0(VALU_DEP_1) | instskip(NEXT) | instid1(VALU_DEP_1)
	v_lshlrev_b32_e32 v177, 20, v177
	v_or3_b32 v177, v167, v178, v177
.LBB4_3512:                             ;   in Loop: Header=BB4_3380 Depth=3
	s_or_b32 exec_lo, exec_lo, s17
	s_waitcnt vmcnt(7) lgkmcnt(7)
	v_and_b32_e32 v178, 0xff, v166
	s_mov_b32 s13, 0
	s_mov_b32 s29, exec_lo
                                        ; implicit-def: $sgpr17
	s_delay_alu instid0(VALU_DEP_1)
	v_cmpx_lt_i16_e64 0x7f, v178
	s_xor_b32 s29, exec_lo, s29
	s_cbranch_execnz .LBB4_3702
; %bb.3513:                             ;   in Loop: Header=BB4_3380 Depth=3
	s_or_saveexec_b32 s29, s29
	v_mov_b32_e32 v167, s17
	s_xor_b32 exec_lo, exec_lo, s29
	s_cbranch_execnz .LBB4_3705
.LBB4_3514:                             ;   in Loop: Header=BB4_3380 Depth=3
	s_or_b32 exec_lo, exec_lo, s29
	s_and_saveexec_b32 s17, s13
	s_cbranch_execz .LBB4_3516
.LBB4_3515:                             ;   in Loop: Header=BB4_3380 Depth=3
	v_and_b32_e32 v167, 7, v166
	v_lshrrev_b16 v180, 3, v166
	s_delay_alu instid0(VALU_DEP_2) | instskip(NEXT) | instid1(VALU_DEP_1)
	v_clz_i32_u32_e32 v178, v167
	v_min_u32_e32 v178, 32, v178
	s_delay_alu instid0(VALU_DEP_1) | instskip(SKIP_1) | instid1(VALU_DEP_2)
	v_subrev_nc_u32_e32 v179, 28, v178
	v_sub_nc_u32_e32 v178, 29, v178
	v_lshlrev_b32_e32 v179, v179, v166
	v_lshlrev_b32_e32 v166, 24, v166
	s_delay_alu instid0(VALU_DEP_2) | instskip(SKIP_1) | instid1(VALU_DEP_3)
	v_and_b32_e32 v179, 7, v179
	v_and_b32_e32 v180, 15, v180
	v_and_b32_e32 v166, 0x80000000, v166
	s_delay_alu instid0(VALU_DEP_2) | instskip(NEXT) | instid1(VALU_DEP_4)
	v_cmp_eq_u32_e32 vcc_lo, 0, v180
	v_dual_cndmask_b32 v167, v167, v179 :: v_dual_cndmask_b32 v178, v180, v178
	s_delay_alu instid0(VALU_DEP_1) | instskip(NEXT) | instid1(VALU_DEP_2)
	v_lshlrev_b32_e32 v167, 20, v167
	v_lshl_add_u32 v178, v178, 23, 0x3b800000
	s_delay_alu instid0(VALU_DEP_1)
	v_or3_b32 v167, v166, v178, v167
.LBB4_3516:                             ;   in Loop: Header=BB4_3380 Depth=3
	s_or_b32 exec_lo, exec_lo, s17
	s_delay_alu instid0(VALU_DEP_1) | instskip(NEXT) | instid1(VALU_DEP_1)
	v_add_f32_e32 v167, v177, v167
	v_and_b32_e32 v166, 0x7f800000, v167
	s_delay_alu instid0(VALU_DEP_1)
	v_cmp_ne_u32_e32 vcc_lo, 0x7f800000, v166
	v_mov_b32_e32 v166, 0x80
	s_and_saveexec_b32 s17, vcc_lo
	s_cbranch_execz .LBB4_3524
; %bb.3517:                             ;   in Loop: Header=BB4_3380 Depth=3
	v_mov_b32_e32 v166, 0
	s_mov_b32 s29, exec_lo
	v_cmpx_ne_u32_e32 0, v167
	s_cbranch_execz .LBB4_3523
; %bb.3518:                             ;   in Loop: Header=BB4_3380 Depth=3
	v_bfe_u32 v166, v167, 23, 8
	s_delay_alu instid0(VALU_DEP_1) | instskip(SKIP_1) | instid1(VALU_DEP_2)
	v_sub_nc_u32_e32 v178, 0x78, v166
	v_cmp_gt_u32_e32 vcc_lo, 0x79, v166
	v_dual_cndmask_b32 v178, 0, v178 :: v_dual_and_b32 v177, 0x7fffff, v167
	s_delay_alu instid0(VALU_DEP_1) | instskip(SKIP_2) | instid1(VALU_DEP_4)
	v_or_b32_e32 v179, 0x800000, v177
	v_cmp_eq_u32_e32 vcc_lo, 0, v166
	v_add_nc_u32_e32 v166, 0xffffff89, v166
	v_cndmask_b32_e64 v178, v178, 0x77, vcc_lo
	s_delay_alu instid0(VALU_DEP_4) | instskip(NEXT) | instid1(VALU_DEP_3)
	v_cndmask_b32_e32 v177, v179, v177, vcc_lo
	v_cndmask_b32_e64 v166, v166, 0xffffff8a, vcc_lo
	s_delay_alu instid0(VALU_DEP_3) | instskip(NEXT) | instid1(VALU_DEP_3)
	v_lshl_add_u32 v179, 0x100000, v178, -1
	v_lshrrev_b32_e32 v180, v178, v177
	v_lshlrev_b32_e64 v182, v178, 0x80000
	s_delay_alu instid0(VALU_DEP_4) | instskip(NEXT) | instid1(VALU_DEP_4)
	v_add_nc_u32_e32 v178, v178, v166
	v_and_b32_e32 v177, v179, v177
	s_delay_alu instid0(VALU_DEP_4) | instskip(NEXT) | instid1(VALU_DEP_2)
	v_bfe_u32 v181, v180, 20, 1
	v_cmp_eq_u32_e64 s13, v177, v182
	s_delay_alu instid0(VALU_DEP_2) | instskip(NEXT) | instid1(VALU_DEP_1)
	v_add_nc_u32_e32 v179, -1, v181
	v_cndmask_b32_e64 v177, 0, v179, s13
	v_lshrrev_b32_e32 v179, 23, v180
	s_mov_b32 s13, exec_lo
	s_delay_alu instid0(VALU_DEP_2) | instskip(NEXT) | instid1(VALU_DEP_2)
	v_add_nc_u32_e32 v177, v177, v180
	v_xor_b32_e32 v179, 1, v179
	s_delay_alu instid0(VALU_DEP_2) | instskip(NEXT) | instid1(VALU_DEP_1)
	v_and_b32_e32 v166, 0xfffff, v177
	v_add_nc_u32_e32 v177, v166, v180
                                        ; implicit-def: $vgpr166
	s_delay_alu instid0(VALU_DEP_3)
	v_cmpx_ne_u32_e64 v178, v179
	s_xor_b32 s13, exec_lo, s13
; %bb.3519:                             ;   in Loop: Header=BB4_3380 Depth=3
	s_delay_alu instid0(VALU_DEP_2) | instskip(SKIP_2) | instid1(VALU_DEP_2)
	v_cmp_lt_u32_e32 vcc_lo, 0xffffff, v177
	v_sub_nc_u32_e32 v166, v178, v179
	v_cndmask_b32_e64 v178, 0, 1, vcc_lo
	v_add_co_ci_u32_e32 v166, vcc_lo, 0, v166, vcc_lo
	s_delay_alu instid0(VALU_DEP_2)
	v_lshrrev_b32_e32 v177, v178, v177
; %bb.3520:                             ;   in Loop: Header=BB4_3380 Depth=3
	s_and_not1_saveexec_b32 s13, s13
; %bb.3521:                             ;   in Loop: Header=BB4_3380 Depth=3
	s_delay_alu instid0(VALU_DEP_1)
	v_bfe_u32 v166, v177, 23, 1
; %bb.3522:                             ;   in Loop: Header=BB4_3380 Depth=3
	s_or_b32 exec_lo, exec_lo, s13
	v_lshrrev_b32_e32 v177, 20, v177
	s_delay_alu instid0(VALU_DEP_2) | instskip(SKIP_2) | instid1(VALU_DEP_2)
	v_cmp_gt_i32_e32 vcc_lo, 16, v166
	v_min_i32_e32 v178, 15, v166
	v_lshrrev_b32_e32 v167, 24, v167
	v_dual_cndmask_b32 v177, 7, v177 :: v_dual_lshlrev_b32 v178, 3, v178
	s_delay_alu instid0(VALU_DEP_2) | instskip(NEXT) | instid1(VALU_DEP_2)
	v_and_b32_e32 v167, 0x80, v167
	v_or_b32_e32 v166, v166, v177
	s_delay_alu instid0(VALU_DEP_1) | instskip(SKIP_1) | instid1(VALU_DEP_1)
	v_cmp_ne_u32_e32 vcc_lo, 0, v166
	v_and_b32_e32 v179, 7, v177
	v_or3_b32 v167, v178, v167, v179
	s_delay_alu instid0(VALU_DEP_1)
	v_cndmask_b32_e32 v166, 0, v167, vcc_lo
.LBB4_3523:                             ;   in Loop: Header=BB4_3380 Depth=3
	s_or_b32 exec_lo, exec_lo, s29
.LBB4_3524:                             ;   in Loop: Header=BB4_3380 Depth=3
	s_delay_alu instid0(SALU_CYCLE_1) | instskip(SKIP_3) | instid1(VALU_DEP_1)
	s_or_b32 exec_lo, exec_lo, s17
	v_and_b32_e32 v177, 0xff, v164
	s_mov_b32 s13, 0
	s_mov_b32 s29, exec_lo
                                        ; implicit-def: $sgpr17
	v_cmpx_lt_i16_e64 0x7f, v177
	s_xor_b32 s29, exec_lo, s29
	s_cbranch_execnz .LBB4_3706
; %bb.3525:                             ;   in Loop: Header=BB4_3380 Depth=3
	s_or_saveexec_b32 s29, s29
	v_mov_b32_e32 v167, s17
	s_xor_b32 exec_lo, exec_lo, s29
	s_cbranch_execnz .LBB4_3709
.LBB4_3526:                             ;   in Loop: Header=BB4_3380 Depth=3
	s_or_b32 exec_lo, exec_lo, s29
	s_and_saveexec_b32 s17, s13
	s_cbranch_execz .LBB4_3528
.LBB4_3527:                             ;   in Loop: Header=BB4_3380 Depth=3
	v_and_b32_e32 v167, 7, v164
	v_lshrrev_b16 v179, 3, v164
	s_delay_alu instid0(VALU_DEP_2) | instskip(NEXT) | instid1(VALU_DEP_2)
	v_clz_i32_u32_e32 v177, v167
	v_and_b32_e32 v179, 15, v179
	s_delay_alu instid0(VALU_DEP_2) | instskip(NEXT) | instid1(VALU_DEP_2)
	v_min_u32_e32 v177, 32, v177
	v_cmp_eq_u32_e32 vcc_lo, 0, v179
	s_delay_alu instid0(VALU_DEP_2) | instskip(SKIP_1) | instid1(VALU_DEP_1)
	v_subrev_nc_u32_e32 v178, 28, v177
	v_sub_nc_u32_e32 v177, 29, v177
	v_dual_cndmask_b32 v177, v179, v177 :: v_dual_lshlrev_b32 v178, v178, v164
	s_delay_alu instid0(VALU_DEP_1) | instskip(SKIP_1) | instid1(VALU_DEP_3)
	v_and_b32_e32 v178, 7, v178
	v_lshlrev_b32_e32 v164, 24, v164
	v_lshl_add_u32 v177, v177, 23, 0x3b800000
	s_delay_alu instid0(VALU_DEP_2) | instskip(NEXT) | instid1(VALU_DEP_1)
	v_dual_cndmask_b32 v167, v167, v178 :: v_dual_and_b32 v164, 0x80000000, v164
	v_lshlrev_b32_e32 v167, 20, v167
	s_delay_alu instid0(VALU_DEP_1)
	v_or3_b32 v167, v164, v177, v167
.LBB4_3528:                             ;   in Loop: Header=BB4_3380 Depth=3
	s_or_b32 exec_lo, exec_lo, s17
	s_waitcnt vmcnt(6) lgkmcnt(6)
	v_and_b32_e32 v177, 0xff, v163
	s_mov_b32 s13, 0
	s_mov_b32 s29, exec_lo
                                        ; implicit-def: $sgpr17
	s_delay_alu instid0(VALU_DEP_1)
	v_cmpx_lt_i16_e64 0x7f, v177
	s_xor_b32 s29, exec_lo, s29
	s_cbranch_execnz .LBB4_3710
; %bb.3529:                             ;   in Loop: Header=BB4_3380 Depth=3
	s_or_saveexec_b32 s29, s29
	v_mov_b32_e32 v164, s17
	s_xor_b32 exec_lo, exec_lo, s29
	s_cbranch_execnz .LBB4_3713
.LBB4_3530:                             ;   in Loop: Header=BB4_3380 Depth=3
	s_or_b32 exec_lo, exec_lo, s29
	s_and_saveexec_b32 s17, s13
	s_cbranch_execz .LBB4_3532
.LBB4_3531:                             ;   in Loop: Header=BB4_3380 Depth=3
	v_lshrrev_b16 v179, 3, v163
	s_delay_alu instid0(VALU_DEP_1) | instskip(NEXT) | instid1(VALU_DEP_1)
	v_and_b32_e32 v179, 15, v179
	v_cmp_eq_u32_e32 vcc_lo, 0, v179
	v_and_b32_e32 v164, 7, v163
	s_delay_alu instid0(VALU_DEP_1) | instskip(NEXT) | instid1(VALU_DEP_1)
	v_clz_i32_u32_e32 v177, v164
	v_min_u32_e32 v177, 32, v177
	s_delay_alu instid0(VALU_DEP_1) | instskip(SKIP_1) | instid1(VALU_DEP_1)
	v_subrev_nc_u32_e32 v178, 28, v177
	v_sub_nc_u32_e32 v177, 29, v177
	v_dual_cndmask_b32 v177, v179, v177 :: v_dual_lshlrev_b32 v178, v178, v163
	v_lshlrev_b32_e32 v163, 24, v163
	s_delay_alu instid0(VALU_DEP_2) | instskip(NEXT) | instid1(VALU_DEP_3)
	v_and_b32_e32 v178, 7, v178
	v_lshl_add_u32 v177, v177, 23, 0x3b800000
	s_delay_alu instid0(VALU_DEP_2) | instskip(NEXT) | instid1(VALU_DEP_1)
	v_dual_cndmask_b32 v164, v164, v178 :: v_dual_and_b32 v163, 0x80000000, v163
	v_lshlrev_b32_e32 v164, 20, v164
	s_delay_alu instid0(VALU_DEP_1)
	v_or3_b32 v164, v163, v177, v164
.LBB4_3532:                             ;   in Loop: Header=BB4_3380 Depth=3
	s_or_b32 exec_lo, exec_lo, s17
	s_delay_alu instid0(VALU_DEP_1) | instskip(NEXT) | instid1(VALU_DEP_1)
	v_add_f32_e32 v164, v167, v164
	v_and_b32_e32 v163, 0x7f800000, v164
	s_delay_alu instid0(VALU_DEP_1)
	v_cmp_ne_u32_e32 vcc_lo, 0x7f800000, v163
	v_mov_b32_e32 v163, 0x80
	s_and_saveexec_b32 s17, vcc_lo
	s_cbranch_execz .LBB4_3540
; %bb.3533:                             ;   in Loop: Header=BB4_3380 Depth=3
	v_mov_b32_e32 v163, 0
	s_mov_b32 s29, exec_lo
	v_cmpx_ne_u32_e32 0, v164
	s_cbranch_execz .LBB4_3539
; %bb.3534:                             ;   in Loop: Header=BB4_3380 Depth=3
	v_bfe_u32 v163, v164, 23, 8
	v_and_b32_e32 v167, 0x7fffff, v164
	s_delay_alu instid0(VALU_DEP_2) | instskip(SKIP_1) | instid1(VALU_DEP_3)
	v_sub_nc_u32_e32 v177, 0x78, v163
	v_cmp_gt_u32_e32 vcc_lo, 0x79, v163
	v_or_b32_e32 v178, 0x800000, v167
	s_delay_alu instid0(VALU_DEP_3) | instskip(SKIP_2) | instid1(VALU_DEP_3)
	v_cndmask_b32_e32 v177, 0, v177, vcc_lo
	v_cmp_eq_u32_e32 vcc_lo, 0, v163
	v_add_nc_u32_e32 v163, 0xffffff89, v163
	v_cndmask_b32_e64 v177, v177, 0x77, vcc_lo
	v_cndmask_b32_e32 v167, v178, v167, vcc_lo
	s_delay_alu instid0(VALU_DEP_3) | instskip(NEXT) | instid1(VALU_DEP_3)
	v_cndmask_b32_e64 v163, v163, 0xffffff8a, vcc_lo
	v_lshl_add_u32 v178, 0x100000, v177, -1
	s_delay_alu instid0(VALU_DEP_3) | instskip(SKIP_1) | instid1(VALU_DEP_4)
	v_lshrrev_b32_e32 v179, v177, v167
	v_lshlrev_b32_e64 v181, v177, 0x80000
	v_add_nc_u32_e32 v177, v177, v163
	s_delay_alu instid0(VALU_DEP_4) | instskip(NEXT) | instid1(VALU_DEP_4)
	v_and_b32_e32 v167, v178, v167
	v_bfe_u32 v180, v179, 20, 1
	s_delay_alu instid0(VALU_DEP_2) | instskip(NEXT) | instid1(VALU_DEP_2)
	v_cmp_eq_u32_e64 s13, v167, v181
	v_add_nc_u32_e32 v178, -1, v180
	s_delay_alu instid0(VALU_DEP_1) | instskip(SKIP_2) | instid1(VALU_DEP_2)
	v_cndmask_b32_e64 v167, 0, v178, s13
	v_lshrrev_b32_e32 v178, 23, v179
	s_mov_b32 s13, exec_lo
	v_add_nc_u32_e32 v167, v167, v179
	s_delay_alu instid0(VALU_DEP_2) | instskip(NEXT) | instid1(VALU_DEP_2)
	v_xor_b32_e32 v178, 1, v178
	v_and_b32_e32 v163, 0xfffff, v167
	s_delay_alu instid0(VALU_DEP_1) | instskip(NEXT) | instid1(VALU_DEP_3)
	v_add_nc_u32_e32 v167, v163, v179
                                        ; implicit-def: $vgpr163
	v_cmpx_ne_u32_e64 v177, v178
	s_xor_b32 s13, exec_lo, s13
; %bb.3535:                             ;   in Loop: Header=BB4_3380 Depth=3
	s_delay_alu instid0(VALU_DEP_2) | instskip(SKIP_2) | instid1(VALU_DEP_2)
	v_cmp_lt_u32_e32 vcc_lo, 0xffffff, v167
	v_sub_nc_u32_e32 v163, v177, v178
	v_cndmask_b32_e64 v177, 0, 1, vcc_lo
	v_add_co_ci_u32_e32 v163, vcc_lo, 0, v163, vcc_lo
	s_delay_alu instid0(VALU_DEP_2)
	v_lshrrev_b32_e32 v167, v177, v167
; %bb.3536:                             ;   in Loop: Header=BB4_3380 Depth=3
	s_and_not1_saveexec_b32 s13, s13
; %bb.3537:                             ;   in Loop: Header=BB4_3380 Depth=3
	s_delay_alu instid0(VALU_DEP_1)
	v_bfe_u32 v163, v167, 23, 1
; %bb.3538:                             ;   in Loop: Header=BB4_3380 Depth=3
	s_or_b32 exec_lo, exec_lo, s13
	v_lshrrev_b32_e32 v167, 20, v167
	s_delay_alu instid0(VALU_DEP_2) | instskip(SKIP_2) | instid1(VALU_DEP_2)
	v_cmp_gt_i32_e32 vcc_lo, 16, v163
	v_lshrrev_b32_e32 v164, 24, v164
	v_min_i32_e32 v177, 15, v163
	v_dual_cndmask_b32 v167, 7, v167 :: v_dual_and_b32 v164, 0x80, v164
	s_delay_alu instid0(VALU_DEP_2) | instskip(NEXT) | instid1(VALU_DEP_2)
	v_lshlrev_b32_e32 v177, 3, v177
	v_or_b32_e32 v163, v163, v167
	s_delay_alu instid0(VALU_DEP_1) | instskip(SKIP_1) | instid1(VALU_DEP_1)
	v_cmp_ne_u32_e32 vcc_lo, 0, v163
	v_and_b32_e32 v178, 7, v167
	v_or3_b32 v164, v177, v164, v178
	s_delay_alu instid0(VALU_DEP_1)
	v_cndmask_b32_e32 v163, 0, v164, vcc_lo
.LBB4_3539:                             ;   in Loop: Header=BB4_3380 Depth=3
	s_or_b32 exec_lo, exec_lo, s29
.LBB4_3540:                             ;   in Loop: Header=BB4_3380 Depth=3
	s_delay_alu instid0(SALU_CYCLE_1) | instskip(SKIP_3) | instid1(VALU_DEP_1)
	s_or_b32 exec_lo, exec_lo, s17
	v_and_b32_e32 v167, 0xff, v161
	s_mov_b32 s13, 0
	s_mov_b32 s29, exec_lo
                                        ; implicit-def: $sgpr17
	v_cmpx_lt_i16_e64 0x7f, v167
	s_xor_b32 s29, exec_lo, s29
	s_cbranch_execnz .LBB4_3714
; %bb.3541:                             ;   in Loop: Header=BB4_3380 Depth=3
	s_or_saveexec_b32 s29, s29
	v_mov_b32_e32 v164, s17
	s_xor_b32 exec_lo, exec_lo, s29
	s_cbranch_execnz .LBB4_3717
.LBB4_3542:                             ;   in Loop: Header=BB4_3380 Depth=3
	s_or_b32 exec_lo, exec_lo, s29
	s_and_saveexec_b32 s17, s13
	s_cbranch_execz .LBB4_3544
.LBB4_3543:                             ;   in Loop: Header=BB4_3380 Depth=3
	v_lshrrev_b16 v178, 3, v161
	s_delay_alu instid0(VALU_DEP_1) | instskip(NEXT) | instid1(VALU_DEP_1)
	v_and_b32_e32 v178, 15, v178
	v_cmp_eq_u32_e32 vcc_lo, 0, v178
	v_and_b32_e32 v164, 7, v161
	s_delay_alu instid0(VALU_DEP_1) | instskip(NEXT) | instid1(VALU_DEP_1)
	v_clz_i32_u32_e32 v167, v164
	v_min_u32_e32 v167, 32, v167
	s_delay_alu instid0(VALU_DEP_1) | instskip(SKIP_1) | instid1(VALU_DEP_2)
	v_subrev_nc_u32_e32 v177, 28, v167
	v_sub_nc_u32_e32 v167, 29, v167
	v_lshlrev_b32_e32 v177, v177, v161
	s_delay_alu instid0(VALU_DEP_2) | instskip(SKIP_1) | instid1(VALU_DEP_3)
	v_cndmask_b32_e32 v167, v178, v167, vcc_lo
	v_lshlrev_b32_e32 v161, 24, v161
	v_and_b32_e32 v177, 7, v177
	s_delay_alu instid0(VALU_DEP_3) | instskip(NEXT) | instid1(VALU_DEP_3)
	v_lshl_add_u32 v167, v167, 23, 0x3b800000
	v_and_b32_e32 v161, 0x80000000, v161
	s_delay_alu instid0(VALU_DEP_3) | instskip(NEXT) | instid1(VALU_DEP_1)
	v_cndmask_b32_e32 v164, v164, v177, vcc_lo
	v_lshlrev_b32_e32 v164, 20, v164
	s_delay_alu instid0(VALU_DEP_1)
	v_or3_b32 v164, v161, v167, v164
.LBB4_3544:                             ;   in Loop: Header=BB4_3380 Depth=3
	s_or_b32 exec_lo, exec_lo, s17
	s_waitcnt vmcnt(5) lgkmcnt(5)
	v_and_b32_e32 v167, 0xff, v160
	s_mov_b32 s13, 0
	s_mov_b32 s29, exec_lo
                                        ; implicit-def: $sgpr17
	s_delay_alu instid0(VALU_DEP_1)
	v_cmpx_lt_i16_e64 0x7f, v167
	s_xor_b32 s29, exec_lo, s29
	s_cbranch_execnz .LBB4_3718
; %bb.3545:                             ;   in Loop: Header=BB4_3380 Depth=3
	s_or_saveexec_b32 s29, s29
	v_mov_b32_e32 v161, s17
	s_xor_b32 exec_lo, exec_lo, s29
	s_cbranch_execnz .LBB4_3721
.LBB4_3546:                             ;   in Loop: Header=BB4_3380 Depth=3
	s_or_b32 exec_lo, exec_lo, s29
	s_and_saveexec_b32 s17, s13
	s_cbranch_execz .LBB4_3548
.LBB4_3547:                             ;   in Loop: Header=BB4_3380 Depth=3
	v_and_b32_e32 v161, 7, v160
	v_lshrrev_b16 v178, 3, v160
	s_delay_alu instid0(VALU_DEP_2) | instskip(NEXT) | instid1(VALU_DEP_1)
	v_clz_i32_u32_e32 v167, v161
	v_min_u32_e32 v167, 32, v167
	s_delay_alu instid0(VALU_DEP_1) | instskip(SKIP_1) | instid1(VALU_DEP_2)
	v_subrev_nc_u32_e32 v177, 28, v167
	v_sub_nc_u32_e32 v167, 29, v167
	v_lshlrev_b32_e32 v177, v177, v160
	s_delay_alu instid0(VALU_DEP_1) | instskip(SKIP_1) | instid1(VALU_DEP_1)
	v_and_b32_e32 v177, 7, v177
	v_and_b32_e32 v178, 15, v178
	v_cmp_eq_u32_e32 vcc_lo, 0, v178
	s_delay_alu instid0(VALU_DEP_3) | instskip(SKIP_1) | instid1(VALU_DEP_2)
	v_dual_cndmask_b32 v161, v161, v177 :: v_dual_lshlrev_b32 v160, 24, v160
	v_cndmask_b32_e32 v167, v178, v167, vcc_lo
	v_lshlrev_b32_e32 v161, 20, v161
	s_delay_alu instid0(VALU_DEP_3) | instskip(NEXT) | instid1(VALU_DEP_3)
	v_and_b32_e32 v160, 0x80000000, v160
	v_lshl_add_u32 v167, v167, 23, 0x3b800000
	s_delay_alu instid0(VALU_DEP_1)
	v_or3_b32 v161, v160, v167, v161
.LBB4_3548:                             ;   in Loop: Header=BB4_3380 Depth=3
	s_or_b32 exec_lo, exec_lo, s17
	s_delay_alu instid0(VALU_DEP_1) | instskip(NEXT) | instid1(VALU_DEP_1)
	v_add_f32_e32 v161, v164, v161
	v_and_b32_e32 v160, 0x7f800000, v161
	s_delay_alu instid0(VALU_DEP_1)
	v_cmp_ne_u32_e32 vcc_lo, 0x7f800000, v160
	v_mov_b32_e32 v160, 0x80
	s_and_saveexec_b32 s17, vcc_lo
	s_cbranch_execz .LBB4_3556
; %bb.3549:                             ;   in Loop: Header=BB4_3380 Depth=3
	v_mov_b32_e32 v160, 0
	s_mov_b32 s29, exec_lo
	v_cmpx_ne_u32_e32 0, v161
	s_cbranch_execz .LBB4_3555
; %bb.3550:                             ;   in Loop: Header=BB4_3380 Depth=3
	v_bfe_u32 v160, v161, 23, 8
	s_delay_alu instid0(VALU_DEP_1) | instskip(SKIP_1) | instid1(VALU_DEP_2)
	v_sub_nc_u32_e32 v167, 0x78, v160
	v_cmp_gt_u32_e32 vcc_lo, 0x79, v160
	v_dual_cndmask_b32 v167, 0, v167 :: v_dual_and_b32 v164, 0x7fffff, v161
	s_delay_alu instid0(VALU_DEP_1) | instskip(SKIP_2) | instid1(VALU_DEP_4)
	v_or_b32_e32 v177, 0x800000, v164
	v_cmp_eq_u32_e32 vcc_lo, 0, v160
	v_add_nc_u32_e32 v160, 0xffffff89, v160
	v_cndmask_b32_e64 v167, v167, 0x77, vcc_lo
	s_delay_alu instid0(VALU_DEP_4) | instskip(NEXT) | instid1(VALU_DEP_3)
	v_cndmask_b32_e32 v164, v177, v164, vcc_lo
	v_cndmask_b32_e64 v160, v160, 0xffffff8a, vcc_lo
	s_delay_alu instid0(VALU_DEP_3) | instskip(NEXT) | instid1(VALU_DEP_3)
	v_lshl_add_u32 v177, 0x100000, v167, -1
	v_lshrrev_b32_e32 v178, v167, v164
	v_lshlrev_b32_e64 v180, v167, 0x80000
	s_delay_alu instid0(VALU_DEP_4) | instskip(NEXT) | instid1(VALU_DEP_4)
	v_add_nc_u32_e32 v167, v167, v160
	v_and_b32_e32 v164, v177, v164
	s_delay_alu instid0(VALU_DEP_4) | instskip(NEXT) | instid1(VALU_DEP_2)
	v_bfe_u32 v179, v178, 20, 1
	v_cmp_eq_u32_e64 s13, v164, v180
	s_delay_alu instid0(VALU_DEP_2) | instskip(NEXT) | instid1(VALU_DEP_1)
	v_add_nc_u32_e32 v177, -1, v179
	v_cndmask_b32_e64 v164, 0, v177, s13
	v_lshrrev_b32_e32 v177, 23, v178
	s_mov_b32 s13, exec_lo
	s_delay_alu instid0(VALU_DEP_2) | instskip(NEXT) | instid1(VALU_DEP_2)
	v_add_nc_u32_e32 v164, v164, v178
	v_xor_b32_e32 v177, 1, v177
	s_delay_alu instid0(VALU_DEP_2) | instskip(NEXT) | instid1(VALU_DEP_1)
	v_and_b32_e32 v160, 0xfffff, v164
	v_add_nc_u32_e32 v164, v160, v178
                                        ; implicit-def: $vgpr160
	s_delay_alu instid0(VALU_DEP_3)
	v_cmpx_ne_u32_e64 v167, v177
	s_xor_b32 s13, exec_lo, s13
; %bb.3551:                             ;   in Loop: Header=BB4_3380 Depth=3
	s_delay_alu instid0(VALU_DEP_2) | instskip(SKIP_2) | instid1(VALU_DEP_2)
	v_cmp_lt_u32_e32 vcc_lo, 0xffffff, v164
	v_sub_nc_u32_e32 v160, v167, v177
	v_cndmask_b32_e64 v167, 0, 1, vcc_lo
	v_add_co_ci_u32_e32 v160, vcc_lo, 0, v160, vcc_lo
	s_delay_alu instid0(VALU_DEP_2)
	v_lshrrev_b32_e32 v164, v167, v164
; %bb.3552:                             ;   in Loop: Header=BB4_3380 Depth=3
	s_and_not1_saveexec_b32 s13, s13
; %bb.3553:                             ;   in Loop: Header=BB4_3380 Depth=3
	s_delay_alu instid0(VALU_DEP_1)
	v_bfe_u32 v160, v164, 23, 1
; %bb.3554:                             ;   in Loop: Header=BB4_3380 Depth=3
	s_or_b32 exec_lo, exec_lo, s13
	v_lshrrev_b32_e32 v164, 20, v164
	s_delay_alu instid0(VALU_DEP_2) | instskip(SKIP_2) | instid1(VALU_DEP_2)
	v_cmp_gt_i32_e32 vcc_lo, 16, v160
	v_lshrrev_b32_e32 v161, 24, v161
	v_min_i32_e32 v167, 15, v160
	v_dual_cndmask_b32 v164, 7, v164 :: v_dual_and_b32 v161, 0x80, v161
	s_delay_alu instid0(VALU_DEP_2) | instskip(NEXT) | instid1(VALU_DEP_2)
	v_lshlrev_b32_e32 v167, 3, v167
	v_or_b32_e32 v160, v160, v164
	s_delay_alu instid0(VALU_DEP_1) | instskip(SKIP_1) | instid1(VALU_DEP_1)
	v_cmp_ne_u32_e32 vcc_lo, 0, v160
	v_and_b32_e32 v177, 7, v164
	v_or3_b32 v161, v167, v161, v177
	s_delay_alu instid0(VALU_DEP_1)
	v_cndmask_b32_e32 v160, 0, v161, vcc_lo
.LBB4_3555:                             ;   in Loop: Header=BB4_3380 Depth=3
	s_or_b32 exec_lo, exec_lo, s29
.LBB4_3556:                             ;   in Loop: Header=BB4_3380 Depth=3
	s_delay_alu instid0(SALU_CYCLE_1) | instskip(SKIP_3) | instid1(VALU_DEP_1)
	s_or_b32 exec_lo, exec_lo, s17
	v_and_b32_e32 v164, 0xff, v150
	s_mov_b32 s13, 0
	s_mov_b32 s29, exec_lo
                                        ; implicit-def: $sgpr17
	v_cmpx_lt_i16_e64 0x7f, v164
	s_xor_b32 s29, exec_lo, s29
	s_cbranch_execnz .LBB4_3722
; %bb.3557:                             ;   in Loop: Header=BB4_3380 Depth=3
	s_or_saveexec_b32 s29, s29
	v_mov_b32_e32 v161, s17
	s_xor_b32 exec_lo, exec_lo, s29
	s_cbranch_execnz .LBB4_3725
.LBB4_3558:                             ;   in Loop: Header=BB4_3380 Depth=3
	s_or_b32 exec_lo, exec_lo, s29
	s_and_saveexec_b32 s17, s13
	s_cbranch_execz .LBB4_3560
.LBB4_3559:                             ;   in Loop: Header=BB4_3380 Depth=3
	v_lshrrev_b16 v177, 3, v150
	s_delay_alu instid0(VALU_DEP_1) | instskip(NEXT) | instid1(VALU_DEP_1)
	v_and_b32_e32 v177, 15, v177
	v_cmp_eq_u32_e32 vcc_lo, 0, v177
	v_and_b32_e32 v161, 7, v150
	s_delay_alu instid0(VALU_DEP_1) | instskip(NEXT) | instid1(VALU_DEP_1)
	v_clz_i32_u32_e32 v164, v161
	v_min_u32_e32 v164, 32, v164
	s_delay_alu instid0(VALU_DEP_1) | instskip(SKIP_1) | instid1(VALU_DEP_1)
	v_subrev_nc_u32_e32 v167, 28, v164
	v_sub_nc_u32_e32 v164, 29, v164
	v_dual_cndmask_b32 v164, v177, v164 :: v_dual_lshlrev_b32 v167, v167, v150
	s_delay_alu instid0(VALU_DEP_1) | instskip(SKIP_1) | instid1(VALU_DEP_3)
	v_and_b32_e32 v167, 7, v167
	v_lshlrev_b32_e32 v150, 24, v150
	v_lshl_add_u32 v164, v164, 23, 0x3b800000
	s_delay_alu instid0(VALU_DEP_2) | instskip(NEXT) | instid1(VALU_DEP_1)
	v_dual_cndmask_b32 v161, v161, v167 :: v_dual_and_b32 v150, 0x80000000, v150
	v_lshlrev_b32_e32 v161, 20, v161
	s_delay_alu instid0(VALU_DEP_1)
	v_or3_b32 v161, v150, v164, v161
.LBB4_3560:                             ;   in Loop: Header=BB4_3380 Depth=3
	s_or_b32 exec_lo, exec_lo, s17
	s_waitcnt vmcnt(4) lgkmcnt(4)
	v_and_b32_e32 v164, 0xff, v149
	s_mov_b32 s13, 0
	s_mov_b32 s29, exec_lo
                                        ; implicit-def: $sgpr17
	s_delay_alu instid0(VALU_DEP_1)
	v_cmpx_lt_i16_e64 0x7f, v164
	s_xor_b32 s29, exec_lo, s29
	s_cbranch_execnz .LBB4_3726
; %bb.3561:                             ;   in Loop: Header=BB4_3380 Depth=3
	s_or_saveexec_b32 s29, s29
	v_mov_b32_e32 v150, s17
	s_xor_b32 exec_lo, exec_lo, s29
	s_cbranch_execnz .LBB4_3729
.LBB4_3562:                             ;   in Loop: Header=BB4_3380 Depth=3
	s_or_b32 exec_lo, exec_lo, s29
	s_and_saveexec_b32 s17, s13
	s_cbranch_execz .LBB4_3564
.LBB4_3563:                             ;   in Loop: Header=BB4_3380 Depth=3
	v_and_b32_e32 v150, 7, v149
	v_lshrrev_b16 v177, 3, v149
	s_delay_alu instid0(VALU_DEP_2) | instskip(NEXT) | instid1(VALU_DEP_2)
	v_clz_i32_u32_e32 v164, v150
	v_and_b32_e32 v177, 15, v177
	s_delay_alu instid0(VALU_DEP_2) | instskip(NEXT) | instid1(VALU_DEP_2)
	v_min_u32_e32 v164, 32, v164
	v_cmp_eq_u32_e32 vcc_lo, 0, v177
	s_delay_alu instid0(VALU_DEP_2) | instskip(SKIP_1) | instid1(VALU_DEP_1)
	v_subrev_nc_u32_e32 v167, 28, v164
	v_sub_nc_u32_e32 v164, 29, v164
	v_dual_cndmask_b32 v164, v177, v164 :: v_dual_lshlrev_b32 v167, v167, v149
	v_lshlrev_b32_e32 v149, 24, v149
	s_delay_alu instid0(VALU_DEP_2) | instskip(NEXT) | instid1(VALU_DEP_3)
	v_and_b32_e32 v167, 7, v167
	v_lshl_add_u32 v164, v164, 23, 0x3b800000
	s_delay_alu instid0(VALU_DEP_2) | instskip(NEXT) | instid1(VALU_DEP_1)
	v_dual_cndmask_b32 v150, v150, v167 :: v_dual_and_b32 v149, 0x80000000, v149
	v_lshlrev_b32_e32 v150, 20, v150
	s_delay_alu instid0(VALU_DEP_1)
	v_or3_b32 v150, v149, v164, v150
.LBB4_3564:                             ;   in Loop: Header=BB4_3380 Depth=3
	s_or_b32 exec_lo, exec_lo, s17
	s_delay_alu instid0(VALU_DEP_1) | instskip(NEXT) | instid1(VALU_DEP_1)
	v_add_f32_e32 v150, v161, v150
	v_and_b32_e32 v149, 0x7f800000, v150
	s_delay_alu instid0(VALU_DEP_1)
	v_cmp_ne_u32_e32 vcc_lo, 0x7f800000, v149
	v_mov_b32_e32 v149, 0x80
	s_and_saveexec_b32 s17, vcc_lo
	s_cbranch_execz .LBB4_3572
; %bb.3565:                             ;   in Loop: Header=BB4_3380 Depth=3
	v_mov_b32_e32 v149, 0
	s_mov_b32 s29, exec_lo
	v_cmpx_ne_u32_e32 0, v150
	s_cbranch_execz .LBB4_3571
; %bb.3566:                             ;   in Loop: Header=BB4_3380 Depth=3
	v_bfe_u32 v149, v150, 23, 8
	s_delay_alu instid0(VALU_DEP_1) | instskip(SKIP_1) | instid1(VALU_DEP_2)
	v_sub_nc_u32_e32 v164, 0x78, v149
	v_cmp_gt_u32_e32 vcc_lo, 0x79, v149
	v_dual_cndmask_b32 v164, 0, v164 :: v_dual_and_b32 v161, 0x7fffff, v150
	s_delay_alu instid0(VALU_DEP_1) | instskip(SKIP_2) | instid1(VALU_DEP_4)
	v_or_b32_e32 v167, 0x800000, v161
	v_cmp_eq_u32_e32 vcc_lo, 0, v149
	v_add_nc_u32_e32 v149, 0xffffff89, v149
	v_cndmask_b32_e64 v164, v164, 0x77, vcc_lo
	s_delay_alu instid0(VALU_DEP_4) | instskip(NEXT) | instid1(VALU_DEP_3)
	v_cndmask_b32_e32 v161, v167, v161, vcc_lo
	v_cndmask_b32_e64 v149, v149, 0xffffff8a, vcc_lo
	s_delay_alu instid0(VALU_DEP_3) | instskip(NEXT) | instid1(VALU_DEP_3)
	v_lshl_add_u32 v167, 0x100000, v164, -1
	v_lshrrev_b32_e32 v177, v164, v161
	v_lshlrev_b32_e64 v179, v164, 0x80000
	s_delay_alu instid0(VALU_DEP_4) | instskip(NEXT) | instid1(VALU_DEP_4)
	v_add_nc_u32_e32 v164, v164, v149
	v_and_b32_e32 v161, v167, v161
	s_delay_alu instid0(VALU_DEP_4) | instskip(NEXT) | instid1(VALU_DEP_2)
	v_bfe_u32 v178, v177, 20, 1
	v_cmp_eq_u32_e64 s13, v161, v179
	s_delay_alu instid0(VALU_DEP_2) | instskip(NEXT) | instid1(VALU_DEP_1)
	v_add_nc_u32_e32 v167, -1, v178
	v_cndmask_b32_e64 v161, 0, v167, s13
	v_lshrrev_b32_e32 v167, 23, v177
	s_mov_b32 s13, exec_lo
	s_delay_alu instid0(VALU_DEP_2) | instskip(NEXT) | instid1(VALU_DEP_2)
	v_add_nc_u32_e32 v161, v161, v177
	v_xor_b32_e32 v167, 1, v167
	s_delay_alu instid0(VALU_DEP_2) | instskip(NEXT) | instid1(VALU_DEP_1)
	v_and_b32_e32 v149, 0xfffff, v161
	v_add_nc_u32_e32 v161, v149, v177
                                        ; implicit-def: $vgpr149
	s_delay_alu instid0(VALU_DEP_3)
	v_cmpx_ne_u32_e64 v164, v167
	s_xor_b32 s13, exec_lo, s13
; %bb.3567:                             ;   in Loop: Header=BB4_3380 Depth=3
	s_delay_alu instid0(VALU_DEP_2) | instskip(SKIP_2) | instid1(VALU_DEP_2)
	v_cmp_lt_u32_e32 vcc_lo, 0xffffff, v161
	v_sub_nc_u32_e32 v149, v164, v167
	v_cndmask_b32_e64 v164, 0, 1, vcc_lo
	v_add_co_ci_u32_e32 v149, vcc_lo, 0, v149, vcc_lo
	s_delay_alu instid0(VALU_DEP_2)
	v_lshrrev_b32_e32 v161, v164, v161
; %bb.3568:                             ;   in Loop: Header=BB4_3380 Depth=3
	s_and_not1_saveexec_b32 s13, s13
; %bb.3569:                             ;   in Loop: Header=BB4_3380 Depth=3
	s_delay_alu instid0(VALU_DEP_1)
	v_bfe_u32 v149, v161, 23, 1
; %bb.3570:                             ;   in Loop: Header=BB4_3380 Depth=3
	s_or_b32 exec_lo, exec_lo, s13
	v_lshrrev_b32_e32 v161, 20, v161
	s_delay_alu instid0(VALU_DEP_2) | instskip(SKIP_2) | instid1(VALU_DEP_2)
	v_cmp_gt_i32_e32 vcc_lo, 16, v149
	v_lshrrev_b32_e32 v150, 24, v150
	v_min_i32_e32 v164, 15, v149
	v_dual_cndmask_b32 v161, 7, v161 :: v_dual_and_b32 v150, 0x80, v150
	s_delay_alu instid0(VALU_DEP_1) | instskip(SKIP_1) | instid1(VALU_DEP_2)
	v_or_b32_e32 v149, v149, v161
	v_and_b32_e32 v167, 7, v161
	v_cmp_ne_u32_e32 vcc_lo, 0, v149
	v_lshlrev_b32_e32 v164, 3, v164
	s_delay_alu instid0(VALU_DEP_1) | instskip(NEXT) | instid1(VALU_DEP_1)
	v_or3_b32 v150, v164, v150, v167
	v_cndmask_b32_e32 v149, 0, v150, vcc_lo
.LBB4_3571:                             ;   in Loop: Header=BB4_3380 Depth=3
	s_or_b32 exec_lo, exec_lo, s29
.LBB4_3572:                             ;   in Loop: Header=BB4_3380 Depth=3
	s_delay_alu instid0(SALU_CYCLE_1) | instskip(SKIP_3) | instid1(VALU_DEP_1)
	s_or_b32 exec_lo, exec_lo, s17
	v_and_b32_e32 v161, 0xff, v84
	s_mov_b32 s13, 0
	s_mov_b32 s29, exec_lo
                                        ; implicit-def: $sgpr17
	v_cmpx_lt_i16_e64 0x7f, v161
	s_xor_b32 s29, exec_lo, s29
	s_cbranch_execnz .LBB4_3730
; %bb.3573:                             ;   in Loop: Header=BB4_3380 Depth=3
	s_or_saveexec_b32 s29, s29
	v_mov_b32_e32 v150, s17
	s_xor_b32 exec_lo, exec_lo, s29
	s_cbranch_execnz .LBB4_3733
.LBB4_3574:                             ;   in Loop: Header=BB4_3380 Depth=3
	s_or_b32 exec_lo, exec_lo, s29
	s_and_saveexec_b32 s17, s13
	s_cbranch_execz .LBB4_3576
.LBB4_3575:                             ;   in Loop: Header=BB4_3380 Depth=3
	v_lshrrev_b16 v167, 3, v84
	s_delay_alu instid0(VALU_DEP_1) | instskip(NEXT) | instid1(VALU_DEP_1)
	v_and_b32_e32 v167, 15, v167
	v_cmp_eq_u32_e32 vcc_lo, 0, v167
	v_and_b32_e32 v150, 7, v84
	s_delay_alu instid0(VALU_DEP_1) | instskip(NEXT) | instid1(VALU_DEP_1)
	v_clz_i32_u32_e32 v161, v150
	v_min_u32_e32 v161, 32, v161
	s_delay_alu instid0(VALU_DEP_1) | instskip(SKIP_1) | instid1(VALU_DEP_1)
	v_subrev_nc_u32_e32 v164, 28, v161
	v_sub_nc_u32_e32 v161, 29, v161
	v_dual_cndmask_b32 v161, v167, v161 :: v_dual_lshlrev_b32 v164, v164, v84
	v_lshlrev_b32_e32 v84, 24, v84
	s_delay_alu instid0(VALU_DEP_2) | instskip(NEXT) | instid1(VALU_DEP_3)
	v_and_b32_e32 v164, 7, v164
	v_lshl_add_u32 v161, v161, 23, 0x3b800000
	s_delay_alu instid0(VALU_DEP_3) | instskip(NEXT) | instid1(VALU_DEP_3)
	v_and_b32_e32 v84, 0x80000000, v84
	v_cndmask_b32_e32 v150, v150, v164, vcc_lo
	s_delay_alu instid0(VALU_DEP_1) | instskip(NEXT) | instid1(VALU_DEP_1)
	v_lshlrev_b32_e32 v150, 20, v150
	v_or3_b32 v150, v84, v161, v150
.LBB4_3576:                             ;   in Loop: Header=BB4_3380 Depth=3
	s_or_b32 exec_lo, exec_lo, s17
	s_waitcnt vmcnt(3) lgkmcnt(3)
	v_and_b32_e32 v161, 0xff, v83
	s_mov_b32 s13, 0
	s_mov_b32 s29, exec_lo
                                        ; implicit-def: $sgpr17
	s_delay_alu instid0(VALU_DEP_1)
	v_cmpx_lt_i16_e64 0x7f, v161
	s_xor_b32 s29, exec_lo, s29
	s_cbranch_execnz .LBB4_3734
; %bb.3577:                             ;   in Loop: Header=BB4_3380 Depth=3
	s_or_saveexec_b32 s29, s29
	v_mov_b32_e32 v84, s17
	s_xor_b32 exec_lo, exec_lo, s29
	s_cbranch_execnz .LBB4_3737
.LBB4_3578:                             ;   in Loop: Header=BB4_3380 Depth=3
	s_or_b32 exec_lo, exec_lo, s29
	s_and_saveexec_b32 s17, s13
	s_cbranch_execz .LBB4_3580
.LBB4_3579:                             ;   in Loop: Header=BB4_3380 Depth=3
	v_lshrrev_b16 v167, 3, v83
	s_delay_alu instid0(VALU_DEP_1) | instskip(NEXT) | instid1(VALU_DEP_1)
	v_and_b32_e32 v167, 15, v167
	v_cmp_eq_u32_e32 vcc_lo, 0, v167
	v_and_b32_e32 v84, 7, v83
	s_delay_alu instid0(VALU_DEP_1) | instskip(NEXT) | instid1(VALU_DEP_1)
	v_clz_i32_u32_e32 v161, v84
	v_min_u32_e32 v161, 32, v161
	s_delay_alu instid0(VALU_DEP_1) | instskip(SKIP_1) | instid1(VALU_DEP_1)
	v_subrev_nc_u32_e32 v164, 28, v161
	v_sub_nc_u32_e32 v161, 29, v161
	v_dual_cndmask_b32 v161, v167, v161 :: v_dual_lshlrev_b32 v164, v164, v83
	v_lshlrev_b32_e32 v83, 24, v83
	s_delay_alu instid0(VALU_DEP_2) | instskip(NEXT) | instid1(VALU_DEP_3)
	v_and_b32_e32 v164, 7, v164
	v_lshl_add_u32 v161, v161, 23, 0x3b800000
	s_delay_alu instid0(VALU_DEP_2) | instskip(NEXT) | instid1(VALU_DEP_1)
	v_dual_cndmask_b32 v84, v84, v164 :: v_dual_and_b32 v83, 0x80000000, v83
	v_lshlrev_b32_e32 v84, 20, v84
	s_delay_alu instid0(VALU_DEP_1)
	v_or3_b32 v84, v83, v161, v84
.LBB4_3580:                             ;   in Loop: Header=BB4_3380 Depth=3
	s_or_b32 exec_lo, exec_lo, s17
	s_delay_alu instid0(VALU_DEP_1) | instskip(NEXT) | instid1(VALU_DEP_1)
	v_add_f32_e32 v84, v150, v84
	v_and_b32_e32 v83, 0x7f800000, v84
	s_delay_alu instid0(VALU_DEP_1)
	v_cmp_ne_u32_e32 vcc_lo, 0x7f800000, v83
	v_mov_b32_e32 v83, 0x80
	s_and_saveexec_b32 s17, vcc_lo
	s_cbranch_execz .LBB4_3588
; %bb.3581:                             ;   in Loop: Header=BB4_3380 Depth=3
	v_mov_b32_e32 v83, 0
	s_mov_b32 s29, exec_lo
	v_cmpx_ne_u32_e32 0, v84
	s_cbranch_execz .LBB4_3587
; %bb.3582:                             ;   in Loop: Header=BB4_3380 Depth=3
	v_bfe_u32 v83, v84, 23, 8
	s_delay_alu instid0(VALU_DEP_1) | instskip(SKIP_1) | instid1(VALU_DEP_2)
	v_sub_nc_u32_e32 v161, 0x78, v83
	v_cmp_gt_u32_e32 vcc_lo, 0x79, v83
	v_dual_cndmask_b32 v161, 0, v161 :: v_dual_and_b32 v150, 0x7fffff, v84
	s_delay_alu instid0(VALU_DEP_1) | instskip(SKIP_2) | instid1(VALU_DEP_4)
	v_or_b32_e32 v164, 0x800000, v150
	v_cmp_eq_u32_e32 vcc_lo, 0, v83
	v_add_nc_u32_e32 v83, 0xffffff89, v83
	v_cndmask_b32_e64 v161, v161, 0x77, vcc_lo
	s_delay_alu instid0(VALU_DEP_4) | instskip(NEXT) | instid1(VALU_DEP_3)
	v_cndmask_b32_e32 v150, v164, v150, vcc_lo
	v_cndmask_b32_e64 v83, v83, 0xffffff8a, vcc_lo
	s_delay_alu instid0(VALU_DEP_3) | instskip(NEXT) | instid1(VALU_DEP_3)
	v_lshl_add_u32 v164, 0x100000, v161, -1
	v_lshrrev_b32_e32 v167, v161, v150
	v_lshlrev_b32_e64 v178, v161, 0x80000
	s_delay_alu instid0(VALU_DEP_4) | instskip(NEXT) | instid1(VALU_DEP_4)
	v_add_nc_u32_e32 v161, v161, v83
	v_and_b32_e32 v150, v164, v150
	s_delay_alu instid0(VALU_DEP_4) | instskip(NEXT) | instid1(VALU_DEP_2)
	v_bfe_u32 v177, v167, 20, 1
	v_cmp_eq_u32_e64 s13, v150, v178
	s_delay_alu instid0(VALU_DEP_2) | instskip(NEXT) | instid1(VALU_DEP_1)
	v_add_nc_u32_e32 v164, -1, v177
	v_cndmask_b32_e64 v150, 0, v164, s13
	v_lshrrev_b32_e32 v164, 23, v167
	s_mov_b32 s13, exec_lo
	s_delay_alu instid0(VALU_DEP_2) | instskip(NEXT) | instid1(VALU_DEP_2)
	v_add_nc_u32_e32 v150, v150, v167
	v_xor_b32_e32 v164, 1, v164
	s_delay_alu instid0(VALU_DEP_2) | instskip(NEXT) | instid1(VALU_DEP_1)
	v_and_b32_e32 v83, 0xfffff, v150
	v_add_nc_u32_e32 v150, v83, v167
                                        ; implicit-def: $vgpr83
	s_delay_alu instid0(VALU_DEP_3)
	v_cmpx_ne_u32_e64 v161, v164
	s_xor_b32 s13, exec_lo, s13
; %bb.3583:                             ;   in Loop: Header=BB4_3380 Depth=3
	s_delay_alu instid0(VALU_DEP_2) | instskip(SKIP_2) | instid1(VALU_DEP_2)
	v_cmp_lt_u32_e32 vcc_lo, 0xffffff, v150
	v_sub_nc_u32_e32 v83, v161, v164
	v_cndmask_b32_e64 v161, 0, 1, vcc_lo
	v_add_co_ci_u32_e32 v83, vcc_lo, 0, v83, vcc_lo
	s_delay_alu instid0(VALU_DEP_2)
	v_lshrrev_b32_e32 v150, v161, v150
; %bb.3584:                             ;   in Loop: Header=BB4_3380 Depth=3
	s_and_not1_saveexec_b32 s13, s13
; %bb.3585:                             ;   in Loop: Header=BB4_3380 Depth=3
	s_delay_alu instid0(VALU_DEP_1)
	v_bfe_u32 v83, v150, 23, 1
; %bb.3586:                             ;   in Loop: Header=BB4_3380 Depth=3
	s_or_b32 exec_lo, exec_lo, s13
	v_lshrrev_b32_e32 v150, 20, v150
	s_delay_alu instid0(VALU_DEP_2) | instskip(SKIP_2) | instid1(VALU_DEP_2)
	v_cmp_gt_i32_e32 vcc_lo, 16, v83
	v_min_i32_e32 v161, 15, v83
	v_lshrrev_b32_e32 v84, 24, v84
	v_dual_cndmask_b32 v150, 7, v150 :: v_dual_lshlrev_b32 v161, 3, v161
	s_delay_alu instid0(VALU_DEP_2) | instskip(NEXT) | instid1(VALU_DEP_2)
	v_and_b32_e32 v84, 0x80, v84
	v_or_b32_e32 v83, v83, v150
	s_delay_alu instid0(VALU_DEP_1) | instskip(SKIP_1) | instid1(VALU_DEP_1)
	v_cmp_ne_u32_e32 vcc_lo, 0, v83
	v_and_b32_e32 v164, 7, v150
	v_or3_b32 v84, v161, v84, v164
	s_delay_alu instid0(VALU_DEP_1)
	v_cndmask_b32_e32 v83, 0, v84, vcc_lo
.LBB4_3587:                             ;   in Loop: Header=BB4_3380 Depth=3
	s_or_b32 exec_lo, exec_lo, s29
.LBB4_3588:                             ;   in Loop: Header=BB4_3380 Depth=3
	s_delay_alu instid0(SALU_CYCLE_1) | instskip(SKIP_3) | instid1(VALU_DEP_1)
	s_or_b32 exec_lo, exec_lo, s17
	v_and_b32_e32 v150, 0xff, v81
	s_mov_b32 s13, 0
	s_mov_b32 s29, exec_lo
                                        ; implicit-def: $sgpr17
	v_cmpx_lt_i16_e64 0x7f, v150
	s_xor_b32 s29, exec_lo, s29
	s_cbranch_execnz .LBB4_3738
; %bb.3589:                             ;   in Loop: Header=BB4_3380 Depth=3
	s_or_saveexec_b32 s29, s29
	v_mov_b32_e32 v84, s17
	s_xor_b32 exec_lo, exec_lo, s29
	s_cbranch_execnz .LBB4_3741
.LBB4_3590:                             ;   in Loop: Header=BB4_3380 Depth=3
	s_or_b32 exec_lo, exec_lo, s29
	s_and_saveexec_b32 s17, s13
	s_cbranch_execz .LBB4_3592
.LBB4_3591:                             ;   in Loop: Header=BB4_3380 Depth=3
	v_and_b32_e32 v84, 7, v81
	v_lshrrev_b16 v164, 3, v81
	s_delay_alu instid0(VALU_DEP_2) | instskip(NEXT) | instid1(VALU_DEP_2)
	v_clz_i32_u32_e32 v150, v84
	v_and_b32_e32 v164, 15, v164
	s_delay_alu instid0(VALU_DEP_2) | instskip(NEXT) | instid1(VALU_DEP_2)
	v_min_u32_e32 v150, 32, v150
	v_cmp_eq_u32_e32 vcc_lo, 0, v164
	s_delay_alu instid0(VALU_DEP_2) | instskip(SKIP_1) | instid1(VALU_DEP_1)
	v_subrev_nc_u32_e32 v161, 28, v150
	v_sub_nc_u32_e32 v150, 29, v150
	v_dual_cndmask_b32 v150, v164, v150 :: v_dual_lshlrev_b32 v161, v161, v81
	v_lshlrev_b32_e32 v81, 24, v81
	s_delay_alu instid0(VALU_DEP_2) | instskip(NEXT) | instid1(VALU_DEP_3)
	v_and_b32_e32 v161, 7, v161
	v_lshl_add_u32 v150, v150, 23, 0x3b800000
	s_delay_alu instid0(VALU_DEP_3) | instskip(NEXT) | instid1(VALU_DEP_3)
	v_and_b32_e32 v81, 0x80000000, v81
	v_cndmask_b32_e32 v84, v84, v161, vcc_lo
	s_delay_alu instid0(VALU_DEP_1) | instskip(NEXT) | instid1(VALU_DEP_1)
	v_lshlrev_b32_e32 v84, 20, v84
	v_or3_b32 v84, v81, v150, v84
.LBB4_3592:                             ;   in Loop: Header=BB4_3380 Depth=3
	s_or_b32 exec_lo, exec_lo, s17
	s_waitcnt vmcnt(2) lgkmcnt(2)
	v_and_b32_e32 v150, 0xff, v80
	s_mov_b32 s13, 0
	s_mov_b32 s29, exec_lo
                                        ; implicit-def: $sgpr17
	s_delay_alu instid0(VALU_DEP_1)
	v_cmpx_lt_i16_e64 0x7f, v150
	s_xor_b32 s29, exec_lo, s29
	s_cbranch_execnz .LBB4_3742
; %bb.3593:                             ;   in Loop: Header=BB4_3380 Depth=3
	s_or_saveexec_b32 s29, s29
	v_mov_b32_e32 v81, s17
	s_xor_b32 exec_lo, exec_lo, s29
	s_cbranch_execnz .LBB4_3745
.LBB4_3594:                             ;   in Loop: Header=BB4_3380 Depth=3
	s_or_b32 exec_lo, exec_lo, s29
	s_and_saveexec_b32 s17, s13
	s_cbranch_execz .LBB4_3596
.LBB4_3595:                             ;   in Loop: Header=BB4_3380 Depth=3
	v_lshrrev_b16 v164, 3, v80
	s_delay_alu instid0(VALU_DEP_1) | instskip(NEXT) | instid1(VALU_DEP_1)
	v_and_b32_e32 v164, 15, v164
	v_cmp_eq_u32_e32 vcc_lo, 0, v164
	v_and_b32_e32 v81, 7, v80
	s_delay_alu instid0(VALU_DEP_1) | instskip(NEXT) | instid1(VALU_DEP_1)
	v_clz_i32_u32_e32 v150, v81
	v_min_u32_e32 v150, 32, v150
	s_delay_alu instid0(VALU_DEP_1) | instskip(SKIP_1) | instid1(VALU_DEP_1)
	v_subrev_nc_u32_e32 v161, 28, v150
	v_sub_nc_u32_e32 v150, 29, v150
	v_dual_cndmask_b32 v150, v164, v150 :: v_dual_lshlrev_b32 v161, v161, v80
	v_lshlrev_b32_e32 v80, 24, v80
	s_delay_alu instid0(VALU_DEP_2) | instskip(NEXT) | instid1(VALU_DEP_3)
	v_and_b32_e32 v161, 7, v161
	v_lshl_add_u32 v150, v150, 23, 0x3b800000
	s_delay_alu instid0(VALU_DEP_2) | instskip(NEXT) | instid1(VALU_DEP_1)
	v_dual_cndmask_b32 v81, v81, v161 :: v_dual_and_b32 v80, 0x80000000, v80
	v_lshlrev_b32_e32 v81, 20, v81
	s_delay_alu instid0(VALU_DEP_1)
	v_or3_b32 v81, v80, v150, v81
.LBB4_3596:                             ;   in Loop: Header=BB4_3380 Depth=3
	s_or_b32 exec_lo, exec_lo, s17
	s_delay_alu instid0(VALU_DEP_1) | instskip(NEXT) | instid1(VALU_DEP_1)
	v_add_f32_e32 v81, v84, v81
	v_and_b32_e32 v80, 0x7f800000, v81
	s_delay_alu instid0(VALU_DEP_1)
	v_cmp_ne_u32_e32 vcc_lo, 0x7f800000, v80
	v_mov_b32_e32 v80, 0x80
	s_and_saveexec_b32 s17, vcc_lo
	s_cbranch_execz .LBB4_3604
; %bb.3597:                             ;   in Loop: Header=BB4_3380 Depth=3
	v_mov_b32_e32 v80, 0
	s_mov_b32 s29, exec_lo
	v_cmpx_ne_u32_e32 0, v81
	s_cbranch_execz .LBB4_3603
; %bb.3598:                             ;   in Loop: Header=BB4_3380 Depth=3
	v_bfe_u32 v80, v81, 23, 8
	v_and_b32_e32 v84, 0x7fffff, v81
	s_delay_alu instid0(VALU_DEP_2) | instskip(SKIP_1) | instid1(VALU_DEP_3)
	v_sub_nc_u32_e32 v150, 0x78, v80
	v_cmp_gt_u32_e32 vcc_lo, 0x79, v80
	v_or_b32_e32 v161, 0x800000, v84
	s_delay_alu instid0(VALU_DEP_3) | instskip(SKIP_2) | instid1(VALU_DEP_3)
	v_cndmask_b32_e32 v150, 0, v150, vcc_lo
	v_cmp_eq_u32_e32 vcc_lo, 0, v80
	v_add_nc_u32_e32 v80, 0xffffff89, v80
	v_cndmask_b32_e64 v150, v150, 0x77, vcc_lo
	v_cndmask_b32_e32 v84, v161, v84, vcc_lo
	s_delay_alu instid0(VALU_DEP_3) | instskip(NEXT) | instid1(VALU_DEP_3)
	v_cndmask_b32_e64 v80, v80, 0xffffff8a, vcc_lo
	v_lshl_add_u32 v161, 0x100000, v150, -1
	s_delay_alu instid0(VALU_DEP_3) | instskip(SKIP_1) | instid1(VALU_DEP_4)
	v_lshrrev_b32_e32 v164, v150, v84
	v_lshlrev_b32_e64 v177, v150, 0x80000
	v_add_nc_u32_e32 v150, v150, v80
	s_delay_alu instid0(VALU_DEP_4) | instskip(NEXT) | instid1(VALU_DEP_4)
	v_and_b32_e32 v84, v161, v84
	v_bfe_u32 v167, v164, 20, 1
	s_delay_alu instid0(VALU_DEP_2) | instskip(NEXT) | instid1(VALU_DEP_2)
	v_cmp_eq_u32_e64 s13, v84, v177
	v_add_nc_u32_e32 v161, -1, v167
	s_delay_alu instid0(VALU_DEP_1) | instskip(SKIP_2) | instid1(VALU_DEP_2)
	v_cndmask_b32_e64 v84, 0, v161, s13
	v_lshrrev_b32_e32 v161, 23, v164
	s_mov_b32 s13, exec_lo
	v_add_nc_u32_e32 v84, v84, v164
	s_delay_alu instid0(VALU_DEP_2) | instskip(NEXT) | instid1(VALU_DEP_2)
	v_xor_b32_e32 v161, 1, v161
	v_and_b32_e32 v80, 0xfffff, v84
	s_delay_alu instid0(VALU_DEP_1) | instskip(NEXT) | instid1(VALU_DEP_3)
	v_add_nc_u32_e32 v84, v80, v164
                                        ; implicit-def: $vgpr80
	v_cmpx_ne_u32_e64 v150, v161
	s_xor_b32 s13, exec_lo, s13
; %bb.3599:                             ;   in Loop: Header=BB4_3380 Depth=3
	s_delay_alu instid0(VALU_DEP_2) | instskip(SKIP_2) | instid1(VALU_DEP_2)
	v_cmp_lt_u32_e32 vcc_lo, 0xffffff, v84
	v_sub_nc_u32_e32 v80, v150, v161
	v_cndmask_b32_e64 v150, 0, 1, vcc_lo
	v_add_co_ci_u32_e32 v80, vcc_lo, 0, v80, vcc_lo
	s_delay_alu instid0(VALU_DEP_2)
	v_lshrrev_b32_e32 v84, v150, v84
; %bb.3600:                             ;   in Loop: Header=BB4_3380 Depth=3
	s_and_not1_saveexec_b32 s13, s13
; %bb.3601:                             ;   in Loop: Header=BB4_3380 Depth=3
	s_delay_alu instid0(VALU_DEP_1)
	v_bfe_u32 v80, v84, 23, 1
; %bb.3602:                             ;   in Loop: Header=BB4_3380 Depth=3
	s_or_b32 exec_lo, exec_lo, s13
	v_lshrrev_b32_e32 v84, 20, v84
	s_delay_alu instid0(VALU_DEP_2) | instskip(SKIP_2) | instid1(VALU_DEP_2)
	v_cmp_gt_i32_e32 vcc_lo, 16, v80
	v_lshrrev_b32_e32 v81, 24, v81
	v_min_i32_e32 v150, 15, v80
	v_dual_cndmask_b32 v84, 7, v84 :: v_dual_and_b32 v81, 0x80, v81
	s_delay_alu instid0(VALU_DEP_2) | instskip(NEXT) | instid1(VALU_DEP_2)
	v_lshlrev_b32_e32 v150, 3, v150
	v_or_b32_e32 v80, v80, v84
	s_delay_alu instid0(VALU_DEP_1) | instskip(SKIP_1) | instid1(VALU_DEP_1)
	v_cmp_ne_u32_e32 vcc_lo, 0, v80
	v_and_b32_e32 v161, 7, v84
	v_or3_b32 v81, v150, v81, v161
	s_delay_alu instid0(VALU_DEP_1)
	v_cndmask_b32_e32 v80, 0, v81, vcc_lo
.LBB4_3603:                             ;   in Loop: Header=BB4_3380 Depth=3
	s_or_b32 exec_lo, exec_lo, s29
.LBB4_3604:                             ;   in Loop: Header=BB4_3380 Depth=3
	s_delay_alu instid0(SALU_CYCLE_1) | instskip(SKIP_3) | instid1(VALU_DEP_1)
	s_or_b32 exec_lo, exec_lo, s17
	v_and_b32_e32 v84, 0xff, v69
	s_mov_b32 s13, 0
	s_mov_b32 s29, exec_lo
                                        ; implicit-def: $sgpr17
	v_cmpx_lt_i16_e32 0x7f, v84
	s_xor_b32 s29, exec_lo, s29
	s_cbranch_execnz .LBB4_3746
; %bb.3605:                             ;   in Loop: Header=BB4_3380 Depth=3
	s_or_saveexec_b32 s29, s29
	v_mov_b32_e32 v81, s17
	s_xor_b32 exec_lo, exec_lo, s29
	s_cbranch_execnz .LBB4_3749
.LBB4_3606:                             ;   in Loop: Header=BB4_3380 Depth=3
	s_or_b32 exec_lo, exec_lo, s29
	s_and_saveexec_b32 s17, s13
	s_cbranch_execz .LBB4_3608
.LBB4_3607:                             ;   in Loop: Header=BB4_3380 Depth=3
	v_lshrrev_b16 v161, 3, v69
	s_delay_alu instid0(VALU_DEP_1) | instskip(NEXT) | instid1(VALU_DEP_1)
	v_and_b32_e32 v161, 15, v161
	v_cmp_eq_u32_e32 vcc_lo, 0, v161
	v_and_b32_e32 v81, 7, v69
	s_delay_alu instid0(VALU_DEP_1) | instskip(NEXT) | instid1(VALU_DEP_1)
	v_clz_i32_u32_e32 v84, v81
	v_min_u32_e32 v84, 32, v84
	s_delay_alu instid0(VALU_DEP_1) | instskip(SKIP_1) | instid1(VALU_DEP_2)
	v_subrev_nc_u32_e32 v150, 28, v84
	v_sub_nc_u32_e32 v84, 29, v84
	v_lshlrev_b32_e32 v150, v150, v69
	s_delay_alu instid0(VALU_DEP_2) | instskip(NEXT) | instid1(VALU_DEP_2)
	v_dual_cndmask_b32 v84, v161, v84 :: v_dual_lshlrev_b32 v69, 24, v69
	v_and_b32_e32 v150, 7, v150
	s_delay_alu instid0(VALU_DEP_2) | instskip(NEXT) | instid1(VALU_DEP_3)
	v_lshl_add_u32 v84, v84, 23, 0x3b800000
	v_and_b32_e32 v69, 0x80000000, v69
	s_delay_alu instid0(VALU_DEP_3) | instskip(NEXT) | instid1(VALU_DEP_1)
	v_cndmask_b32_e32 v81, v81, v150, vcc_lo
	v_lshlrev_b32_e32 v81, 20, v81
	s_delay_alu instid0(VALU_DEP_1)
	v_or3_b32 v81, v69, v84, v81
.LBB4_3608:                             ;   in Loop: Header=BB4_3380 Depth=3
	s_or_b32 exec_lo, exec_lo, s17
	s_waitcnt vmcnt(1) lgkmcnt(1)
	v_and_b32_e32 v84, 0xff, v23
	s_mov_b32 s13, 0
	s_mov_b32 s29, exec_lo
                                        ; implicit-def: $sgpr17
	s_delay_alu instid0(VALU_DEP_1)
	v_cmpx_lt_i16_e32 0x7f, v84
	s_xor_b32 s29, exec_lo, s29
	s_cbranch_execnz .LBB4_3750
; %bb.3609:                             ;   in Loop: Header=BB4_3380 Depth=3
	s_or_saveexec_b32 s29, s29
	v_mov_b32_e32 v69, s17
	s_xor_b32 exec_lo, exec_lo, s29
	s_cbranch_execnz .LBB4_3753
.LBB4_3610:                             ;   in Loop: Header=BB4_3380 Depth=3
	s_or_b32 exec_lo, exec_lo, s29
	s_and_saveexec_b32 s17, s13
	s_cbranch_execz .LBB4_3612
.LBB4_3611:                             ;   in Loop: Header=BB4_3380 Depth=3
	v_lshrrev_b16 v161, 3, v23
	s_delay_alu instid0(VALU_DEP_1) | instskip(NEXT) | instid1(VALU_DEP_1)
	v_and_b32_e32 v161, 15, v161
	v_cmp_eq_u32_e32 vcc_lo, 0, v161
	v_and_b32_e32 v69, 7, v23
	s_delay_alu instid0(VALU_DEP_1) | instskip(NEXT) | instid1(VALU_DEP_1)
	v_clz_i32_u32_e32 v84, v69
	v_min_u32_e32 v84, 32, v84
	s_delay_alu instid0(VALU_DEP_1) | instskip(SKIP_1) | instid1(VALU_DEP_2)
	v_subrev_nc_u32_e32 v150, 28, v84
	v_sub_nc_u32_e32 v84, 29, v84
	v_lshlrev_b32_e32 v150, v150, v23
	s_delay_alu instid0(VALU_DEP_2) | instskip(NEXT) | instid1(VALU_DEP_2)
	v_dual_cndmask_b32 v84, v161, v84 :: v_dual_lshlrev_b32 v23, 24, v23
	v_and_b32_e32 v150, 7, v150
	s_delay_alu instid0(VALU_DEP_2) | instskip(NEXT) | instid1(VALU_DEP_3)
	v_lshl_add_u32 v84, v84, 23, 0x3b800000
	v_and_b32_e32 v23, 0x80000000, v23
	s_delay_alu instid0(VALU_DEP_3) | instskip(NEXT) | instid1(VALU_DEP_1)
	v_cndmask_b32_e32 v69, v69, v150, vcc_lo
	v_lshlrev_b32_e32 v69, 20, v69
	s_delay_alu instid0(VALU_DEP_1)
	v_or3_b32 v69, v23, v84, v69
.LBB4_3612:                             ;   in Loop: Header=BB4_3380 Depth=3
	s_or_b32 exec_lo, exec_lo, s17
	s_delay_alu instid0(VALU_DEP_1) | instskip(NEXT) | instid1(VALU_DEP_1)
	v_add_f32_e32 v69, v81, v69
	v_and_b32_e32 v23, 0x7f800000, v69
	s_delay_alu instid0(VALU_DEP_1)
	v_cmp_ne_u32_e32 vcc_lo, 0x7f800000, v23
	v_mov_b32_e32 v23, 0x80
	s_and_saveexec_b32 s17, vcc_lo
	s_cbranch_execz .LBB4_3620
; %bb.3613:                             ;   in Loop: Header=BB4_3380 Depth=3
	v_mov_b32_e32 v23, 0
	s_mov_b32 s29, exec_lo
	v_cmpx_ne_u32_e32 0, v69
	s_cbranch_execz .LBB4_3619
; %bb.3614:                             ;   in Loop: Header=BB4_3380 Depth=3
	v_bfe_u32 v23, v69, 23, 8
	s_delay_alu instid0(VALU_DEP_1) | instskip(SKIP_1) | instid1(VALU_DEP_2)
	v_sub_nc_u32_e32 v84, 0x78, v23
	v_cmp_gt_u32_e32 vcc_lo, 0x79, v23
	v_dual_cndmask_b32 v84, 0, v84 :: v_dual_and_b32 v81, 0x7fffff, v69
	s_delay_alu instid0(VALU_DEP_1) | instskip(SKIP_2) | instid1(VALU_DEP_4)
	v_or_b32_e32 v150, 0x800000, v81
	v_cmp_eq_u32_e32 vcc_lo, 0, v23
	v_add_nc_u32_e32 v23, 0xffffff89, v23
	v_cndmask_b32_e64 v84, v84, 0x77, vcc_lo
	s_delay_alu instid0(VALU_DEP_4) | instskip(NEXT) | instid1(VALU_DEP_3)
	v_cndmask_b32_e32 v81, v150, v81, vcc_lo
	v_cndmask_b32_e64 v23, v23, 0xffffff8a, vcc_lo
	s_delay_alu instid0(VALU_DEP_3) | instskip(NEXT) | instid1(VALU_DEP_3)
	v_lshl_add_u32 v150, 0x100000, v84, -1
	v_lshrrev_b32_e32 v161, v84, v81
	v_lshlrev_b32_e64 v167, v84, 0x80000
	s_delay_alu instid0(VALU_DEP_4) | instskip(NEXT) | instid1(VALU_DEP_4)
	v_add_nc_u32_e32 v84, v84, v23
	v_and_b32_e32 v81, v150, v81
	s_delay_alu instid0(VALU_DEP_4) | instskip(NEXT) | instid1(VALU_DEP_2)
	v_bfe_u32 v164, v161, 20, 1
	v_cmp_eq_u32_e64 s13, v81, v167
	s_delay_alu instid0(VALU_DEP_2) | instskip(NEXT) | instid1(VALU_DEP_1)
	v_add_nc_u32_e32 v150, -1, v164
	v_cndmask_b32_e64 v81, 0, v150, s13
	v_lshrrev_b32_e32 v150, 23, v161
	s_mov_b32 s13, exec_lo
	s_delay_alu instid0(VALU_DEP_2) | instskip(NEXT) | instid1(VALU_DEP_2)
	v_add_nc_u32_e32 v81, v81, v161
	v_xor_b32_e32 v150, 1, v150
	s_delay_alu instid0(VALU_DEP_2) | instskip(NEXT) | instid1(VALU_DEP_1)
	v_and_b32_e32 v23, 0xfffff, v81
	v_add_nc_u32_e32 v81, v23, v161
                                        ; implicit-def: $vgpr23
	s_delay_alu instid0(VALU_DEP_3)
	v_cmpx_ne_u32_e64 v84, v150
	s_xor_b32 s13, exec_lo, s13
; %bb.3615:                             ;   in Loop: Header=BB4_3380 Depth=3
	s_delay_alu instid0(VALU_DEP_2) | instskip(SKIP_2) | instid1(VALU_DEP_2)
	v_cmp_lt_u32_e32 vcc_lo, 0xffffff, v81
	v_sub_nc_u32_e32 v23, v84, v150
	v_cndmask_b32_e64 v84, 0, 1, vcc_lo
	v_add_co_ci_u32_e32 v23, vcc_lo, 0, v23, vcc_lo
	s_delay_alu instid0(VALU_DEP_2)
	v_lshrrev_b32_e32 v81, v84, v81
; %bb.3616:                             ;   in Loop: Header=BB4_3380 Depth=3
	s_and_not1_saveexec_b32 s13, s13
; %bb.3617:                             ;   in Loop: Header=BB4_3380 Depth=3
	s_delay_alu instid0(VALU_DEP_1)
	v_bfe_u32 v23, v81, 23, 1
; %bb.3618:                             ;   in Loop: Header=BB4_3380 Depth=3
	s_or_b32 exec_lo, exec_lo, s13
	v_lshrrev_b32_e32 v81, 20, v81
	s_delay_alu instid0(VALU_DEP_2) | instskip(SKIP_2) | instid1(VALU_DEP_4)
	v_cmp_gt_i32_e32 vcc_lo, 16, v23
	v_lshrrev_b32_e32 v69, 24, v69
	v_min_i32_e32 v84, 15, v23
	v_cndmask_b32_e32 v81, 7, v81, vcc_lo
	s_delay_alu instid0(VALU_DEP_3) | instskip(NEXT) | instid1(VALU_DEP_3)
	v_and_b32_e32 v69, 0x80, v69
	v_lshlrev_b32_e32 v84, 3, v84
	s_delay_alu instid0(VALU_DEP_3) | instskip(SKIP_1) | instid1(VALU_DEP_2)
	v_and_b32_e32 v150, 7, v81
	v_or_b32_e32 v23, v23, v81
	v_or3_b32 v69, v84, v69, v150
	s_delay_alu instid0(VALU_DEP_2) | instskip(NEXT) | instid1(VALU_DEP_2)
	v_cmp_ne_u32_e32 vcc_lo, 0, v23
	v_cndmask_b32_e32 v23, 0, v69, vcc_lo
.LBB4_3619:                             ;   in Loop: Header=BB4_3380 Depth=3
	s_or_b32 exec_lo, exec_lo, s29
.LBB4_3620:                             ;   in Loop: Header=BB4_3380 Depth=3
	s_delay_alu instid0(SALU_CYCLE_1) | instskip(SKIP_3) | instid1(VALU_DEP_1)
	s_or_b32 exec_lo, exec_lo, s17
	v_and_b32_e32 v81, 0xff, v21
	s_mov_b32 s13, 0
	s_mov_b32 s29, exec_lo
                                        ; implicit-def: $sgpr17
	v_cmpx_lt_i16_e32 0x7f, v81
	s_xor_b32 s29, exec_lo, s29
	s_cbranch_execnz .LBB4_3754
; %bb.3621:                             ;   in Loop: Header=BB4_3380 Depth=3
	s_or_saveexec_b32 s29, s29
	v_mov_b32_e32 v69, s17
	s_xor_b32 exec_lo, exec_lo, s29
	s_cbranch_execnz .LBB4_3757
.LBB4_3622:                             ;   in Loop: Header=BB4_3380 Depth=3
	s_or_b32 exec_lo, exec_lo, s29
	s_and_saveexec_b32 s17, s13
	s_cbranch_execz .LBB4_3624
.LBB4_3623:                             ;   in Loop: Header=BB4_3380 Depth=3
	v_and_b32_e32 v69, 7, v21
	v_lshrrev_b16 v150, 3, v21
	s_delay_alu instid0(VALU_DEP_2) | instskip(NEXT) | instid1(VALU_DEP_1)
	v_clz_i32_u32_e32 v81, v69
	v_min_u32_e32 v81, 32, v81
	s_delay_alu instid0(VALU_DEP_1) | instskip(SKIP_1) | instid1(VALU_DEP_2)
	v_subrev_nc_u32_e32 v84, 28, v81
	v_sub_nc_u32_e32 v81, 29, v81
	v_lshlrev_b32_e32 v84, v84, v21
	v_lshlrev_b32_e32 v21, 24, v21
	s_delay_alu instid0(VALU_DEP_2) | instskip(SKIP_1) | instid1(VALU_DEP_3)
	v_and_b32_e32 v84, 7, v84
	v_and_b32_e32 v150, 15, v150
	;; [unrolled: 1-line block ×3, first 2 shown]
	s_delay_alu instid0(VALU_DEP_2) | instskip(NEXT) | instid1(VALU_DEP_4)
	v_cmp_eq_u32_e32 vcc_lo, 0, v150
	v_cndmask_b32_e32 v69, v69, v84, vcc_lo
	v_cndmask_b32_e32 v81, v150, v81, vcc_lo
	s_delay_alu instid0(VALU_DEP_2) | instskip(NEXT) | instid1(VALU_DEP_2)
	v_lshlrev_b32_e32 v69, 20, v69
	v_lshl_add_u32 v81, v81, 23, 0x3b800000
	s_delay_alu instid0(VALU_DEP_1)
	v_or3_b32 v69, v21, v81, v69
.LBB4_3624:                             ;   in Loop: Header=BB4_3380 Depth=3
	s_or_b32 exec_lo, exec_lo, s17
	s_waitcnt vmcnt(0) lgkmcnt(0)
	v_and_b32_e32 v81, 0xff, v20
	s_mov_b32 s13, 0
	s_mov_b32 s29, exec_lo
                                        ; implicit-def: $sgpr17
	s_delay_alu instid0(VALU_DEP_1)
	v_cmpx_lt_i16_e32 0x7f, v81
	s_xor_b32 s29, exec_lo, s29
	s_cbranch_execnz .LBB4_3758
; %bb.3625:                             ;   in Loop: Header=BB4_3380 Depth=3
	s_or_saveexec_b32 s29, s29
	v_mov_b32_e32 v21, s17
	s_xor_b32 exec_lo, exec_lo, s29
	s_cbranch_execnz .LBB4_3761
.LBB4_3626:                             ;   in Loop: Header=BB4_3380 Depth=3
	s_or_b32 exec_lo, exec_lo, s29
	s_and_saveexec_b32 s17, s13
	s_cbranch_execz .LBB4_3628
.LBB4_3627:                             ;   in Loop: Header=BB4_3380 Depth=3
	v_and_b32_e32 v21, 7, v20
	v_lshrrev_b16 v150, 3, v20
	s_delay_alu instid0(VALU_DEP_2) | instskip(NEXT) | instid1(VALU_DEP_2)
	v_clz_i32_u32_e32 v81, v21
	v_and_b32_e32 v150, 15, v150
	s_delay_alu instid0(VALU_DEP_2) | instskip(NEXT) | instid1(VALU_DEP_2)
	v_min_u32_e32 v81, 32, v81
	v_cmp_eq_u32_e32 vcc_lo, 0, v150
	s_delay_alu instid0(VALU_DEP_2) | instskip(SKIP_1) | instid1(VALU_DEP_1)
	v_subrev_nc_u32_e32 v84, 28, v81
	v_sub_nc_u32_e32 v81, 29, v81
	v_dual_cndmask_b32 v81, v150, v81 :: v_dual_lshlrev_b32 v84, v84, v20
	v_lshlrev_b32_e32 v20, 24, v20
	s_delay_alu instid0(VALU_DEP_2) | instskip(NEXT) | instid1(VALU_DEP_3)
	v_and_b32_e32 v84, 7, v84
	v_lshl_add_u32 v81, v81, 23, 0x3b800000
	s_delay_alu instid0(VALU_DEP_3) | instskip(NEXT) | instid1(VALU_DEP_3)
	v_and_b32_e32 v20, 0x80000000, v20
	v_cndmask_b32_e32 v21, v21, v84, vcc_lo
	s_delay_alu instid0(VALU_DEP_1) | instskip(NEXT) | instid1(VALU_DEP_1)
	v_lshlrev_b32_e32 v21, 20, v21
	v_or3_b32 v21, v20, v81, v21
.LBB4_3628:                             ;   in Loop: Header=BB4_3380 Depth=3
	s_or_b32 exec_lo, exec_lo, s17
	s_delay_alu instid0(VALU_DEP_1) | instskip(NEXT) | instid1(VALU_DEP_1)
	v_add_f32_e32 v20, v69, v21
	v_and_b32_e32 v21, 0x7f800000, v20
	s_delay_alu instid0(VALU_DEP_1)
	v_cmp_ne_u32_e32 vcc_lo, 0x7f800000, v21
	v_mov_b32_e32 v21, 0x80
	s_and_saveexec_b32 s17, vcc_lo
	s_cbranch_execz .LBB4_3379
; %bb.3629:                             ;   in Loop: Header=BB4_3380 Depth=3
	v_mov_b32_e32 v21, 0
	s_mov_b32 s29, exec_lo
	v_cmpx_ne_u32_e32 0, v20
	s_cbranch_execz .LBB4_3378
; %bb.3630:                             ;   in Loop: Header=BB4_3380 Depth=3
	v_bfe_u32 v21, v20, 23, 8
	v_and_b32_e32 v69, 0x7fffff, v20
	s_delay_alu instid0(VALU_DEP_2) | instskip(SKIP_1) | instid1(VALU_DEP_3)
	v_sub_nc_u32_e32 v81, 0x78, v21
	v_cmp_gt_u32_e32 vcc_lo, 0x79, v21
	v_or_b32_e32 v84, 0x800000, v69
	s_delay_alu instid0(VALU_DEP_3) | instskip(SKIP_2) | instid1(VALU_DEP_3)
	v_cndmask_b32_e32 v81, 0, v81, vcc_lo
	v_cmp_eq_u32_e32 vcc_lo, 0, v21
	v_add_nc_u32_e32 v21, 0xffffff89, v21
	v_cndmask_b32_e64 v81, v81, 0x77, vcc_lo
	v_cndmask_b32_e32 v69, v84, v69, vcc_lo
	s_delay_alu instid0(VALU_DEP_3) | instskip(NEXT) | instid1(VALU_DEP_3)
	v_cndmask_b32_e64 v21, v21, 0xffffff8a, vcc_lo
	v_lshl_add_u32 v84, 0x100000, v81, -1
	s_delay_alu instid0(VALU_DEP_3) | instskip(SKIP_1) | instid1(VALU_DEP_4)
	v_lshrrev_b32_e32 v150, v81, v69
	v_lshlrev_b32_e64 v164, v81, 0x80000
	v_add_nc_u32_e32 v81, v81, v21
	s_delay_alu instid0(VALU_DEP_4) | instskip(NEXT) | instid1(VALU_DEP_4)
	v_and_b32_e32 v69, v84, v69
	v_bfe_u32 v161, v150, 20, 1
	s_delay_alu instid0(VALU_DEP_2) | instskip(NEXT) | instid1(VALU_DEP_2)
	v_cmp_eq_u32_e64 s13, v69, v164
	v_add_nc_u32_e32 v84, -1, v161
	s_delay_alu instid0(VALU_DEP_1) | instskip(SKIP_2) | instid1(VALU_DEP_2)
	v_cndmask_b32_e64 v69, 0, v84, s13
	v_lshrrev_b32_e32 v84, 23, v150
	s_mov_b32 s13, exec_lo
	v_add_nc_u32_e32 v69, v69, v150
	s_delay_alu instid0(VALU_DEP_2) | instskip(NEXT) | instid1(VALU_DEP_2)
	v_xor_b32_e32 v84, 1, v84
	v_and_b32_e32 v21, 0xfffff, v69
	s_delay_alu instid0(VALU_DEP_1) | instskip(NEXT) | instid1(VALU_DEP_3)
	v_add_nc_u32_e32 v69, v21, v150
                                        ; implicit-def: $vgpr21
	v_cmpx_ne_u32_e64 v81, v84
	s_xor_b32 s13, exec_lo, s13
; %bb.3631:                             ;   in Loop: Header=BB4_3380 Depth=3
	s_delay_alu instid0(VALU_DEP_2) | instskip(SKIP_2) | instid1(VALU_DEP_2)
	v_cmp_lt_u32_e32 vcc_lo, 0xffffff, v69
	v_sub_nc_u32_e32 v21, v81, v84
	v_cndmask_b32_e64 v81, 0, 1, vcc_lo
	v_add_co_ci_u32_e32 v21, vcc_lo, 0, v21, vcc_lo
	s_delay_alu instid0(VALU_DEP_2)
	v_lshrrev_b32_e32 v69, v81, v69
; %bb.3632:                             ;   in Loop: Header=BB4_3380 Depth=3
	s_and_not1_saveexec_b32 s13, s13
	s_cbranch_execz .LBB4_3377
; %bb.3633:                             ;   in Loop: Header=BB4_3380 Depth=3
	s_delay_alu instid0(VALU_DEP_1)
	v_bfe_u32 v21, v69, 23, 1
	s_branch .LBB4_3377
.LBB4_3634:                             ;   in Loop: Header=BB4_3380 Depth=3
	s_mov_b32 s13, -1
	s_mov_b32 s30, exec_lo
                                        ; implicit-def: $sgpr17
	v_cmpx_eq_u16_e32 0x80, v41
; %bb.3635:                             ;   in Loop: Header=BB4_3380 Depth=3
	s_mov_b32 s17, 0x7f800001
	s_xor_b32 s13, exec_lo, -1
; %bb.3636:                             ;   in Loop: Header=BB4_3380 Depth=3
	s_or_b32 exec_lo, exec_lo, s30
	s_delay_alu instid0(SALU_CYCLE_1)
	s_and_b32 s13, s13, exec_lo
	s_or_saveexec_b32 s29, s29
	v_mov_b32_e32 v40, s17
	s_xor_b32 exec_lo, exec_lo, s29
	s_cbranch_execz .LBB4_3382
.LBB4_3637:                             ;   in Loop: Header=BB4_3380 Depth=3
	v_cmp_ne_u16_e32 vcc_lo, 0, v41
	v_mov_b32_e32 v40, 0
	s_and_not1_b32 s13, s13, exec_lo
	s_and_b32 s17, vcc_lo, exec_lo
	s_delay_alu instid0(SALU_CYCLE_1)
	s_or_b32 s13, s13, s17
	s_or_b32 exec_lo, exec_lo, s29
	s_and_saveexec_b32 s17, s13
	s_cbranch_execnz .LBB4_3383
	s_branch .LBB4_3384
.LBB4_3638:                             ;   in Loop: Header=BB4_3380 Depth=3
	s_mov_b32 s13, -1
	s_mov_b32 s30, exec_lo
                                        ; implicit-def: $sgpr17
	v_cmpx_eq_u16_e32 0x80, v42
; %bb.3639:                             ;   in Loop: Header=BB4_3380 Depth=3
	s_mov_b32 s17, 0x7f800001
	s_xor_b32 s13, exec_lo, -1
; %bb.3640:                             ;   in Loop: Header=BB4_3380 Depth=3
	s_or_b32 exec_lo, exec_lo, s30
	s_delay_alu instid0(SALU_CYCLE_1)
	s_and_b32 s13, s13, exec_lo
                                        ; implicit-def: $vgpr42
	s_or_saveexec_b32 s29, s29
	v_mov_b32_e32 v41, s17
	s_xor_b32 exec_lo, exec_lo, s29
	s_cbranch_execz .LBB4_3386
.LBB4_3641:                             ;   in Loop: Header=BB4_3380 Depth=3
	v_cmp_ne_u16_e32 vcc_lo, 0, v42
	v_mov_b32_e32 v41, 0
	s_and_not1_b32 s13, s13, exec_lo
	s_and_b32 s17, vcc_lo, exec_lo
	s_delay_alu instid0(SALU_CYCLE_1)
	s_or_b32 s13, s13, s17
	s_or_b32 exec_lo, exec_lo, s29
	s_and_saveexec_b32 s17, s13
	s_cbranch_execnz .LBB4_3387
	s_branch .LBB4_3388
.LBB4_3642:                             ;   in Loop: Header=BB4_3380 Depth=3
	s_mov_b32 s13, -1
	s_mov_b32 s30, exec_lo
                                        ; implicit-def: $sgpr17
	v_cmpx_eq_u16_e32 0x80, v41
; %bb.3643:                             ;   in Loop: Header=BB4_3380 Depth=3
	s_mov_b32 s17, 0x7f800001
	s_xor_b32 s13, exec_lo, -1
; %bb.3644:                             ;   in Loop: Header=BB4_3380 Depth=3
	s_or_b32 exec_lo, exec_lo, s30
	s_delay_alu instid0(SALU_CYCLE_1)
	s_and_b32 s13, s13, exec_lo
                                        ; implicit-def: $vgpr41
	s_or_saveexec_b32 s29, s29
	v_mov_b32_e32 v40, s17
	s_xor_b32 exec_lo, exec_lo, s29
	s_cbranch_execz .LBB4_3398
.LBB4_3645:                             ;   in Loop: Header=BB4_3380 Depth=3
	v_cmp_ne_u16_e32 vcc_lo, 0, v41
	v_mov_b32_e32 v40, 0
	s_and_not1_b32 s13, s13, exec_lo
	s_and_b32 s17, vcc_lo, exec_lo
	s_delay_alu instid0(SALU_CYCLE_1)
	s_or_b32 s13, s13, s17
	s_or_b32 exec_lo, exec_lo, s29
	s_and_saveexec_b32 s17, s13
	s_cbranch_execnz .LBB4_3399
	s_branch .LBB4_3400
.LBB4_3646:                             ;   in Loop: Header=BB4_3380 Depth=3
	s_mov_b32 s13, -1
	s_mov_b32 s30, exec_lo
                                        ; implicit-def: $sgpr17
	v_cmpx_eq_u16_e32 0x80, v41
; %bb.3647:                             ;   in Loop: Header=BB4_3380 Depth=3
	s_mov_b32 s17, 0x7f800001
	s_xor_b32 s13, exec_lo, -1
; %bb.3648:                             ;   in Loop: Header=BB4_3380 Depth=3
	s_or_b32 exec_lo, exec_lo, s30
	s_delay_alu instid0(SALU_CYCLE_1)
	s_and_b32 s13, s13, exec_lo
                                        ; implicit-def: $vgpr41
	s_or_saveexec_b32 s29, s29
	v_mov_b32_e32 v183, s17
	s_xor_b32 exec_lo, exec_lo, s29
	s_cbranch_execz .LBB4_3402
.LBB4_3649:                             ;   in Loop: Header=BB4_3380 Depth=3
	v_cmp_ne_u16_e32 vcc_lo, 0, v41
	v_mov_b32_e32 v183, 0
	s_and_not1_b32 s13, s13, exec_lo
	s_and_b32 s17, vcc_lo, exec_lo
	s_delay_alu instid0(SALU_CYCLE_1)
	s_or_b32 s13, s13, s17
	s_or_b32 exec_lo, exec_lo, s29
	s_and_saveexec_b32 s17, s13
	s_cbranch_execnz .LBB4_3403
	s_branch .LBB4_3404
.LBB4_3650:                             ;   in Loop: Header=BB4_3380 Depth=3
	s_mov_b32 s13, -1
	s_mov_b32 s30, exec_lo
                                        ; implicit-def: $sgpr17
	v_cmpx_eq_u16_e32 0x80, v40
; %bb.3651:                             ;   in Loop: Header=BB4_3380 Depth=3
	s_mov_b32 s17, 0x7f800001
	s_xor_b32 s13, exec_lo, -1
; %bb.3652:                             ;   in Loop: Header=BB4_3380 Depth=3
	s_or_b32 exec_lo, exec_lo, s30
	s_delay_alu instid0(SALU_CYCLE_1)
	s_and_b32 s13, s13, exec_lo
                                        ; implicit-def: $vgpr40
	s_or_saveexec_b32 s29, s29
	v_mov_b32_e32 v183, s17
	s_xor_b32 exec_lo, exec_lo, s29
	s_cbranch_execz .LBB4_3414
.LBB4_3653:                             ;   in Loop: Header=BB4_3380 Depth=3
	v_cmp_ne_u16_e32 vcc_lo, 0, v40
	v_mov_b32_e32 v183, 0
	s_and_not1_b32 s13, s13, exec_lo
	s_and_b32 s17, vcc_lo, exec_lo
	s_delay_alu instid0(SALU_CYCLE_1)
	s_or_b32 s13, s13, s17
	s_or_b32 exec_lo, exec_lo, s29
	s_and_saveexec_b32 s17, s13
	s_cbranch_execnz .LBB4_3415
	s_branch .LBB4_3416
.LBB4_3654:                             ;   in Loop: Header=BB4_3380 Depth=3
	s_mov_b32 s13, -1
	s_mov_b32 s30, exec_lo
                                        ; implicit-def: $sgpr17
	v_cmpx_eq_u16_e32 0x80, v40
; %bb.3655:                             ;   in Loop: Header=BB4_3380 Depth=3
	s_mov_b32 s17, 0x7f800001
	s_xor_b32 s13, exec_lo, -1
; %bb.3656:                             ;   in Loop: Header=BB4_3380 Depth=3
	s_or_b32 exec_lo, exec_lo, s30
	s_delay_alu instid0(SALU_CYCLE_1)
	s_and_b32 s13, s13, exec_lo
                                        ; implicit-def: $vgpr40
	s_or_saveexec_b32 s29, s29
	v_mov_b32_e32 v182, s17
	s_xor_b32 exec_lo, exec_lo, s29
	s_cbranch_execz .LBB4_3418
.LBB4_3657:                             ;   in Loop: Header=BB4_3380 Depth=3
	v_cmp_ne_u16_e32 vcc_lo, 0, v40
	v_mov_b32_e32 v182, 0
	s_and_not1_b32 s13, s13, exec_lo
	s_and_b32 s17, vcc_lo, exec_lo
	s_delay_alu instid0(SALU_CYCLE_1)
	s_or_b32 s13, s13, s17
	s_or_b32 exec_lo, exec_lo, s29
	s_and_saveexec_b32 s17, s13
	s_cbranch_execnz .LBB4_3419
	s_branch .LBB4_3420
.LBB4_3658:                             ;   in Loop: Header=BB4_3380 Depth=3
	s_mov_b32 s13, -1
	s_mov_b32 s30, exec_lo
                                        ; implicit-def: $sgpr17
	v_cmpx_eq_u16_e64 0x80, v183
; %bb.3659:                             ;   in Loop: Header=BB4_3380 Depth=3
	s_mov_b32 s17, 0x7f800001
	s_xor_b32 s13, exec_lo, -1
; %bb.3660:                             ;   in Loop: Header=BB4_3380 Depth=3
	s_or_b32 exec_lo, exec_lo, s30
	s_delay_alu instid0(SALU_CYCLE_1)
	s_and_b32 s13, s13, exec_lo
                                        ; implicit-def: $vgpr183
	s_or_saveexec_b32 s29, s29
	v_mov_b32_e32 v182, s17
	s_xor_b32 exec_lo, exec_lo, s29
	s_cbranch_execz .LBB4_3430
.LBB4_3661:                             ;   in Loop: Header=BB4_3380 Depth=3
	v_cmp_ne_u16_e64 vcc_lo, 0, v183
	v_mov_b32_e32 v182, 0
	s_and_not1_b32 s13, s13, exec_lo
	s_delay_alu instid0(VALU_DEP_2) | instskip(NEXT) | instid1(SALU_CYCLE_1)
	s_and_b32 s17, vcc_lo, exec_lo
	s_or_b32 s13, s13, s17
	s_or_b32 exec_lo, exec_lo, s29
	s_and_saveexec_b32 s17, s13
	s_cbranch_execnz .LBB4_3431
	s_branch .LBB4_3432
.LBB4_3662:                             ;   in Loop: Header=BB4_3380 Depth=3
	s_mov_b32 s13, -1
	s_mov_b32 s30, exec_lo
                                        ; implicit-def: $sgpr17
	v_cmpx_eq_u16_e64 0x80, v183
; %bb.3663:                             ;   in Loop: Header=BB4_3380 Depth=3
	s_mov_b32 s17, 0x7f800001
	s_xor_b32 s13, exec_lo, -1
; %bb.3664:                             ;   in Loop: Header=BB4_3380 Depth=3
	s_or_b32 exec_lo, exec_lo, s30
	s_delay_alu instid0(SALU_CYCLE_1)
	s_and_b32 s13, s13, exec_lo
                                        ; implicit-def: $vgpr183
	s_or_saveexec_b32 s29, s29
	v_mov_b32_e32 v181, s17
	s_xor_b32 exec_lo, exec_lo, s29
	s_cbranch_execz .LBB4_3434
.LBB4_3665:                             ;   in Loop: Header=BB4_3380 Depth=3
	v_cmp_ne_u16_e64 vcc_lo, 0, v183
	v_mov_b32_e32 v181, 0
	s_and_not1_b32 s13, s13, exec_lo
	s_delay_alu instid0(VALU_DEP_2) | instskip(NEXT) | instid1(SALU_CYCLE_1)
	s_and_b32 s17, vcc_lo, exec_lo
	s_or_b32 s13, s13, s17
	s_or_b32 exec_lo, exec_lo, s29
	s_and_saveexec_b32 s17, s13
	s_cbranch_execnz .LBB4_3435
	s_branch .LBB4_3436
.LBB4_3666:                             ;   in Loop: Header=BB4_3380 Depth=3
	s_mov_b32 s13, -1
	s_mov_b32 s30, exec_lo
                                        ; implicit-def: $sgpr17
	v_cmpx_eq_u16_e64 0x80, v182
; %bb.3667:                             ;   in Loop: Header=BB4_3380 Depth=3
	s_mov_b32 s17, 0x7f800001
	s_xor_b32 s13, exec_lo, -1
; %bb.3668:                             ;   in Loop: Header=BB4_3380 Depth=3
	s_or_b32 exec_lo, exec_lo, s30
	s_delay_alu instid0(SALU_CYCLE_1)
	s_and_b32 s13, s13, exec_lo
                                        ; implicit-def: $vgpr182
	s_or_saveexec_b32 s29, s29
	v_mov_b32_e32 v181, s17
	s_xor_b32 exec_lo, exec_lo, s29
	s_cbranch_execz .LBB4_3446
.LBB4_3669:                             ;   in Loop: Header=BB4_3380 Depth=3
	v_cmp_ne_u16_e64 vcc_lo, 0, v182
	v_mov_b32_e32 v181, 0
	s_and_not1_b32 s13, s13, exec_lo
	s_delay_alu instid0(VALU_DEP_2) | instskip(NEXT) | instid1(SALU_CYCLE_1)
	s_and_b32 s17, vcc_lo, exec_lo
	s_or_b32 s13, s13, s17
	s_or_b32 exec_lo, exec_lo, s29
	s_and_saveexec_b32 s17, s13
	s_cbranch_execnz .LBB4_3447
	s_branch .LBB4_3448
.LBB4_3670:                             ;   in Loop: Header=BB4_3380 Depth=3
	s_mov_b32 s13, -1
	s_mov_b32 s30, exec_lo
                                        ; implicit-def: $sgpr17
	v_cmpx_eq_u16_e64 0x80, v182
; %bb.3671:                             ;   in Loop: Header=BB4_3380 Depth=3
	s_mov_b32 s17, 0x7f800001
	s_xor_b32 s13, exec_lo, -1
; %bb.3672:                             ;   in Loop: Header=BB4_3380 Depth=3
	s_or_b32 exec_lo, exec_lo, s30
	s_delay_alu instid0(SALU_CYCLE_1)
	s_and_b32 s13, s13, exec_lo
                                        ; implicit-def: $vgpr182
	s_or_saveexec_b32 s29, s29
	v_mov_b32_e32 v180, s17
	s_xor_b32 exec_lo, exec_lo, s29
	s_cbranch_execz .LBB4_3450
.LBB4_3673:                             ;   in Loop: Header=BB4_3380 Depth=3
	v_cmp_ne_u16_e64 vcc_lo, 0, v182
	v_mov_b32_e32 v180, 0
	s_and_not1_b32 s13, s13, exec_lo
	s_delay_alu instid0(VALU_DEP_2) | instskip(NEXT) | instid1(SALU_CYCLE_1)
	s_and_b32 s17, vcc_lo, exec_lo
	s_or_b32 s13, s13, s17
	s_or_b32 exec_lo, exec_lo, s29
	s_and_saveexec_b32 s17, s13
	s_cbranch_execnz .LBB4_3451
	s_branch .LBB4_3452
.LBB4_3674:                             ;   in Loop: Header=BB4_3380 Depth=3
	s_mov_b32 s13, -1
	s_mov_b32 s30, exec_lo
                                        ; implicit-def: $sgpr17
	v_cmpx_eq_u16_e64 0x80, v181
; %bb.3675:                             ;   in Loop: Header=BB4_3380 Depth=3
	s_mov_b32 s17, 0x7f800001
	s_xor_b32 s13, exec_lo, -1
; %bb.3676:                             ;   in Loop: Header=BB4_3380 Depth=3
	s_or_b32 exec_lo, exec_lo, s30
	s_delay_alu instid0(SALU_CYCLE_1)
	s_and_b32 s13, s13, exec_lo
                                        ; implicit-def: $vgpr181
	s_or_saveexec_b32 s29, s29
	v_mov_b32_e32 v180, s17
	s_xor_b32 exec_lo, exec_lo, s29
	s_cbranch_execz .LBB4_3462
.LBB4_3677:                             ;   in Loop: Header=BB4_3380 Depth=3
	v_cmp_ne_u16_e64 vcc_lo, 0, v181
	v_mov_b32_e32 v180, 0
	s_and_not1_b32 s13, s13, exec_lo
	s_delay_alu instid0(VALU_DEP_2) | instskip(NEXT) | instid1(SALU_CYCLE_1)
	s_and_b32 s17, vcc_lo, exec_lo
	s_or_b32 s13, s13, s17
	s_or_b32 exec_lo, exec_lo, s29
	s_and_saveexec_b32 s17, s13
	s_cbranch_execnz .LBB4_3463
	s_branch .LBB4_3464
.LBB4_3678:                             ;   in Loop: Header=BB4_3380 Depth=3
	s_mov_b32 s13, -1
	s_mov_b32 s30, exec_lo
                                        ; implicit-def: $sgpr17
	v_cmpx_eq_u16_e64 0x80, v181
; %bb.3679:                             ;   in Loop: Header=BB4_3380 Depth=3
	s_mov_b32 s17, 0x7f800001
	s_xor_b32 s13, exec_lo, -1
; %bb.3680:                             ;   in Loop: Header=BB4_3380 Depth=3
	s_or_b32 exec_lo, exec_lo, s30
	s_delay_alu instid0(SALU_CYCLE_1)
	s_and_b32 s13, s13, exec_lo
                                        ; implicit-def: $vgpr181
	s_or_saveexec_b32 s29, s29
	v_mov_b32_e32 v179, s17
	s_xor_b32 exec_lo, exec_lo, s29
	s_cbranch_execz .LBB4_3466
.LBB4_3681:                             ;   in Loop: Header=BB4_3380 Depth=3
	v_cmp_ne_u16_e64 vcc_lo, 0, v181
	v_mov_b32_e32 v179, 0
	s_and_not1_b32 s13, s13, exec_lo
	s_delay_alu instid0(VALU_DEP_2) | instskip(NEXT) | instid1(SALU_CYCLE_1)
	s_and_b32 s17, vcc_lo, exec_lo
	s_or_b32 s13, s13, s17
	s_or_b32 exec_lo, exec_lo, s29
	s_and_saveexec_b32 s17, s13
	s_cbranch_execnz .LBB4_3467
	s_branch .LBB4_3468
.LBB4_3682:                             ;   in Loop: Header=BB4_3380 Depth=3
	s_mov_b32 s13, -1
	s_mov_b32 s30, exec_lo
                                        ; implicit-def: $sgpr17
	v_cmpx_eq_u16_e64 0x80, v180
; %bb.3683:                             ;   in Loop: Header=BB4_3380 Depth=3
	s_mov_b32 s17, 0x7f800001
	s_xor_b32 s13, exec_lo, -1
; %bb.3684:                             ;   in Loop: Header=BB4_3380 Depth=3
	s_or_b32 exec_lo, exec_lo, s30
	s_delay_alu instid0(SALU_CYCLE_1)
	s_and_b32 s13, s13, exec_lo
                                        ; implicit-def: $vgpr180
	s_or_saveexec_b32 s29, s29
	v_mov_b32_e32 v179, s17
	s_xor_b32 exec_lo, exec_lo, s29
	s_cbranch_execz .LBB4_3478
.LBB4_3685:                             ;   in Loop: Header=BB4_3380 Depth=3
	v_cmp_ne_u16_e64 vcc_lo, 0, v180
	v_mov_b32_e32 v179, 0
	s_and_not1_b32 s13, s13, exec_lo
	s_delay_alu instid0(VALU_DEP_2) | instskip(NEXT) | instid1(SALU_CYCLE_1)
	s_and_b32 s17, vcc_lo, exec_lo
	s_or_b32 s13, s13, s17
	s_or_b32 exec_lo, exec_lo, s29
	s_and_saveexec_b32 s17, s13
	s_cbranch_execnz .LBB4_3479
	s_branch .LBB4_3480
.LBB4_3686:                             ;   in Loop: Header=BB4_3380 Depth=3
	s_mov_b32 s13, -1
	s_mov_b32 s30, exec_lo
                                        ; implicit-def: $sgpr17
	v_cmpx_eq_u16_e64 0x80, v180
; %bb.3687:                             ;   in Loop: Header=BB4_3380 Depth=3
	s_mov_b32 s17, 0x7f800001
	s_xor_b32 s13, exec_lo, -1
; %bb.3688:                             ;   in Loop: Header=BB4_3380 Depth=3
	s_or_b32 exec_lo, exec_lo, s30
	s_delay_alu instid0(SALU_CYCLE_1)
	s_and_b32 s13, s13, exec_lo
                                        ; implicit-def: $vgpr180
	s_or_saveexec_b32 s29, s29
	v_mov_b32_e32 v178, s17
	s_xor_b32 exec_lo, exec_lo, s29
	s_cbranch_execz .LBB4_3482
.LBB4_3689:                             ;   in Loop: Header=BB4_3380 Depth=3
	v_cmp_ne_u16_e64 vcc_lo, 0, v180
	v_mov_b32_e32 v178, 0
	s_and_not1_b32 s13, s13, exec_lo
	s_delay_alu instid0(VALU_DEP_2) | instskip(NEXT) | instid1(SALU_CYCLE_1)
	s_and_b32 s17, vcc_lo, exec_lo
	s_or_b32 s13, s13, s17
	s_or_b32 exec_lo, exec_lo, s29
	s_and_saveexec_b32 s17, s13
	s_cbranch_execnz .LBB4_3483
	s_branch .LBB4_3484
.LBB4_3690:                             ;   in Loop: Header=BB4_3380 Depth=3
	s_mov_b32 s13, -1
	s_mov_b32 s30, exec_lo
                                        ; implicit-def: $sgpr17
	v_cmpx_eq_u16_e64 0x80, v179
; %bb.3691:                             ;   in Loop: Header=BB4_3380 Depth=3
	s_mov_b32 s17, 0x7f800001
	s_xor_b32 s13, exec_lo, -1
; %bb.3692:                             ;   in Loop: Header=BB4_3380 Depth=3
	s_or_b32 exec_lo, exec_lo, s30
	s_delay_alu instid0(SALU_CYCLE_1)
	s_and_b32 s13, s13, exec_lo
                                        ; implicit-def: $vgpr179
	s_or_saveexec_b32 s29, s29
	v_mov_b32_e32 v178, s17
	s_xor_b32 exec_lo, exec_lo, s29
	s_cbranch_execz .LBB4_3494
.LBB4_3693:                             ;   in Loop: Header=BB4_3380 Depth=3
	v_cmp_ne_u16_e64 vcc_lo, 0, v179
	v_mov_b32_e32 v178, 0
	s_and_not1_b32 s13, s13, exec_lo
	s_delay_alu instid0(VALU_DEP_2) | instskip(NEXT) | instid1(SALU_CYCLE_1)
	s_and_b32 s17, vcc_lo, exec_lo
	s_or_b32 s13, s13, s17
	s_or_b32 exec_lo, exec_lo, s29
	s_and_saveexec_b32 s17, s13
	s_cbranch_execnz .LBB4_3495
	s_branch .LBB4_3496
.LBB4_3694:                             ;   in Loop: Header=BB4_3380 Depth=3
	s_mov_b32 s13, -1
	s_mov_b32 s30, exec_lo
                                        ; implicit-def: $sgpr17
	v_cmpx_eq_u16_e64 0x80, v179
; %bb.3695:                             ;   in Loop: Header=BB4_3380 Depth=3
	s_mov_b32 s17, 0x7f800001
	s_xor_b32 s13, exec_lo, -1
; %bb.3696:                             ;   in Loop: Header=BB4_3380 Depth=3
	s_or_b32 exec_lo, exec_lo, s30
	s_delay_alu instid0(SALU_CYCLE_1)
	s_and_b32 s13, s13, exec_lo
                                        ; implicit-def: $vgpr179
	s_or_saveexec_b32 s29, s29
	v_mov_b32_e32 v177, s17
	s_xor_b32 exec_lo, exec_lo, s29
	s_cbranch_execz .LBB4_3498
.LBB4_3697:                             ;   in Loop: Header=BB4_3380 Depth=3
	v_cmp_ne_u16_e64 vcc_lo, 0, v179
	v_mov_b32_e32 v177, 0
	s_and_not1_b32 s13, s13, exec_lo
	s_delay_alu instid0(VALU_DEP_2) | instskip(NEXT) | instid1(SALU_CYCLE_1)
	s_and_b32 s17, vcc_lo, exec_lo
	s_or_b32 s13, s13, s17
	s_or_b32 exec_lo, exec_lo, s29
	s_and_saveexec_b32 s17, s13
	s_cbranch_execnz .LBB4_3499
	s_branch .LBB4_3500
.LBB4_3698:                             ;   in Loop: Header=BB4_3380 Depth=3
	s_mov_b32 s13, -1
	s_mov_b32 s30, exec_lo
                                        ; implicit-def: $sgpr17
	v_cmpx_eq_u16_e64 0x80, v178
; %bb.3699:                             ;   in Loop: Header=BB4_3380 Depth=3
	s_mov_b32 s17, 0x7f800001
	s_xor_b32 s13, exec_lo, -1
; %bb.3700:                             ;   in Loop: Header=BB4_3380 Depth=3
	s_or_b32 exec_lo, exec_lo, s30
	s_delay_alu instid0(SALU_CYCLE_1)
	s_and_b32 s13, s13, exec_lo
                                        ; implicit-def: $vgpr178
	s_or_saveexec_b32 s29, s29
	v_mov_b32_e32 v177, s17
	s_xor_b32 exec_lo, exec_lo, s29
	s_cbranch_execz .LBB4_3510
.LBB4_3701:                             ;   in Loop: Header=BB4_3380 Depth=3
	v_cmp_ne_u16_e64 vcc_lo, 0, v178
	v_mov_b32_e32 v177, 0
	s_and_not1_b32 s13, s13, exec_lo
	s_delay_alu instid0(VALU_DEP_2) | instskip(NEXT) | instid1(SALU_CYCLE_1)
	s_and_b32 s17, vcc_lo, exec_lo
	s_or_b32 s13, s13, s17
	s_or_b32 exec_lo, exec_lo, s29
	s_and_saveexec_b32 s17, s13
	s_cbranch_execnz .LBB4_3511
	s_branch .LBB4_3512
.LBB4_3702:                             ;   in Loop: Header=BB4_3380 Depth=3
	s_mov_b32 s13, -1
	s_mov_b32 s30, exec_lo
                                        ; implicit-def: $sgpr17
	v_cmpx_eq_u16_e64 0x80, v178
; %bb.3703:                             ;   in Loop: Header=BB4_3380 Depth=3
	s_mov_b32 s17, 0x7f800001
	s_xor_b32 s13, exec_lo, -1
; %bb.3704:                             ;   in Loop: Header=BB4_3380 Depth=3
	s_or_b32 exec_lo, exec_lo, s30
	s_delay_alu instid0(SALU_CYCLE_1)
	s_and_b32 s13, s13, exec_lo
                                        ; implicit-def: $vgpr178
	s_or_saveexec_b32 s29, s29
	v_mov_b32_e32 v167, s17
	s_xor_b32 exec_lo, exec_lo, s29
	s_cbranch_execz .LBB4_3514
.LBB4_3705:                             ;   in Loop: Header=BB4_3380 Depth=3
	v_cmp_ne_u16_e64 vcc_lo, 0, v178
	v_mov_b32_e32 v167, 0
	s_and_not1_b32 s13, s13, exec_lo
	s_delay_alu instid0(VALU_DEP_2) | instskip(NEXT) | instid1(SALU_CYCLE_1)
	s_and_b32 s17, vcc_lo, exec_lo
	s_or_b32 s13, s13, s17
	s_or_b32 exec_lo, exec_lo, s29
	s_and_saveexec_b32 s17, s13
	s_cbranch_execnz .LBB4_3515
	s_branch .LBB4_3516
.LBB4_3706:                             ;   in Loop: Header=BB4_3380 Depth=3
	s_mov_b32 s13, -1
	s_mov_b32 s30, exec_lo
                                        ; implicit-def: $sgpr17
	v_cmpx_eq_u16_e64 0x80, v177
; %bb.3707:                             ;   in Loop: Header=BB4_3380 Depth=3
	s_mov_b32 s17, 0x7f800001
	s_xor_b32 s13, exec_lo, -1
; %bb.3708:                             ;   in Loop: Header=BB4_3380 Depth=3
	s_or_b32 exec_lo, exec_lo, s30
	s_delay_alu instid0(SALU_CYCLE_1)
	s_and_b32 s13, s13, exec_lo
                                        ; implicit-def: $vgpr177
	s_or_saveexec_b32 s29, s29
	v_mov_b32_e32 v167, s17
	s_xor_b32 exec_lo, exec_lo, s29
	s_cbranch_execz .LBB4_3526
.LBB4_3709:                             ;   in Loop: Header=BB4_3380 Depth=3
	v_cmp_ne_u16_e64 vcc_lo, 0, v177
	v_mov_b32_e32 v167, 0
	s_and_not1_b32 s13, s13, exec_lo
	s_delay_alu instid0(VALU_DEP_2) | instskip(NEXT) | instid1(SALU_CYCLE_1)
	s_and_b32 s17, vcc_lo, exec_lo
	s_or_b32 s13, s13, s17
	s_or_b32 exec_lo, exec_lo, s29
	s_and_saveexec_b32 s17, s13
	s_cbranch_execnz .LBB4_3527
	s_branch .LBB4_3528
.LBB4_3710:                             ;   in Loop: Header=BB4_3380 Depth=3
	s_mov_b32 s13, -1
	s_mov_b32 s30, exec_lo
                                        ; implicit-def: $sgpr17
	v_cmpx_eq_u16_e64 0x80, v177
; %bb.3711:                             ;   in Loop: Header=BB4_3380 Depth=3
	s_mov_b32 s17, 0x7f800001
	s_xor_b32 s13, exec_lo, -1
; %bb.3712:                             ;   in Loop: Header=BB4_3380 Depth=3
	s_or_b32 exec_lo, exec_lo, s30
	s_delay_alu instid0(SALU_CYCLE_1)
	s_and_b32 s13, s13, exec_lo
                                        ; implicit-def: $vgpr177
	s_or_saveexec_b32 s29, s29
	v_mov_b32_e32 v164, s17
	s_xor_b32 exec_lo, exec_lo, s29
	s_cbranch_execz .LBB4_3530
.LBB4_3713:                             ;   in Loop: Header=BB4_3380 Depth=3
	v_cmp_ne_u16_e64 vcc_lo, 0, v177
	v_mov_b32_e32 v164, 0
	s_and_not1_b32 s13, s13, exec_lo
	s_delay_alu instid0(VALU_DEP_2) | instskip(NEXT) | instid1(SALU_CYCLE_1)
	s_and_b32 s17, vcc_lo, exec_lo
	s_or_b32 s13, s13, s17
	s_or_b32 exec_lo, exec_lo, s29
	s_and_saveexec_b32 s17, s13
	s_cbranch_execnz .LBB4_3531
	s_branch .LBB4_3532
.LBB4_3714:                             ;   in Loop: Header=BB4_3380 Depth=3
	s_mov_b32 s13, -1
	s_mov_b32 s30, exec_lo
                                        ; implicit-def: $sgpr17
	v_cmpx_eq_u16_e64 0x80, v167
; %bb.3715:                             ;   in Loop: Header=BB4_3380 Depth=3
	s_mov_b32 s17, 0x7f800001
	s_xor_b32 s13, exec_lo, -1
; %bb.3716:                             ;   in Loop: Header=BB4_3380 Depth=3
	s_or_b32 exec_lo, exec_lo, s30
	s_delay_alu instid0(SALU_CYCLE_1)
	s_and_b32 s13, s13, exec_lo
                                        ; implicit-def: $vgpr167
	s_or_saveexec_b32 s29, s29
	v_mov_b32_e32 v164, s17
	s_xor_b32 exec_lo, exec_lo, s29
	s_cbranch_execz .LBB4_3542
.LBB4_3717:                             ;   in Loop: Header=BB4_3380 Depth=3
	v_cmp_ne_u16_e64 vcc_lo, 0, v167
	v_mov_b32_e32 v164, 0
	s_and_not1_b32 s13, s13, exec_lo
	s_delay_alu instid0(VALU_DEP_2) | instskip(NEXT) | instid1(SALU_CYCLE_1)
	s_and_b32 s17, vcc_lo, exec_lo
	s_or_b32 s13, s13, s17
	s_or_b32 exec_lo, exec_lo, s29
	s_and_saveexec_b32 s17, s13
	s_cbranch_execnz .LBB4_3543
	s_branch .LBB4_3544
.LBB4_3718:                             ;   in Loop: Header=BB4_3380 Depth=3
	s_mov_b32 s13, -1
	s_mov_b32 s30, exec_lo
                                        ; implicit-def: $sgpr17
	v_cmpx_eq_u16_e64 0x80, v167
; %bb.3719:                             ;   in Loop: Header=BB4_3380 Depth=3
	s_mov_b32 s17, 0x7f800001
	s_xor_b32 s13, exec_lo, -1
; %bb.3720:                             ;   in Loop: Header=BB4_3380 Depth=3
	s_or_b32 exec_lo, exec_lo, s30
	s_delay_alu instid0(SALU_CYCLE_1)
	s_and_b32 s13, s13, exec_lo
                                        ; implicit-def: $vgpr167
	s_or_saveexec_b32 s29, s29
	v_mov_b32_e32 v161, s17
	s_xor_b32 exec_lo, exec_lo, s29
	s_cbranch_execz .LBB4_3546
.LBB4_3721:                             ;   in Loop: Header=BB4_3380 Depth=3
	v_cmp_ne_u16_e64 vcc_lo, 0, v167
	v_mov_b32_e32 v161, 0
	s_and_not1_b32 s13, s13, exec_lo
	s_delay_alu instid0(VALU_DEP_2) | instskip(NEXT) | instid1(SALU_CYCLE_1)
	s_and_b32 s17, vcc_lo, exec_lo
	s_or_b32 s13, s13, s17
	s_or_b32 exec_lo, exec_lo, s29
	s_and_saveexec_b32 s17, s13
	s_cbranch_execnz .LBB4_3547
	s_branch .LBB4_3548
.LBB4_3722:                             ;   in Loop: Header=BB4_3380 Depth=3
	s_mov_b32 s13, -1
	s_mov_b32 s30, exec_lo
                                        ; implicit-def: $sgpr17
	v_cmpx_eq_u16_e64 0x80, v164
; %bb.3723:                             ;   in Loop: Header=BB4_3380 Depth=3
	s_mov_b32 s17, 0x7f800001
	s_xor_b32 s13, exec_lo, -1
; %bb.3724:                             ;   in Loop: Header=BB4_3380 Depth=3
	s_or_b32 exec_lo, exec_lo, s30
	s_delay_alu instid0(SALU_CYCLE_1)
	s_and_b32 s13, s13, exec_lo
                                        ; implicit-def: $vgpr164
	s_or_saveexec_b32 s29, s29
	v_mov_b32_e32 v161, s17
	s_xor_b32 exec_lo, exec_lo, s29
	s_cbranch_execz .LBB4_3558
.LBB4_3725:                             ;   in Loop: Header=BB4_3380 Depth=3
	v_cmp_ne_u16_e64 vcc_lo, 0, v164
	v_mov_b32_e32 v161, 0
	s_and_not1_b32 s13, s13, exec_lo
	s_delay_alu instid0(VALU_DEP_2) | instskip(NEXT) | instid1(SALU_CYCLE_1)
	s_and_b32 s17, vcc_lo, exec_lo
	s_or_b32 s13, s13, s17
	s_or_b32 exec_lo, exec_lo, s29
	s_and_saveexec_b32 s17, s13
	s_cbranch_execnz .LBB4_3559
	s_branch .LBB4_3560
.LBB4_3726:                             ;   in Loop: Header=BB4_3380 Depth=3
	s_mov_b32 s13, -1
	s_mov_b32 s30, exec_lo
                                        ; implicit-def: $sgpr17
	v_cmpx_eq_u16_e64 0x80, v164
; %bb.3727:                             ;   in Loop: Header=BB4_3380 Depth=3
	s_mov_b32 s17, 0x7f800001
	s_xor_b32 s13, exec_lo, -1
; %bb.3728:                             ;   in Loop: Header=BB4_3380 Depth=3
	s_or_b32 exec_lo, exec_lo, s30
	s_delay_alu instid0(SALU_CYCLE_1)
	s_and_b32 s13, s13, exec_lo
                                        ; implicit-def: $vgpr164
	s_or_saveexec_b32 s29, s29
	v_mov_b32_e32 v150, s17
	s_xor_b32 exec_lo, exec_lo, s29
	s_cbranch_execz .LBB4_3562
.LBB4_3729:                             ;   in Loop: Header=BB4_3380 Depth=3
	v_cmp_ne_u16_e64 vcc_lo, 0, v164
	v_mov_b32_e32 v150, 0
	s_and_not1_b32 s13, s13, exec_lo
	s_delay_alu instid0(VALU_DEP_2) | instskip(NEXT) | instid1(SALU_CYCLE_1)
	s_and_b32 s17, vcc_lo, exec_lo
	s_or_b32 s13, s13, s17
	s_or_b32 exec_lo, exec_lo, s29
	s_and_saveexec_b32 s17, s13
	s_cbranch_execnz .LBB4_3563
	s_branch .LBB4_3564
.LBB4_3730:                             ;   in Loop: Header=BB4_3380 Depth=3
	s_mov_b32 s13, -1
	s_mov_b32 s30, exec_lo
                                        ; implicit-def: $sgpr17
	v_cmpx_eq_u16_e64 0x80, v161
; %bb.3731:                             ;   in Loop: Header=BB4_3380 Depth=3
	s_mov_b32 s17, 0x7f800001
	s_xor_b32 s13, exec_lo, -1
; %bb.3732:                             ;   in Loop: Header=BB4_3380 Depth=3
	s_or_b32 exec_lo, exec_lo, s30
	s_delay_alu instid0(SALU_CYCLE_1)
	s_and_b32 s13, s13, exec_lo
                                        ; implicit-def: $vgpr161
	s_or_saveexec_b32 s29, s29
	v_mov_b32_e32 v150, s17
	s_xor_b32 exec_lo, exec_lo, s29
	s_cbranch_execz .LBB4_3574
.LBB4_3733:                             ;   in Loop: Header=BB4_3380 Depth=3
	v_cmp_ne_u16_e64 vcc_lo, 0, v161
	v_mov_b32_e32 v150, 0
	s_and_not1_b32 s13, s13, exec_lo
	s_delay_alu instid0(VALU_DEP_2) | instskip(NEXT) | instid1(SALU_CYCLE_1)
	s_and_b32 s17, vcc_lo, exec_lo
	s_or_b32 s13, s13, s17
	s_or_b32 exec_lo, exec_lo, s29
	s_and_saveexec_b32 s17, s13
	s_cbranch_execnz .LBB4_3575
	s_branch .LBB4_3576
.LBB4_3734:                             ;   in Loop: Header=BB4_3380 Depth=3
	s_mov_b32 s13, -1
	s_mov_b32 s30, exec_lo
                                        ; implicit-def: $sgpr17
	v_cmpx_eq_u16_e64 0x80, v161
; %bb.3735:                             ;   in Loop: Header=BB4_3380 Depth=3
	s_mov_b32 s17, 0x7f800001
	s_xor_b32 s13, exec_lo, -1
; %bb.3736:                             ;   in Loop: Header=BB4_3380 Depth=3
	s_or_b32 exec_lo, exec_lo, s30
	s_delay_alu instid0(SALU_CYCLE_1)
	s_and_b32 s13, s13, exec_lo
                                        ; implicit-def: $vgpr161
	s_or_saveexec_b32 s29, s29
	v_mov_b32_e32 v84, s17
	s_xor_b32 exec_lo, exec_lo, s29
	s_cbranch_execz .LBB4_3578
.LBB4_3737:                             ;   in Loop: Header=BB4_3380 Depth=3
	v_cmp_ne_u16_e64 vcc_lo, 0, v161
	v_mov_b32_e32 v84, 0
	s_and_not1_b32 s13, s13, exec_lo
	s_delay_alu instid0(VALU_DEP_2) | instskip(NEXT) | instid1(SALU_CYCLE_1)
	s_and_b32 s17, vcc_lo, exec_lo
	s_or_b32 s13, s13, s17
	s_or_b32 exec_lo, exec_lo, s29
	s_and_saveexec_b32 s17, s13
	s_cbranch_execnz .LBB4_3579
	s_branch .LBB4_3580
.LBB4_3738:                             ;   in Loop: Header=BB4_3380 Depth=3
	s_mov_b32 s13, -1
	s_mov_b32 s30, exec_lo
                                        ; implicit-def: $sgpr17
	v_cmpx_eq_u16_e64 0x80, v150
; %bb.3739:                             ;   in Loop: Header=BB4_3380 Depth=3
	s_mov_b32 s17, 0x7f800001
	s_xor_b32 s13, exec_lo, -1
; %bb.3740:                             ;   in Loop: Header=BB4_3380 Depth=3
	s_or_b32 exec_lo, exec_lo, s30
	s_delay_alu instid0(SALU_CYCLE_1)
	s_and_b32 s13, s13, exec_lo
                                        ; implicit-def: $vgpr150
	s_or_saveexec_b32 s29, s29
	v_mov_b32_e32 v84, s17
	s_xor_b32 exec_lo, exec_lo, s29
	s_cbranch_execz .LBB4_3590
.LBB4_3741:                             ;   in Loop: Header=BB4_3380 Depth=3
	v_cmp_ne_u16_e64 vcc_lo, 0, v150
	v_mov_b32_e32 v84, 0
	s_and_not1_b32 s13, s13, exec_lo
	s_delay_alu instid0(VALU_DEP_2) | instskip(NEXT) | instid1(SALU_CYCLE_1)
	s_and_b32 s17, vcc_lo, exec_lo
	s_or_b32 s13, s13, s17
	s_or_b32 exec_lo, exec_lo, s29
	s_and_saveexec_b32 s17, s13
	s_cbranch_execnz .LBB4_3591
	s_branch .LBB4_3592
.LBB4_3742:                             ;   in Loop: Header=BB4_3380 Depth=3
	s_mov_b32 s13, -1
	s_mov_b32 s30, exec_lo
                                        ; implicit-def: $sgpr17
	v_cmpx_eq_u16_e64 0x80, v150
; %bb.3743:                             ;   in Loop: Header=BB4_3380 Depth=3
	s_mov_b32 s17, 0x7f800001
	s_xor_b32 s13, exec_lo, -1
; %bb.3744:                             ;   in Loop: Header=BB4_3380 Depth=3
	s_or_b32 exec_lo, exec_lo, s30
	s_delay_alu instid0(SALU_CYCLE_1)
	s_and_b32 s13, s13, exec_lo
                                        ; implicit-def: $vgpr150
	s_or_saveexec_b32 s29, s29
	v_mov_b32_e32 v81, s17
	s_xor_b32 exec_lo, exec_lo, s29
	s_cbranch_execz .LBB4_3594
.LBB4_3745:                             ;   in Loop: Header=BB4_3380 Depth=3
	v_cmp_ne_u16_e64 vcc_lo, 0, v150
	v_mov_b32_e32 v81, 0
	s_and_not1_b32 s13, s13, exec_lo
	s_delay_alu instid0(VALU_DEP_2) | instskip(NEXT) | instid1(SALU_CYCLE_1)
	s_and_b32 s17, vcc_lo, exec_lo
	s_or_b32 s13, s13, s17
	s_or_b32 exec_lo, exec_lo, s29
	s_and_saveexec_b32 s17, s13
	s_cbranch_execnz .LBB4_3595
	s_branch .LBB4_3596
.LBB4_3746:                             ;   in Loop: Header=BB4_3380 Depth=3
	s_mov_b32 s13, -1
	s_mov_b32 s30, exec_lo
                                        ; implicit-def: $sgpr17
	v_cmpx_eq_u16_e32 0x80, v84
; %bb.3747:                             ;   in Loop: Header=BB4_3380 Depth=3
	s_mov_b32 s17, 0x7f800001
	s_xor_b32 s13, exec_lo, -1
; %bb.3748:                             ;   in Loop: Header=BB4_3380 Depth=3
	s_or_b32 exec_lo, exec_lo, s30
	s_delay_alu instid0(SALU_CYCLE_1)
	s_and_b32 s13, s13, exec_lo
                                        ; implicit-def: $vgpr84
	s_or_saveexec_b32 s29, s29
	v_mov_b32_e32 v81, s17
	s_xor_b32 exec_lo, exec_lo, s29
	s_cbranch_execz .LBB4_3606
.LBB4_3749:                             ;   in Loop: Header=BB4_3380 Depth=3
	v_cmp_ne_u16_e32 vcc_lo, 0, v84
	v_mov_b32_e32 v81, 0
	s_and_not1_b32 s13, s13, exec_lo
	s_and_b32 s17, vcc_lo, exec_lo
	s_delay_alu instid0(SALU_CYCLE_1)
	s_or_b32 s13, s13, s17
	s_or_b32 exec_lo, exec_lo, s29
	s_and_saveexec_b32 s17, s13
	s_cbranch_execnz .LBB4_3607
	s_branch .LBB4_3608
.LBB4_3750:                             ;   in Loop: Header=BB4_3380 Depth=3
	s_mov_b32 s13, -1
	s_mov_b32 s30, exec_lo
                                        ; implicit-def: $sgpr17
	v_cmpx_eq_u16_e32 0x80, v84
; %bb.3751:                             ;   in Loop: Header=BB4_3380 Depth=3
	s_mov_b32 s17, 0x7f800001
	s_xor_b32 s13, exec_lo, -1
; %bb.3752:                             ;   in Loop: Header=BB4_3380 Depth=3
	s_or_b32 exec_lo, exec_lo, s30
	s_delay_alu instid0(SALU_CYCLE_1)
	s_and_b32 s13, s13, exec_lo
                                        ; implicit-def: $vgpr84
	s_or_saveexec_b32 s29, s29
	v_mov_b32_e32 v69, s17
	s_xor_b32 exec_lo, exec_lo, s29
	s_cbranch_execz .LBB4_3610
.LBB4_3753:                             ;   in Loop: Header=BB4_3380 Depth=3
	v_cmp_ne_u16_e32 vcc_lo, 0, v84
	v_mov_b32_e32 v69, 0
	s_and_not1_b32 s13, s13, exec_lo
	s_and_b32 s17, vcc_lo, exec_lo
	s_delay_alu instid0(SALU_CYCLE_1)
	s_or_b32 s13, s13, s17
	s_or_b32 exec_lo, exec_lo, s29
	s_and_saveexec_b32 s17, s13
	s_cbranch_execnz .LBB4_3611
	s_branch .LBB4_3612
.LBB4_3754:                             ;   in Loop: Header=BB4_3380 Depth=3
	s_mov_b32 s13, -1
	s_mov_b32 s30, exec_lo
                                        ; implicit-def: $sgpr17
	v_cmpx_eq_u16_e32 0x80, v81
; %bb.3755:                             ;   in Loop: Header=BB4_3380 Depth=3
	s_mov_b32 s17, 0x7f800001
	s_xor_b32 s13, exec_lo, -1
; %bb.3756:                             ;   in Loop: Header=BB4_3380 Depth=3
	s_or_b32 exec_lo, exec_lo, s30
	s_delay_alu instid0(SALU_CYCLE_1)
	s_and_b32 s13, s13, exec_lo
                                        ; implicit-def: $vgpr81
	s_or_saveexec_b32 s29, s29
	v_mov_b32_e32 v69, s17
	s_xor_b32 exec_lo, exec_lo, s29
	s_cbranch_execz .LBB4_3622
.LBB4_3757:                             ;   in Loop: Header=BB4_3380 Depth=3
	v_cmp_ne_u16_e32 vcc_lo, 0, v81
	v_mov_b32_e32 v69, 0
	s_and_not1_b32 s13, s13, exec_lo
	s_and_b32 s17, vcc_lo, exec_lo
	s_delay_alu instid0(SALU_CYCLE_1)
	s_or_b32 s13, s13, s17
	s_or_b32 exec_lo, exec_lo, s29
	s_and_saveexec_b32 s17, s13
	s_cbranch_execnz .LBB4_3623
	s_branch .LBB4_3624
.LBB4_3758:                             ;   in Loop: Header=BB4_3380 Depth=3
	s_mov_b32 s13, -1
	s_mov_b32 s30, exec_lo
                                        ; implicit-def: $sgpr17
	v_cmpx_eq_u16_e32 0x80, v81
; %bb.3759:                             ;   in Loop: Header=BB4_3380 Depth=3
	s_mov_b32 s17, 0x7f800001
	s_xor_b32 s13, exec_lo, -1
; %bb.3760:                             ;   in Loop: Header=BB4_3380 Depth=3
	s_or_b32 exec_lo, exec_lo, s30
	s_delay_alu instid0(SALU_CYCLE_1)
	s_and_b32 s13, s13, exec_lo
                                        ; implicit-def: $vgpr81
	s_or_saveexec_b32 s29, s29
	v_mov_b32_e32 v21, s17
	s_xor_b32 exec_lo, exec_lo, s29
	s_cbranch_execz .LBB4_3626
.LBB4_3761:                             ;   in Loop: Header=BB4_3380 Depth=3
	v_cmp_ne_u16_e32 vcc_lo, 0, v81
	v_mov_b32_e32 v21, 0
	s_and_not1_b32 s13, s13, exec_lo
	s_and_b32 s17, vcc_lo, exec_lo
	s_delay_alu instid0(SALU_CYCLE_1)
	s_or_b32 s13, s13, s17
	s_or_b32 exec_lo, exec_lo, s29
	s_and_saveexec_b32 s17, s13
	s_cbranch_execnz .LBB4_3627
	s_branch .LBB4_3628
.LBB4_3762:                             ;   in Loop: Header=BB4_2119 Depth=2
	s_or_b32 exec_lo, exec_lo, s16
.LBB4_3763:                             ;   in Loop: Header=BB4_2119 Depth=2
	s_delay_alu instid0(SALU_CYCLE_1) | instskip(SKIP_2) | instid1(VALU_DEP_1)
	s_or_b32 exec_lo, exec_lo, s14
	v_lshlrev_b32_e32 v8, 9, v19
	s_mov_b32 s30, exec_lo
	v_cmpx_ne_u32_e64 v17, v8
	s_cbranch_execz .LBB4_3794
; %bb.3764:                             ;   in Loop: Header=BB4_2119 Depth=2
	v_ashrrev_i32_e32 v9, 31, v18
	v_lshlrev_b32_e32 v2, 5, v2
	s_delay_alu instid0(VALU_DEP_2) | instskip(NEXT) | instid1(VALU_DEP_1)
	v_lshrrev_b32_e32 v9, 27, v9
	v_add_nc_u32_e32 v9, v18, v9
	s_delay_alu instid0(VALU_DEP_1) | instskip(NEXT) | instid1(VALU_DEP_1)
	v_and_b32_e32 v9, 0xffffffe0, v9
	v_sub_nc_u32_e32 v9, v18, v9
	s_delay_alu instid0(VALU_DEP_1) | instskip(NEXT) | instid1(VALU_DEP_1)
	v_sub_nc_u32_e32 v2, v9, v2
	v_add_nc_u32_e32 v8, v8, v2
	s_delay_alu instid0(VALU_DEP_1) | instskip(NEXT) | instid1(VALU_DEP_1)
	v_sub_nc_u32_e32 v2, v17, v8
	v_cmp_lt_i32_e32 vcc_lo, 0, v2
	s_and_b32 exec_lo, exec_lo, vcc_lo
	s_cbranch_execz .LBB4_3794
; %bb.3765:                             ;   in Loop: Header=BB4_2119 Depth=2
	s_cbranch_execnz .LBB4_6493
; %bb.3766:                             ;   in Loop: Header=BB4_2119 Depth=2
	ds_load_b128 v[9:12], v0
	v_add_nc_u32_e32 v13, v8, v16
	s_mov_b32 s31, 0
	s_delay_alu instid0(VALU_DEP_1) | instskip(SKIP_2) | instid1(VALU_DEP_2)
	v_ashrrev_i32_e32 v14, 31, v13
	s_waitcnt lgkmcnt(0)
	v_add_co_u32 v8, vcc_lo, v9, v13
	v_add_co_ci_u32_e32 v9, vcc_lo, v10, v14, vcc_lo
	v_add_co_u32 v10, vcc_lo, v11, v13
	v_add_co_ci_u32_e32 v11, vcc_lo, v12, v14, vcc_lo
	s_delay_alu instid0(VALU_DEP_3) | instskip(NEXT) | instid1(VALU_DEP_2)
	v_dual_mov_b32 v13, v9 :: v_dual_mov_b32 v12, v8
	v_dual_mov_b32 v15, v11 :: v_dual_mov_b32 v14, v10
.LBB4_3767:                             ;   Parent Loop BB4_51 Depth=1
                                        ;     Parent Loop BB4_2119 Depth=2
                                        ; =>    This Loop Header: Depth=3
                                        ;         Child Loop BB4_3784 Depth 4
	flat_load_u8 v18, v[12:13] slc dlc
	flat_load_u8 v16, v[14:15] slc dlc
	s_mov_b32 s13, 0
	s_mov_b32 s16, exec_lo
                                        ; implicit-def: $sgpr14
	s_waitcnt vmcnt(1) lgkmcnt(1)
	v_cmpx_lt_i16_e32 0x7f, v18
	s_xor_b32 s16, exec_lo, s16
	s_cbranch_execnz .LBB4_3786
; %bb.3768:                             ;   in Loop: Header=BB4_3767 Depth=3
	s_or_saveexec_b32 s16, s16
	v_mov_b32_e32 v17, s14
	s_xor_b32 exec_lo, exec_lo, s16
	s_cbranch_execnz .LBB4_3789
.LBB4_3769:                             ;   in Loop: Header=BB4_3767 Depth=3
	s_or_b32 exec_lo, exec_lo, s16
	s_and_saveexec_b32 s14, s13
	s_cbranch_execz .LBB4_3771
.LBB4_3770:                             ;   in Loop: Header=BB4_3767 Depth=3
	v_and_b32_e32 v17, 0xffff, v18
	s_delay_alu instid0(VALU_DEP_1) | instskip(NEXT) | instid1(VALU_DEP_1)
	v_and_b32_e32 v19, 7, v17
	v_clz_i32_u32_e32 v20, v19
	s_delay_alu instid0(VALU_DEP_1) | instskip(NEXT) | instid1(VALU_DEP_1)
	v_min_u32_e32 v20, 32, v20
	v_subrev_nc_u32_e32 v21, 28, v20
	v_sub_nc_u32_e32 v20, 29, v20
	s_delay_alu instid0(VALU_DEP_2) | instskip(SKIP_1) | instid1(VALU_DEP_2)
	v_lshlrev_b32_e32 v21, v21, v17
	v_bfe_u32 v17, v17, 3, 4
	v_and_b32_e32 v21, 7, v21
	s_delay_alu instid0(VALU_DEP_2) | instskip(SKIP_1) | instid1(VALU_DEP_1)
	v_cmp_eq_u32_e32 vcc_lo, 0, v17
	v_dual_cndmask_b32 v17, v17, v20 :: v_dual_lshlrev_b32 v18, 24, v18
	v_dual_cndmask_b32 v19, v19, v21 :: v_dual_and_b32 v18, 0x80000000, v18
	s_delay_alu instid0(VALU_DEP_2) | instskip(NEXT) | instid1(VALU_DEP_2)
	v_lshl_add_u32 v17, v17, 23, 0x3b800000
	v_lshlrev_b32_e32 v19, 20, v19
	s_delay_alu instid0(VALU_DEP_1)
	v_or3_b32 v17, v18, v17, v19
.LBB4_3771:                             ;   in Loop: Header=BB4_3767 Depth=3
	s_or_b32 exec_lo, exec_lo, s14
	s_waitcnt vmcnt(0) lgkmcnt(0)
	v_and_b32_e32 v19, 0xff, v16
	s_mov_b32 s13, 0
	s_mov_b32 s16, exec_lo
                                        ; implicit-def: $sgpr14
	s_delay_alu instid0(VALU_DEP_1)
	v_cmpx_lt_i16_e32 0x7f, v19
	s_xor_b32 s16, exec_lo, s16
	s_cbranch_execnz .LBB4_3790
; %bb.3772:                             ;   in Loop: Header=BB4_3767 Depth=3
	s_or_saveexec_b32 s16, s16
	v_mov_b32_e32 v18, s14
	s_xor_b32 exec_lo, exec_lo, s16
	s_cbranch_execnz .LBB4_3793
.LBB4_3773:                             ;   in Loop: Header=BB4_3767 Depth=3
	s_or_b32 exec_lo, exec_lo, s16
	s_and_saveexec_b32 s14, s13
	s_cbranch_execz .LBB4_3775
.LBB4_3774:                             ;   in Loop: Header=BB4_3767 Depth=3
	v_lshrrev_b16 v21, 3, v16
	s_delay_alu instid0(VALU_DEP_1) | instskip(NEXT) | instid1(VALU_DEP_1)
	v_and_b32_e32 v21, 15, v21
	v_cmp_eq_u32_e32 vcc_lo, 0, v21
	v_and_b32_e32 v18, 7, v16
	s_delay_alu instid0(VALU_DEP_1) | instskip(NEXT) | instid1(VALU_DEP_1)
	v_clz_i32_u32_e32 v19, v18
	v_min_u32_e32 v19, 32, v19
	s_delay_alu instid0(VALU_DEP_1) | instskip(SKIP_1) | instid1(VALU_DEP_1)
	v_subrev_nc_u32_e32 v20, 28, v19
	v_sub_nc_u32_e32 v19, 29, v19
	v_dual_cndmask_b32 v19, v21, v19 :: v_dual_lshlrev_b32 v20, v20, v16
	v_lshlrev_b32_e32 v16, 24, v16
	s_delay_alu instid0(VALU_DEP_2) | instskip(NEXT) | instid1(VALU_DEP_3)
	v_and_b32_e32 v20, 7, v20
	v_lshl_add_u32 v19, v19, 23, 0x3b800000
	s_delay_alu instid0(VALU_DEP_3) | instskip(NEXT) | instid1(VALU_DEP_3)
	v_and_b32_e32 v16, 0x80000000, v16
	v_cndmask_b32_e32 v18, v18, v20, vcc_lo
	s_delay_alu instid0(VALU_DEP_1) | instskip(NEXT) | instid1(VALU_DEP_1)
	v_lshlrev_b32_e32 v18, 20, v18
	v_or3_b32 v18, v16, v19, v18
.LBB4_3775:                             ;   in Loop: Header=BB4_3767 Depth=3
	s_or_b32 exec_lo, exec_lo, s14
	s_delay_alu instid0(VALU_DEP_1) | instskip(NEXT) | instid1(VALU_DEP_1)
	v_add_f32_e32 v16, v17, v18
	v_and_b32_e32 v17, 0x7f800000, v16
	s_delay_alu instid0(VALU_DEP_1)
	v_cmp_ne_u32_e32 vcc_lo, 0x7f800000, v17
	v_mov_b32_e32 v17, 0x80
	s_and_saveexec_b32 s14, vcc_lo
	s_cbranch_execz .LBB4_3783
; %bb.3776:                             ;   in Loop: Header=BB4_3767 Depth=3
	v_mov_b32_e32 v17, 0
	s_mov_b32 s16, exec_lo
	v_cmpx_ne_u32_e32 0, v16
	s_cbranch_execz .LBB4_3782
; %bb.3777:                             ;   in Loop: Header=BB4_3767 Depth=3
	v_bfe_u32 v17, v16, 23, 8
	s_delay_alu instid0(VALU_DEP_1) | instskip(SKIP_1) | instid1(VALU_DEP_2)
	v_sub_nc_u32_e32 v19, 0x78, v17
	v_cmp_gt_u32_e32 vcc_lo, 0x79, v17
	v_dual_cndmask_b32 v19, 0, v19 :: v_dual_and_b32 v18, 0x7fffff, v16
	s_delay_alu instid0(VALU_DEP_1) | instskip(SKIP_2) | instid1(VALU_DEP_4)
	v_or_b32_e32 v20, 0x800000, v18
	v_cmp_eq_u32_e32 vcc_lo, 0, v17
	v_add_nc_u32_e32 v17, 0xffffff89, v17
	v_cndmask_b32_e64 v19, v19, 0x77, vcc_lo
	s_delay_alu instid0(VALU_DEP_4) | instskip(NEXT) | instid1(VALU_DEP_3)
	v_cndmask_b32_e32 v18, v20, v18, vcc_lo
	v_cndmask_b32_e64 v17, v17, 0xffffff8a, vcc_lo
	s_delay_alu instid0(VALU_DEP_3) | instskip(NEXT) | instid1(VALU_DEP_3)
	v_lshl_add_u32 v20, 0x100000, v19, -1
	v_lshrrev_b32_e32 v21, v19, v18
	v_lshlrev_b32_e64 v23, v19, 0x80000
	s_delay_alu instid0(VALU_DEP_4) | instskip(NEXT) | instid1(VALU_DEP_4)
	v_add_nc_u32_e32 v19, v19, v17
	v_and_b32_e32 v18, v20, v18
	s_delay_alu instid0(VALU_DEP_4) | instskip(NEXT) | instid1(VALU_DEP_2)
	v_bfe_u32 v22, v21, 20, 1
	v_cmp_eq_u32_e64 s13, v18, v23
	s_delay_alu instid0(VALU_DEP_2) | instskip(NEXT) | instid1(VALU_DEP_1)
	v_add_nc_u32_e32 v20, -1, v22
	v_cndmask_b32_e64 v18, 0, v20, s13
	v_lshrrev_b32_e32 v20, 23, v21
	s_mov_b32 s13, exec_lo
	s_delay_alu instid0(VALU_DEP_2) | instskip(NEXT) | instid1(VALU_DEP_2)
	v_add_nc_u32_e32 v18, v18, v21
	v_xor_b32_e32 v20, 1, v20
	s_delay_alu instid0(VALU_DEP_2) | instskip(NEXT) | instid1(VALU_DEP_1)
	v_and_b32_e32 v17, 0xfffff, v18
	v_add_nc_u32_e32 v18, v17, v21
                                        ; implicit-def: $vgpr17
	s_delay_alu instid0(VALU_DEP_3)
	v_cmpx_ne_u32_e64 v19, v20
	s_xor_b32 s13, exec_lo, s13
; %bb.3778:                             ;   in Loop: Header=BB4_3767 Depth=3
	s_delay_alu instid0(VALU_DEP_2) | instskip(SKIP_2) | instid1(VALU_DEP_2)
	v_cmp_lt_u32_e32 vcc_lo, 0xffffff, v18
	v_sub_nc_u32_e32 v17, v19, v20
	v_cndmask_b32_e64 v19, 0, 1, vcc_lo
	v_add_co_ci_u32_e32 v17, vcc_lo, 0, v17, vcc_lo
	s_delay_alu instid0(VALU_DEP_2)
	v_lshrrev_b32_e32 v18, v19, v18
; %bb.3779:                             ;   in Loop: Header=BB4_3767 Depth=3
	s_and_not1_saveexec_b32 s13, s13
; %bb.3780:                             ;   in Loop: Header=BB4_3767 Depth=3
	s_delay_alu instid0(VALU_DEP_1)
	v_bfe_u32 v17, v18, 23, 1
; %bb.3781:                             ;   in Loop: Header=BB4_3767 Depth=3
	s_or_b32 exec_lo, exec_lo, s13
	v_lshrrev_b32_e32 v18, 20, v18
	s_delay_alu instid0(VALU_DEP_2) | instskip(SKIP_2) | instid1(VALU_DEP_2)
	v_cmp_gt_i32_e32 vcc_lo, 16, v17
	v_min_i32_e32 v19, 15, v17
	v_lshrrev_b32_e32 v16, 24, v16
	v_dual_cndmask_b32 v18, 7, v18 :: v_dual_lshlrev_b32 v19, 3, v19
	s_delay_alu instid0(VALU_DEP_2) | instskip(NEXT) | instid1(VALU_DEP_2)
	v_and_b32_e32 v16, 0x80, v16
	v_or_b32_e32 v17, v17, v18
	s_delay_alu instid0(VALU_DEP_1) | instskip(SKIP_1) | instid1(VALU_DEP_1)
	v_cmp_ne_u32_e32 vcc_lo, 0, v17
	v_and_b32_e32 v20, 7, v18
	v_or3_b32 v16, v19, v16, v20
	s_delay_alu instid0(VALU_DEP_1)
	v_cndmask_b32_e32 v17, 0, v16, vcc_lo
.LBB4_3782:                             ;   in Loop: Header=BB4_3767 Depth=3
	s_or_b32 exec_lo, exec_lo, s16
.LBB4_3783:                             ;   in Loop: Header=BB4_3767 Depth=3
	s_delay_alu instid0(SALU_CYCLE_1)
	s_or_b32 exec_lo, exec_lo, s14
	s_mov_b64 s[16:17], 0
	s_mov_b32 s29, -1
.LBB4_3784:                             ;   Parent Loop BB4_51 Depth=1
                                        ;     Parent Loop BB4_2119 Depth=2
                                        ;       Parent Loop BB4_3767 Depth=3
                                        ; =>      This Inner Loop Header: Depth=4
	s_cmp_eq_u32 s16, 1
	s_cselect_b32 vcc_lo, -1, 0
	s_cmp_eq_u32 s16, 0
	v_dual_cndmask_b32 v19, v9, v11 :: v_dual_cndmask_b32 v18, v8, v10
	s_mov_b64 s[16:17], 1
	s_delay_alu instid0(VALU_DEP_1) | instskip(NEXT) | instid1(VALU_DEP_1)
	v_add_co_u32 v16, s13, v18, 32
	v_add_co_ci_u32_e64 v20, s13, 0, v19, s13
	s_cselect_b32 s13, -1, 0
	s_delay_alu instid0(VALU_DEP_2) | instskip(SKIP_1) | instid1(VALU_DEP_3)
	v_cndmask_b32_e32 v10, v10, v16, vcc_lo
	v_cndmask_b32_e64 v8, v8, v16, s13
	v_cndmask_b32_e32 v11, v11, v20, vcc_lo
	v_cndmask_b32_e64 v9, v9, v20, s13
	s_and_b32 s14, exec_lo, s29
	s_mov_b32 s29, 0
	s_mov_b32 vcc_lo, s14
	flat_store_b8 v[18:19], v17 glc slc dlc
	s_cbranch_vccnz .LBB4_3784
; %bb.3785:                             ;   in Loop: Header=BB4_3767 Depth=3
	v_add_co_u32 v12, vcc_lo, v12, v128
	v_add_co_ci_u32_e32 v13, vcc_lo, v13, v129, vcc_lo
	v_add_co_u32 v14, vcc_lo, v14, v128
	v_sub_nc_u32_e32 v2, v2, v98
	v_add_co_ci_u32_e32 v15, vcc_lo, v15, v129, vcc_lo
	v_add_co_u32 v8, vcc_lo, v8, v116
	v_add_co_ci_u32_e32 v9, vcc_lo, v9, v119, vcc_lo
	s_delay_alu instid0(VALU_DEP_4) | instskip(SKIP_1) | instid1(VALU_DEP_1)
	v_cmp_gt_i32_e32 vcc_lo, 1, v2
	v_add_co_u32 v10, s13, v10, v116
	v_add_co_ci_u32_e64 v11, s13, v11, v119, s13
	s_or_b32 s31, vcc_lo, s31
	s_delay_alu instid0(SALU_CYCLE_1)
	s_and_not1_b32 exec_lo, exec_lo, s31
	s_cbranch_execnz .LBB4_3767
	s_branch .LBB4_3794
.LBB4_3786:                             ;   in Loop: Header=BB4_3767 Depth=3
	s_mov_b32 s13, -1
	s_mov_b32 s17, exec_lo
                                        ; implicit-def: $sgpr14
	v_cmpx_eq_u16_e32 0x80, v18
; %bb.3787:                             ;   in Loop: Header=BB4_3767 Depth=3
	s_mov_b32 s14, 0x7f800001
	s_xor_b32 s13, exec_lo, -1
; %bb.3788:                             ;   in Loop: Header=BB4_3767 Depth=3
	s_or_b32 exec_lo, exec_lo, s17
	s_delay_alu instid0(SALU_CYCLE_1)
	s_and_b32 s13, s13, exec_lo
	s_or_saveexec_b32 s16, s16
	v_mov_b32_e32 v17, s14
	s_xor_b32 exec_lo, exec_lo, s16
	s_cbranch_execz .LBB4_3769
.LBB4_3789:                             ;   in Loop: Header=BB4_3767 Depth=3
	v_cmp_ne_u16_e32 vcc_lo, 0, v18
	v_mov_b32_e32 v17, 0
	s_and_not1_b32 s13, s13, exec_lo
	s_and_b32 s14, vcc_lo, exec_lo
	s_delay_alu instid0(SALU_CYCLE_1)
	s_or_b32 s13, s13, s14
	s_or_b32 exec_lo, exec_lo, s16
	s_and_saveexec_b32 s14, s13
	s_cbranch_execnz .LBB4_3770
	s_branch .LBB4_3771
.LBB4_3790:                             ;   in Loop: Header=BB4_3767 Depth=3
	s_mov_b32 s13, -1
	s_mov_b32 s17, exec_lo
                                        ; implicit-def: $sgpr14
	v_cmpx_eq_u16_e32 0x80, v19
; %bb.3791:                             ;   in Loop: Header=BB4_3767 Depth=3
	s_mov_b32 s14, 0x7f800001
	s_xor_b32 s13, exec_lo, -1
; %bb.3792:                             ;   in Loop: Header=BB4_3767 Depth=3
	s_or_b32 exec_lo, exec_lo, s17
	s_delay_alu instid0(SALU_CYCLE_1)
	s_and_b32 s13, s13, exec_lo
                                        ; implicit-def: $vgpr19
	s_or_saveexec_b32 s16, s16
	v_mov_b32_e32 v18, s14
	s_xor_b32 exec_lo, exec_lo, s16
	s_cbranch_execz .LBB4_3773
.LBB4_3793:                             ;   in Loop: Header=BB4_3767 Depth=3
	v_cmp_ne_u16_e32 vcc_lo, 0, v19
	v_mov_b32_e32 v18, 0
	s_and_not1_b32 s13, s13, exec_lo
	s_and_b32 s14, vcc_lo, exec_lo
	s_delay_alu instid0(SALU_CYCLE_1)
	s_or_b32 s13, s13, s14
	s_or_b32 exec_lo, exec_lo, s16
	s_and_saveexec_b32 s14, s13
	s_cbranch_execnz .LBB4_3774
	s_branch .LBB4_3775
.LBB4_3794:                             ;   in Loop: Header=BB4_2119 Depth=2
	s_or_b32 exec_lo, exec_lo, s30
.LBB4_3795:                             ;   in Loop: Header=BB4_2119 Depth=2
	s_delay_alu instid0(SALU_CYCLE_1)
	s_or_b32 exec_lo, exec_lo, s15
	s_mov_b32 s13, 0
.LBB4_3796:                             ;   in Loop: Header=BB4_2119 Depth=2
	s_delay_alu instid0(SALU_CYCLE_1)
	s_and_b32 vcc_lo, exec_lo, s13
	s_cbranch_vccz .LBB4_5390
; %bb.3797:                             ;   in Loop: Header=BB4_2119 Depth=2
	s_mov_b32 s13, -1
	s_and_saveexec_b32 s14, s12
	s_cbranch_execz .LBB4_3799
; %bb.3798:                             ;   in Loop: Header=BB4_2119 Depth=2
	ds_load_b32 v2, v0 offset:720
	s_waitcnt lgkmcnt(0)
	v_and_b32_e32 v2, 15, v2
	s_delay_alu instid0(VALU_DEP_1)
	v_cmp_eq_u32_e32 vcc_lo, 0, v2
	s_or_not1_b32 s13, vcc_lo, exec_lo
.LBB4_3799:                             ;   in Loop: Header=BB4_2119 Depth=2
	s_or_b32 exec_lo, exec_lo, s14
	s_and_saveexec_b32 s14, s5
	s_cbranch_execz .LBB4_3801
; %bb.3800:                             ;   in Loop: Header=BB4_2119 Depth=2
	ds_load_b32 v2, v0 offset:784
	s_waitcnt lgkmcnt(0)
	v_and_b32_e32 v2, 15, v2
	s_delay_alu instid0(VALU_DEP_1) | instskip(SKIP_3) | instid1(SALU_CYCLE_1)
	v_cmp_eq_u32_e32 vcc_lo, 0, v2
	s_and_b32 s15, s13, vcc_lo
	s_and_not1_b32 s13, s13, exec_lo
	s_and_b32 s15, s15, exec_lo
	s_or_b32 s13, s13, s15
.LBB4_3801:                             ;   in Loop: Header=BB4_2119 Depth=2
	s_or_b32 exec_lo, exec_lo, s14
	s_xor_b32 s13, s13, -1
	v_dual_mov_b32 v14, 0 :: v_dual_mov_b32 v15, v148
	v_cndmask_b32_e64 v2, 0, 1, s13
	;;#ASMSTART
	;;#ASMEND
	s_delay_alu instid0(VALU_DEP_1)
	v_cmp_ne_u32_e32 vcc_lo, 0, v2
	v_mov_b32_e32 v16, v0
	v_mov_b32_e32 v8, v99
	s_mov_b32 s13, -1
	s_cbranch_vccnz .LBB4_4969
; %bb.3802:                             ;   in Loop: Header=BB4_2119 Depth=2
	v_ashrrev_i32_e32 v2, 31, v148
	s_mov_b32 s14, exec_lo
	s_delay_alu instid0(VALU_DEP_1) | instskip(NEXT) | instid1(VALU_DEP_1)
	v_lshrrev_b32_e32 v2, 22, v2
	v_add_nc_u32_e32 v2, v148, v2
	s_delay_alu instid0(VALU_DEP_1) | instskip(NEXT) | instid1(VALU_DEP_1)
	v_ashrrev_i32_e32 v84, 10, v2
	v_sub_nc_u32_e32 v2, v84, v99
	s_delay_alu instid0(VALU_DEP_1)
	v_cmpx_lt_i32_e32 0, v2
	s_cbranch_execz .LBB4_4575
; %bb.3803:                             ;   in Loop: Header=BB4_2119 Depth=2
	s_cbranch_execnz .LBB4_6463
; %bb.3804:                             ;   in Loop: Header=BB4_2119 Depth=2
	ds_load_b128 v[8:11], v0
	ds_load_b64 v[12:13], v0
	s_mov_b32 s15, 0
	s_waitcnt lgkmcnt(1)
	v_add_co_u32 v69, vcc_lo, v8, v130
	v_add_co_ci_u32_e32 v70, vcc_lo, v9, v131, vcc_lo
	v_add_co_u32 v80, vcc_lo, v10, v130
	v_add_co_ci_u32_e32 v81, vcc_lo, v11, v131, vcc_lo
	s_waitcnt lgkmcnt(0)
	v_add_co_u32 v82, vcc_lo, v12, v130
	v_add_co_ci_u32_e32 v83, vcc_lo, v13, v131, vcc_lo
	s_branch .LBB4_3808
.LBB4_3805:                             ;   in Loop: Header=BB4_3808 Depth=3
	s_or_b32 exec_lo, exec_lo, s13
	s_delay_alu instid0(VALU_DEP_1) | instskip(NEXT) | instid1(VALU_DEP_2)
	v_lshrrev_b32_e32 v181, 20, v181
	v_cmp_gt_i32_e32 vcc_lo, 16, v15
	v_min_i32_e32 v182, 15, v15
	v_lshrrev_b32_e32 v11, 24, v11
	s_delay_alu instid0(VALU_DEP_2) | instskip(NEXT) | instid1(VALU_DEP_2)
	v_dual_cndmask_b32 v181, 7, v181 :: v_dual_lshlrev_b32 v182, 3, v182
	v_and_b32_e32 v11, 0x80, v11
	s_delay_alu instid0(VALU_DEP_2) | instskip(SKIP_1) | instid1(VALU_DEP_2)
	v_or_b32_e32 v15, v15, v181
	v_and_b32_e32 v183, 7, v181
	v_cmp_ne_u32_e32 vcc_lo, 0, v15
	v_and_b32_e32 v182, 0xf8, v182
	s_delay_alu instid0(VALU_DEP_1) | instskip(NEXT) | instid1(VALU_DEP_1)
	v_or3_b32 v11, v11, v182, v183
	v_lshlrev_b32_e32 v11, 8, v11
	s_delay_alu instid0(VALU_DEP_1)
	v_cndmask_b32_e32 v15, 0, v11, vcc_lo
.LBB4_3806:                             ;   in Loop: Header=BB4_3808 Depth=3
	s_or_b32 exec_lo, exec_lo, s17
.LBB4_3807:                             ;   in Loop: Header=BB4_3808 Depth=3
	s_delay_alu instid0(SALU_CYCLE_1)
	s_or_b32 exec_lo, exec_lo, s16
	v_or_b32_e32 v11, v17, v160
	v_and_b32_e32 v17, 0xff, v20
	v_and_b32_e32 v20, 0xff, v150
	v_lshlrev_b32_e32 v149, 8, v149
	v_and_b32_e32 v150, 0xff, v162
	v_lshlrev_b32_e32 v160, 8, v161
	v_lshlrev_b32_e32 v11, 16, v11
	;; [unrolled: 1-line block ×4, first 2 shown]
	v_perm_b32 v85, v149, v85, 0xc0c0500
	v_lshlrev_b32_e32 v18, 24, v18
	v_lshlrev_b32_e32 v149, 16, v150
	v_perm_b32 v21, v160, v21, 0xc0c0500
	v_or3_b32 v17, v151, v17, v11
	v_or_b32_e32 v11, v19, v164
	v_or3_b32 v16, v16, v20, v85
	v_or_b32_e32 v9, v9, v176
	v_or3_b32 v18, v18, v149, v21
	v_and_b32_e32 v19, 0xff, v22
	v_and_b32_e32 v20, 0xff, v166
	v_lshlrev_b32_e32 v21, 8, v165
	v_and_b32_e32 v22, 0xff, v178
	v_lshlrev_b32_e32 v85, 8, v177
	v_or_b32_e32 v15, v15, v180
	v_lshlrev_b32_e32 v11, 16, v11
	v_and_b32_e32 v12, 0xff, v12
	v_lshlrev_b32_e32 v9, 16, v9
	v_lshlrev_b32_e32 v8, 24, v8
	;; [unrolled: 1-line block ×3, first 2 shown]
	v_perm_b32 v21, v21, v23, 0xc0c0500
	v_lshlrev_b32_e32 v10, 24, v10
	v_lshlrev_b32_e32 v22, 16, v22
	v_perm_b32 v13, v85, v13, 0xc0c0500
	v_and_b32_e32 v14, 0xff, v14
	v_lshlrev_b32_e32 v15, 16, v15
	v_add_co_u32 v69, vcc_lo, v69, v132
	v_or3_b32 v19, v163, v19, v11
	v_sub_nc_u32_e32 v2, v2, v97
	v_or3_b32 v9, v167, v12, v9
	v_or3_b32 v8, v8, v20, v21
	v_or3_b32 v10, v10, v22, v13
	v_or3_b32 v11, v179, v14, v15
	v_add_co_ci_u32_e32 v70, vcc_lo, v70, v133, vcc_lo
	v_add_co_u32 v80, vcc_lo, v80, v132
	v_add_co_ci_u32_e32 v81, vcc_lo, v81, v133, vcc_lo
	s_clause 0x1
	global_store_b128 v[82:83], v[16:19], off glc slc dlc
	global_store_b128 v[82:83], v[8:11], off offset:512 glc slc dlc
	v_cmp_gt_i32_e32 vcc_lo, 1, v2
	v_add_co_u32 v82, s13, v82, v132
	s_delay_alu instid0(VALU_DEP_1) | instskip(SKIP_1) | instid1(SALU_CYCLE_1)
	v_add_co_ci_u32_e64 v83, s13, v83, v133, s13
	s_or_b32 s15, vcc_lo, s15
	s_and_not1_b32 exec_lo, exec_lo, s15
	s_cbranch_execz .LBB4_4574
.LBB4_3808:                             ;   Parent Loop BB4_51 Depth=1
                                        ;     Parent Loop BB4_2119 Depth=2
                                        ; =>    This Inner Loop Header: Depth=3
	s_clause 0x1
	global_load_b128 v[20:23], v[69:70], off slc dlc
	global_load_b128 v[12:15], v[69:70], off offset:512 slc dlc
	s_clause 0x1
	global_load_b128 v[16:19], v[80:81], off slc dlc
	global_load_b128 v[8:11], v[80:81], off offset:512 slc dlc
	s_mov_b32 s13, 0
	s_mov_b32 s17, exec_lo
                                        ; implicit-def: $sgpr16
	s_waitcnt vmcnt(3)
	v_and_b32_e32 v149, 0xff, v20
	s_delay_alu instid0(VALU_DEP_1)
	v_cmpx_lt_i16_e64 0x7f, v149
	s_xor_b32 s17, exec_lo, s17
	s_cbranch_execnz .LBB4_4318
; %bb.3809:                             ;   in Loop: Header=BB4_3808 Depth=3
	s_or_saveexec_b32 s17, s17
	v_mov_b32_e32 v85, s16
	s_xor_b32 exec_lo, exec_lo, s17
	s_cbranch_execnz .LBB4_4321
.LBB4_3810:                             ;   in Loop: Header=BB4_3808 Depth=3
	s_or_b32 exec_lo, exec_lo, s17
	s_and_saveexec_b32 s16, s13
	s_cbranch_execz .LBB4_3812
.LBB4_3811:                             ;   in Loop: Header=BB4_3808 Depth=3
	v_and_b32_e32 v85, 7, v20
	v_bfe_u32 v151, v20, 3, 4
	s_delay_alu instid0(VALU_DEP_2) | instskip(NEXT) | instid1(VALU_DEP_2)
	v_clz_i32_u32_e32 v149, v85
	v_cmp_eq_u32_e32 vcc_lo, 0, v151
	s_delay_alu instid0(VALU_DEP_2) | instskip(NEXT) | instid1(VALU_DEP_1)
	v_min_u32_e32 v149, 32, v149
	v_subrev_nc_u32_e32 v150, 28, v149
	v_sub_nc_u32_e32 v149, 29, v149
	s_delay_alu instid0(VALU_DEP_1) | instskip(NEXT) | instid1(VALU_DEP_1)
	v_dual_cndmask_b32 v149, v151, v149 :: v_dual_lshlrev_b32 v150, v150, v20
	v_and_b32_e32 v150, 7, v150
	v_lshlrev_b32_e32 v160, 24, v20
	s_delay_alu instid0(VALU_DEP_3) | instskip(NEXT) | instid1(VALU_DEP_2)
	v_lshl_add_u32 v149, v149, 23, 0x3b800000
	v_dual_cndmask_b32 v85, v85, v150 :: v_dual_and_b32 v150, 0x80000000, v160
	s_delay_alu instid0(VALU_DEP_1) | instskip(NEXT) | instid1(VALU_DEP_1)
	v_lshlrev_b32_e32 v85, 20, v85
	v_or3_b32 v85, v150, v149, v85
.LBB4_3812:                             ;   in Loop: Header=BB4_3808 Depth=3
	s_or_b32 exec_lo, exec_lo, s16
	s_waitcnt vmcnt(1)
	v_and_b32_e32 v150, 0xff, v16
	s_mov_b32 s13, 0
	s_mov_b32 s17, exec_lo
                                        ; implicit-def: $sgpr16
	s_delay_alu instid0(VALU_DEP_1)
	v_cmpx_lt_i16_e64 0x7f, v150
	s_xor_b32 s17, exec_lo, s17
	s_cbranch_execnz .LBB4_4322
; %bb.3813:                             ;   in Loop: Header=BB4_3808 Depth=3
	s_or_saveexec_b32 s17, s17
	v_mov_b32_e32 v149, s16
	s_xor_b32 exec_lo, exec_lo, s17
	s_cbranch_execnz .LBB4_4325
.LBB4_3814:                             ;   in Loop: Header=BB4_3808 Depth=3
	s_or_b32 exec_lo, exec_lo, s17
	s_and_saveexec_b32 s16, s13
	s_cbranch_execz .LBB4_3816
.LBB4_3815:                             ;   in Loop: Header=BB4_3808 Depth=3
	v_bfe_u32 v160, v16, 3, 4
	v_lshlrev_b32_e32 v161, 24, v16
	s_delay_alu instid0(VALU_DEP_2) | instskip(SKIP_1) | instid1(VALU_DEP_1)
	v_cmp_eq_u32_e32 vcc_lo, 0, v160
	v_and_b32_e32 v149, 7, v16
	v_clz_i32_u32_e32 v150, v149
	s_delay_alu instid0(VALU_DEP_1) | instskip(NEXT) | instid1(VALU_DEP_1)
	v_min_u32_e32 v150, 32, v150
	v_subrev_nc_u32_e32 v151, 28, v150
	v_sub_nc_u32_e32 v150, 29, v150
	s_delay_alu instid0(VALU_DEP_1) | instskip(NEXT) | instid1(VALU_DEP_1)
	v_dual_cndmask_b32 v150, v160, v150 :: v_dual_lshlrev_b32 v151, v151, v16
	v_and_b32_e32 v151, 7, v151
	s_delay_alu instid0(VALU_DEP_2) | instskip(NEXT) | instid1(VALU_DEP_2)
	v_lshl_add_u32 v150, v150, 23, 0x3b800000
	v_cndmask_b32_e32 v149, v149, v151, vcc_lo
	v_and_b32_e32 v151, 0x80000000, v161
	s_delay_alu instid0(VALU_DEP_2) | instskip(NEXT) | instid1(VALU_DEP_1)
	v_lshlrev_b32_e32 v149, 20, v149
	v_or3_b32 v149, v151, v150, v149
.LBB4_3816:                             ;   in Loop: Header=BB4_3808 Depth=3
	s_or_b32 exec_lo, exec_lo, s16
	s_delay_alu instid0(VALU_DEP_1) | instskip(NEXT) | instid1(VALU_DEP_1)
	v_add_f32_e32 v149, v85, v149
	v_and_b32_e32 v85, 0x7f800000, v149
	s_delay_alu instid0(VALU_DEP_1)
	v_cmp_ne_u32_e32 vcc_lo, 0x7f800000, v85
	v_mov_b32_e32 v85, 0x80
	s_and_saveexec_b32 s16, vcc_lo
	s_cbranch_execz .LBB4_3824
; %bb.3817:                             ;   in Loop: Header=BB4_3808 Depth=3
	v_mov_b32_e32 v85, 0
	s_mov_b32 s17, exec_lo
	v_cmpx_ne_u32_e32 0, v149
	s_cbranch_execz .LBB4_3823
; %bb.3818:                             ;   in Loop: Header=BB4_3808 Depth=3
	v_bfe_u32 v85, v149, 23, 8
	s_delay_alu instid0(VALU_DEP_1) | instskip(SKIP_1) | instid1(VALU_DEP_2)
	v_sub_nc_u32_e32 v151, 0x78, v85
	v_cmp_gt_u32_e32 vcc_lo, 0x79, v85
	v_dual_cndmask_b32 v151, 0, v151 :: v_dual_and_b32 v150, 0x7fffff, v149
	s_delay_alu instid0(VALU_DEP_1) | instskip(SKIP_2) | instid1(VALU_DEP_4)
	v_or_b32_e32 v160, 0x800000, v150
	v_cmp_eq_u32_e32 vcc_lo, 0, v85
	v_add_nc_u32_e32 v85, 0xffffff89, v85
	v_cndmask_b32_e64 v151, v151, 0x77, vcc_lo
	s_delay_alu instid0(VALU_DEP_4) | instskip(NEXT) | instid1(VALU_DEP_3)
	v_cndmask_b32_e32 v150, v160, v150, vcc_lo
	v_cndmask_b32_e64 v85, v85, 0xffffff8a, vcc_lo
	s_delay_alu instid0(VALU_DEP_3) | instskip(NEXT) | instid1(VALU_DEP_3)
	v_lshl_add_u32 v160, 0x100000, v151, -1
	v_lshrrev_b32_e32 v161, v151, v150
	v_lshlrev_b32_e64 v163, v151, 0x80000
	s_delay_alu instid0(VALU_DEP_4) | instskip(NEXT) | instid1(VALU_DEP_4)
	v_add_nc_u32_e32 v151, v151, v85
	v_and_b32_e32 v150, v160, v150
	s_delay_alu instid0(VALU_DEP_4) | instskip(NEXT) | instid1(VALU_DEP_2)
	v_bfe_u32 v162, v161, 20, 1
	v_cmp_eq_u32_e64 s13, v150, v163
	s_delay_alu instid0(VALU_DEP_2) | instskip(NEXT) | instid1(VALU_DEP_1)
	v_add_nc_u32_e32 v160, -1, v162
	v_cndmask_b32_e64 v150, 0, v160, s13
	v_lshrrev_b32_e32 v160, 23, v161
	s_mov_b32 s13, exec_lo
	s_delay_alu instid0(VALU_DEP_2) | instskip(NEXT) | instid1(VALU_DEP_2)
	v_add_nc_u32_e32 v150, v150, v161
	v_xor_b32_e32 v160, 1, v160
	s_delay_alu instid0(VALU_DEP_2) | instskip(NEXT) | instid1(VALU_DEP_1)
	v_and_b32_e32 v85, 0xfffff, v150
	v_add_nc_u32_e32 v150, v85, v161
                                        ; implicit-def: $vgpr85
	s_delay_alu instid0(VALU_DEP_3)
	v_cmpx_ne_u32_e64 v151, v160
	s_xor_b32 s13, exec_lo, s13
; %bb.3819:                             ;   in Loop: Header=BB4_3808 Depth=3
	s_delay_alu instid0(VALU_DEP_2) | instskip(SKIP_2) | instid1(VALU_DEP_2)
	v_cmp_lt_u32_e32 vcc_lo, 0xffffff, v150
	v_sub_nc_u32_e32 v85, v151, v160
	v_cndmask_b32_e64 v151, 0, 1, vcc_lo
	v_add_co_ci_u32_e32 v85, vcc_lo, 0, v85, vcc_lo
	s_delay_alu instid0(VALU_DEP_2)
	v_lshrrev_b32_e32 v150, v151, v150
; %bb.3820:                             ;   in Loop: Header=BB4_3808 Depth=3
	s_and_not1_saveexec_b32 s13, s13
; %bb.3821:                             ;   in Loop: Header=BB4_3808 Depth=3
	s_delay_alu instid0(VALU_DEP_1)
	v_bfe_u32 v85, v150, 23, 1
; %bb.3822:                             ;   in Loop: Header=BB4_3808 Depth=3
	s_or_b32 exec_lo, exec_lo, s13
	v_lshrrev_b32_e32 v150, 20, v150
	s_delay_alu instid0(VALU_DEP_2) | instskip(SKIP_2) | instid1(VALU_DEP_2)
	v_cmp_gt_i32_e32 vcc_lo, 16, v85
	v_lshrrev_b32_e32 v149, 24, v149
	v_min_i32_e32 v151, 15, v85
	v_dual_cndmask_b32 v150, 7, v150 :: v_dual_and_b32 v149, 0x80, v149
	s_delay_alu instid0(VALU_DEP_2) | instskip(NEXT) | instid1(VALU_DEP_2)
	v_lshlrev_b32_e32 v151, 3, v151
	v_or_b32_e32 v85, v85, v150
	s_delay_alu instid0(VALU_DEP_1) | instskip(SKIP_1) | instid1(VALU_DEP_1)
	v_cmp_ne_u32_e32 vcc_lo, 0, v85
	v_and_b32_e32 v160, 7, v150
	v_or3_b32 v149, v151, v149, v160
	s_delay_alu instid0(VALU_DEP_1)
	v_cndmask_b32_e32 v85, 0, v149, vcc_lo
.LBB4_3823:                             ;   in Loop: Header=BB4_3808 Depth=3
	s_or_b32 exec_lo, exec_lo, s17
.LBB4_3824:                             ;   in Loop: Header=BB4_3808 Depth=3
	s_delay_alu instid0(SALU_CYCLE_1) | instskip(SKIP_3) | instid1(VALU_DEP_1)
	s_or_b32 exec_lo, exec_lo, s16
	v_lshrrev_b16 v150, 8, v20
	s_mov_b32 s13, 0
	s_mov_b32 s17, exec_lo
                                        ; implicit-def: $sgpr16
	v_cmpx_lt_i16_e64 0x7f, v150
	s_xor_b32 s17, exec_lo, s17
	s_cbranch_execnz .LBB4_4326
; %bb.3825:                             ;   in Loop: Header=BB4_3808 Depth=3
	s_or_saveexec_b32 s17, s17
	v_mov_b32_e32 v149, s16
	s_xor_b32 exec_lo, exec_lo, s17
	s_cbranch_execnz .LBB4_4329
.LBB4_3826:                             ;   in Loop: Header=BB4_3808 Depth=3
	s_or_b32 exec_lo, exec_lo, s17
	s_and_saveexec_b32 s16, s13
	s_cbranch_execz .LBB4_3828
.LBB4_3827:                             ;   in Loop: Header=BB4_3808 Depth=3
	v_and_b32_e32 v149, 0xffff, v150
	s_delay_alu instid0(VALU_DEP_1) | instskip(NEXT) | instid1(VALU_DEP_1)
	v_and_b32_e32 v151, 7, v149
	v_clz_i32_u32_e32 v160, v151
	s_delay_alu instid0(VALU_DEP_1) | instskip(NEXT) | instid1(VALU_DEP_1)
	v_min_u32_e32 v160, 32, v160
	v_subrev_nc_u32_e32 v161, 28, v160
	v_sub_nc_u32_e32 v160, 29, v160
	s_delay_alu instid0(VALU_DEP_2) | instskip(SKIP_1) | instid1(VALU_DEP_2)
	v_lshlrev_b32_e32 v161, v161, v149
	v_bfe_u32 v149, v149, 3, 4
	v_and_b32_e32 v161, 7, v161
	s_delay_alu instid0(VALU_DEP_2) | instskip(SKIP_1) | instid1(VALU_DEP_1)
	v_cmp_eq_u32_e32 vcc_lo, 0, v149
	v_dual_cndmask_b32 v149, v149, v160 :: v_dual_lshlrev_b32 v150, 24, v150
	v_dual_cndmask_b32 v151, v151, v161 :: v_dual_and_b32 v150, 0x80000000, v150
	s_delay_alu instid0(VALU_DEP_2) | instskip(NEXT) | instid1(VALU_DEP_2)
	v_lshl_add_u32 v149, v149, 23, 0x3b800000
	v_lshlrev_b32_e32 v151, 20, v151
	s_delay_alu instid0(VALU_DEP_1)
	v_or3_b32 v149, v150, v149, v151
.LBB4_3828:                             ;   in Loop: Header=BB4_3808 Depth=3
	s_or_b32 exec_lo, exec_lo, s16
	v_lshrrev_b16 v150, 8, v16
	s_mov_b32 s13, 0
	s_mov_b32 s17, exec_lo
                                        ; implicit-def: $sgpr16
	s_delay_alu instid0(VALU_DEP_1)
	v_cmpx_lt_i16_e64 0x7f, v150
	s_xor_b32 s17, exec_lo, s17
	s_cbranch_execnz .LBB4_4330
; %bb.3829:                             ;   in Loop: Header=BB4_3808 Depth=3
	s_or_saveexec_b32 s17, s17
	v_mov_b32_e32 v151, s16
	s_xor_b32 exec_lo, exec_lo, s17
	s_cbranch_execnz .LBB4_4333
.LBB4_3830:                             ;   in Loop: Header=BB4_3808 Depth=3
	s_or_b32 exec_lo, exec_lo, s17
	s_and_saveexec_b32 s16, s13
	s_cbranch_execz .LBB4_3832
.LBB4_3831:                             ;   in Loop: Header=BB4_3808 Depth=3
	v_and_b32_e32 v151, 0xffff, v150
	v_lshlrev_b32_e32 v150, 24, v150
	s_delay_alu instid0(VALU_DEP_2) | instskip(NEXT) | instid1(VALU_DEP_2)
	v_and_b32_e32 v160, 7, v151
	v_and_b32_e32 v150, 0x80000000, v150
	s_delay_alu instid0(VALU_DEP_2) | instskip(NEXT) | instid1(VALU_DEP_1)
	v_clz_i32_u32_e32 v161, v160
	v_min_u32_e32 v161, 32, v161
	s_delay_alu instid0(VALU_DEP_1) | instskip(SKIP_1) | instid1(VALU_DEP_2)
	v_subrev_nc_u32_e32 v162, 28, v161
	v_sub_nc_u32_e32 v161, 29, v161
	v_lshlrev_b32_e32 v162, v162, v151
	v_bfe_u32 v151, v151, 3, 4
	s_delay_alu instid0(VALU_DEP_2) | instskip(NEXT) | instid1(VALU_DEP_2)
	v_and_b32_e32 v162, 7, v162
	v_cmp_eq_u32_e32 vcc_lo, 0, v151
	s_delay_alu instid0(VALU_DEP_2) | instskip(NEXT) | instid1(VALU_DEP_1)
	v_dual_cndmask_b32 v151, v151, v161 :: v_dual_cndmask_b32 v160, v160, v162
	v_lshl_add_u32 v151, v151, 23, 0x3b800000
	s_delay_alu instid0(VALU_DEP_2) | instskip(NEXT) | instid1(VALU_DEP_1)
	v_lshlrev_b32_e32 v160, 20, v160
	v_or3_b32 v151, v150, v151, v160
.LBB4_3832:                             ;   in Loop: Header=BB4_3808 Depth=3
	s_or_b32 exec_lo, exec_lo, s16
	s_delay_alu instid0(VALU_DEP_1) | instskip(NEXT) | instid1(VALU_DEP_1)
	v_add_f32_e32 v150, v149, v151
	v_and_b32_e32 v149, 0x7f800000, v150
	s_delay_alu instid0(VALU_DEP_1)
	v_cmp_ne_u32_e32 vcc_lo, 0x7f800000, v149
	v_mov_b32_e32 v149, 0x80
	s_and_saveexec_b32 s16, vcc_lo
	s_cbranch_execz .LBB4_3840
; %bb.3833:                             ;   in Loop: Header=BB4_3808 Depth=3
	v_mov_b32_e32 v149, 0
	s_mov_b32 s17, exec_lo
	v_cmpx_ne_u32_e32 0, v150
	s_cbranch_execz .LBB4_3839
; %bb.3834:                             ;   in Loop: Header=BB4_3808 Depth=3
	v_bfe_u32 v149, v150, 23, 8
	s_delay_alu instid0(VALU_DEP_1) | instskip(SKIP_1) | instid1(VALU_DEP_2)
	v_sub_nc_u32_e32 v160, 0x78, v149
	v_cmp_gt_u32_e32 vcc_lo, 0x79, v149
	v_dual_cndmask_b32 v160, 0, v160 :: v_dual_and_b32 v151, 0x7fffff, v150
	s_delay_alu instid0(VALU_DEP_1) | instskip(SKIP_2) | instid1(VALU_DEP_4)
	v_or_b32_e32 v161, 0x800000, v151
	v_cmp_eq_u32_e32 vcc_lo, 0, v149
	v_add_nc_u32_e32 v149, 0xffffff89, v149
	v_cndmask_b32_e64 v160, v160, 0x77, vcc_lo
	s_delay_alu instid0(VALU_DEP_2) | instskip(SKIP_1) | instid1(VALU_DEP_3)
	v_cndmask_b32_e64 v149, v149, 0xffffff8a, vcc_lo
	v_cndmask_b32_e32 v151, v161, v151, vcc_lo
	v_lshl_add_u32 v161, 0x100000, v160, -1
	v_lshlrev_b32_e64 v164, v160, 0x80000
	s_delay_alu instid0(VALU_DEP_3) | instskip(SKIP_1) | instid1(VALU_DEP_4)
	v_lshrrev_b32_e32 v162, v160, v151
	v_add_nc_u32_e32 v160, v160, v149
	v_and_b32_e32 v151, v161, v151
	s_delay_alu instid0(VALU_DEP_3) | instskip(NEXT) | instid1(VALU_DEP_2)
	v_bfe_u32 v163, v162, 20, 1
	v_cmp_eq_u32_e64 s13, v151, v164
	s_delay_alu instid0(VALU_DEP_2) | instskip(NEXT) | instid1(VALU_DEP_1)
	v_add_nc_u32_e32 v161, -1, v163
	v_cndmask_b32_e64 v151, 0, v161, s13
	v_lshrrev_b32_e32 v161, 23, v162
	s_mov_b32 s13, exec_lo
	s_delay_alu instid0(VALU_DEP_2) | instskip(NEXT) | instid1(VALU_DEP_2)
	v_add_nc_u32_e32 v151, v151, v162
	v_xor_b32_e32 v161, 1, v161
	s_delay_alu instid0(VALU_DEP_2) | instskip(NEXT) | instid1(VALU_DEP_1)
	v_and_b32_e32 v149, 0xfffff, v151
	v_add_nc_u32_e32 v151, v149, v162
                                        ; implicit-def: $vgpr149
	s_delay_alu instid0(VALU_DEP_3)
	v_cmpx_ne_u32_e64 v160, v161
	s_xor_b32 s13, exec_lo, s13
; %bb.3835:                             ;   in Loop: Header=BB4_3808 Depth=3
	s_delay_alu instid0(VALU_DEP_2) | instskip(SKIP_2) | instid1(VALU_DEP_2)
	v_cmp_lt_u32_e32 vcc_lo, 0xffffff, v151
	v_sub_nc_u32_e32 v149, v160, v161
	v_cndmask_b32_e64 v160, 0, 1, vcc_lo
	v_add_co_ci_u32_e32 v149, vcc_lo, 0, v149, vcc_lo
	s_delay_alu instid0(VALU_DEP_2)
	v_lshrrev_b32_e32 v151, v160, v151
; %bb.3836:                             ;   in Loop: Header=BB4_3808 Depth=3
	s_and_not1_saveexec_b32 s13, s13
; %bb.3837:                             ;   in Loop: Header=BB4_3808 Depth=3
	s_delay_alu instid0(VALU_DEP_1)
	v_bfe_u32 v149, v151, 23, 1
; %bb.3838:                             ;   in Loop: Header=BB4_3808 Depth=3
	s_or_b32 exec_lo, exec_lo, s13
	v_lshrrev_b32_e32 v151, 20, v151
	s_delay_alu instid0(VALU_DEP_2) | instskip(SKIP_2) | instid1(VALU_DEP_2)
	v_cmp_gt_i32_e32 vcc_lo, 16, v149
	v_lshrrev_b32_e32 v150, 24, v150
	v_min_i32_e32 v160, 15, v149
	v_dual_cndmask_b32 v151, 7, v151 :: v_dual_and_b32 v150, 0x80, v150
	s_delay_alu instid0(VALU_DEP_1) | instskip(SKIP_1) | instid1(VALU_DEP_2)
	v_or_b32_e32 v149, v149, v151
	v_and_b32_e32 v161, 7, v151
	v_cmp_ne_u32_e32 vcc_lo, 0, v149
	v_lshlrev_b32_e32 v160, 3, v160
	s_delay_alu instid0(VALU_DEP_1) | instskip(NEXT) | instid1(VALU_DEP_1)
	v_or3_b32 v150, v160, v150, v161
	v_cndmask_b32_e32 v149, 0, v150, vcc_lo
.LBB4_3839:                             ;   in Loop: Header=BB4_3808 Depth=3
	s_or_b32 exec_lo, exec_lo, s17
.LBB4_3840:                             ;   in Loop: Header=BB4_3808 Depth=3
	s_delay_alu instid0(SALU_CYCLE_1) | instskip(SKIP_3) | instid1(VALU_DEP_1)
	s_or_b32 exec_lo, exec_lo, s16
	v_lshrrev_b32_e32 v151, 16, v20
	s_mov_b32 s13, 0
	s_mov_b32 s17, exec_lo
                                        ; implicit-def: $sgpr16
	v_and_b32_e32 v160, 0xff, v151
	s_delay_alu instid0(VALU_DEP_1)
	v_cmpx_lt_i16_e64 0x7f, v160
	s_xor_b32 s17, exec_lo, s17
	s_cbranch_execnz .LBB4_4334
; %bb.3841:                             ;   in Loop: Header=BB4_3808 Depth=3
	s_or_saveexec_b32 s17, s17
	v_mov_b32_e32 v150, s16
	s_xor_b32 exec_lo, exec_lo, s17
	s_cbranch_execnz .LBB4_4337
.LBB4_3842:                             ;   in Loop: Header=BB4_3808 Depth=3
	s_or_b32 exec_lo, exec_lo, s17
	s_and_saveexec_b32 s16, s13
	s_cbranch_execz .LBB4_3844
.LBB4_3843:                             ;   in Loop: Header=BB4_3808 Depth=3
	v_bfe_u32 v150, v20, 16, 3
	v_lshlrev_b32_e32 v162, 8, v20
	s_delay_alu instid0(VALU_DEP_2) | instskip(NEXT) | instid1(VALU_DEP_1)
	v_clz_i32_u32_e32 v160, v150
	v_min_u32_e32 v160, 32, v160
	s_delay_alu instid0(VALU_DEP_1) | instskip(SKIP_1) | instid1(VALU_DEP_2)
	v_subrev_nc_u32_e32 v161, 28, v160
	v_sub_nc_u32_e32 v160, 29, v160
	v_lshlrev_b32_e32 v151, v161, v151
	v_bfe_u32 v161, v20, 19, 4
	s_delay_alu instid0(VALU_DEP_1) | instskip(NEXT) | instid1(VALU_DEP_3)
	v_cmp_eq_u32_e32 vcc_lo, 0, v161
	v_dual_cndmask_b32 v160, v161, v160 :: v_dual_and_b32 v151, 7, v151
	s_delay_alu instid0(VALU_DEP_1) | instskip(NEXT) | instid1(VALU_DEP_2)
	v_dual_cndmask_b32 v150, v150, v151 :: v_dual_and_b32 v151, 0x80000000, v162
	v_lshl_add_u32 v160, v160, 23, 0x3b800000
	s_delay_alu instid0(VALU_DEP_2) | instskip(NEXT) | instid1(VALU_DEP_1)
	v_lshlrev_b32_e32 v150, 20, v150
	v_or3_b32 v150, v151, v160, v150
.LBB4_3844:                             ;   in Loop: Header=BB4_3808 Depth=3
	s_or_b32 exec_lo, exec_lo, s16
	v_lshrrev_b32_e32 v151, 16, v16
	s_mov_b32 s13, 0
	s_mov_b32 s17, exec_lo
                                        ; implicit-def: $sgpr16
	s_delay_alu instid0(VALU_DEP_1) | instskip(NEXT) | instid1(VALU_DEP_1)
	v_and_b32_e32 v161, 0xff, v151
	v_cmpx_lt_i16_e64 0x7f, v161
	s_xor_b32 s17, exec_lo, s17
	s_cbranch_execnz .LBB4_4338
; %bb.3845:                             ;   in Loop: Header=BB4_3808 Depth=3
	s_or_saveexec_b32 s17, s17
	v_mov_b32_e32 v160, s16
	s_xor_b32 exec_lo, exec_lo, s17
	s_cbranch_execnz .LBB4_4341
.LBB4_3846:                             ;   in Loop: Header=BB4_3808 Depth=3
	s_or_b32 exec_lo, exec_lo, s17
	s_and_saveexec_b32 s16, s13
	s_cbranch_execz .LBB4_3848
.LBB4_3847:                             ;   in Loop: Header=BB4_3808 Depth=3
	v_bfe_u32 v160, v16, 16, 3
	v_lshlrev_b32_e32 v163, 8, v16
	s_delay_alu instid0(VALU_DEP_2) | instskip(NEXT) | instid1(VALU_DEP_1)
	v_clz_i32_u32_e32 v161, v160
	v_min_u32_e32 v161, 32, v161
	s_delay_alu instid0(VALU_DEP_1) | instskip(SKIP_1) | instid1(VALU_DEP_2)
	v_subrev_nc_u32_e32 v162, 28, v161
	v_sub_nc_u32_e32 v161, 29, v161
	v_lshlrev_b32_e32 v151, v162, v151
	v_bfe_u32 v162, v16, 19, 4
	s_delay_alu instid0(VALU_DEP_2) | instskip(NEXT) | instid1(VALU_DEP_2)
	v_and_b32_e32 v151, 7, v151
	v_cmp_eq_u32_e32 vcc_lo, 0, v162
	v_cndmask_b32_e32 v161, v162, v161, vcc_lo
	s_delay_alu instid0(VALU_DEP_3) | instskip(SKIP_1) | instid1(VALU_DEP_3)
	v_cndmask_b32_e32 v151, v160, v151, vcc_lo
	v_and_b32_e32 v160, 0x80000000, v163
	v_lshl_add_u32 v161, v161, 23, 0x3b800000
	s_delay_alu instid0(VALU_DEP_3) | instskip(NEXT) | instid1(VALU_DEP_1)
	v_lshlrev_b32_e32 v151, 20, v151
	v_or3_b32 v160, v160, v161, v151
.LBB4_3848:                             ;   in Loop: Header=BB4_3808 Depth=3
	s_or_b32 exec_lo, exec_lo, s16
	s_delay_alu instid0(VALU_DEP_1) | instskip(NEXT) | instid1(VALU_DEP_1)
	v_add_f32_e32 v151, v150, v160
	v_and_b32_e32 v150, 0x7f800000, v151
	s_delay_alu instid0(VALU_DEP_1)
	v_cmp_ne_u32_e32 vcc_lo, 0x7f800000, v150
	v_mov_b32_e32 v150, 0x80
	s_and_saveexec_b32 s16, vcc_lo
	s_cbranch_execz .LBB4_3856
; %bb.3849:                             ;   in Loop: Header=BB4_3808 Depth=3
	v_mov_b32_e32 v150, 0
	s_mov_b32 s17, exec_lo
	v_cmpx_ne_u32_e32 0, v151
	s_cbranch_execz .LBB4_3855
; %bb.3850:                             ;   in Loop: Header=BB4_3808 Depth=3
	v_bfe_u32 v150, v151, 23, 8
	s_delay_alu instid0(VALU_DEP_1) | instskip(SKIP_1) | instid1(VALU_DEP_2)
	v_sub_nc_u32_e32 v161, 0x78, v150
	v_cmp_gt_u32_e32 vcc_lo, 0x79, v150
	v_dual_cndmask_b32 v161, 0, v161 :: v_dual_and_b32 v160, 0x7fffff, v151
	s_delay_alu instid0(VALU_DEP_1) | instskip(SKIP_2) | instid1(VALU_DEP_4)
	v_or_b32_e32 v162, 0x800000, v160
	v_cmp_eq_u32_e32 vcc_lo, 0, v150
	v_add_nc_u32_e32 v150, 0xffffff89, v150
	v_cndmask_b32_e64 v161, v161, 0x77, vcc_lo
	s_delay_alu instid0(VALU_DEP_2) | instskip(SKIP_1) | instid1(VALU_DEP_3)
	v_cndmask_b32_e64 v150, v150, 0xffffff8a, vcc_lo
	v_cndmask_b32_e32 v160, v162, v160, vcc_lo
	v_lshl_add_u32 v162, 0x100000, v161, -1
	v_lshlrev_b32_e64 v165, v161, 0x80000
	s_delay_alu instid0(VALU_DEP_3) | instskip(SKIP_1) | instid1(VALU_DEP_4)
	v_lshrrev_b32_e32 v163, v161, v160
	v_add_nc_u32_e32 v161, v161, v150
	v_and_b32_e32 v160, v162, v160
	s_delay_alu instid0(VALU_DEP_3) | instskip(NEXT) | instid1(VALU_DEP_2)
	v_bfe_u32 v164, v163, 20, 1
	v_cmp_eq_u32_e64 s13, v160, v165
	s_delay_alu instid0(VALU_DEP_2) | instskip(NEXT) | instid1(VALU_DEP_1)
	v_add_nc_u32_e32 v162, -1, v164
	v_cndmask_b32_e64 v160, 0, v162, s13
	v_lshrrev_b32_e32 v162, 23, v163
	s_mov_b32 s13, exec_lo
	s_delay_alu instid0(VALU_DEP_2) | instskip(NEXT) | instid1(VALU_DEP_2)
	v_add_nc_u32_e32 v160, v160, v163
	v_xor_b32_e32 v162, 1, v162
	s_delay_alu instid0(VALU_DEP_2) | instskip(NEXT) | instid1(VALU_DEP_1)
	v_and_b32_e32 v150, 0xfffff, v160
	v_add_nc_u32_e32 v160, v150, v163
                                        ; implicit-def: $vgpr150
	s_delay_alu instid0(VALU_DEP_3)
	v_cmpx_ne_u32_e64 v161, v162
	s_xor_b32 s13, exec_lo, s13
; %bb.3851:                             ;   in Loop: Header=BB4_3808 Depth=3
	s_delay_alu instid0(VALU_DEP_2) | instskip(SKIP_2) | instid1(VALU_DEP_2)
	v_cmp_lt_u32_e32 vcc_lo, 0xffffff, v160
	v_sub_nc_u32_e32 v150, v161, v162
	v_cndmask_b32_e64 v161, 0, 1, vcc_lo
	v_add_co_ci_u32_e32 v150, vcc_lo, 0, v150, vcc_lo
	s_delay_alu instid0(VALU_DEP_2)
	v_lshrrev_b32_e32 v160, v161, v160
; %bb.3852:                             ;   in Loop: Header=BB4_3808 Depth=3
	s_and_not1_saveexec_b32 s13, s13
; %bb.3853:                             ;   in Loop: Header=BB4_3808 Depth=3
	s_delay_alu instid0(VALU_DEP_1)
	v_bfe_u32 v150, v160, 23, 1
; %bb.3854:                             ;   in Loop: Header=BB4_3808 Depth=3
	s_or_b32 exec_lo, exec_lo, s13
	v_lshrrev_b32_e32 v160, 20, v160
	s_delay_alu instid0(VALU_DEP_2) | instskip(SKIP_2) | instid1(VALU_DEP_2)
	v_cmp_gt_i32_e32 vcc_lo, 16, v150
	v_lshrrev_b32_e32 v151, 24, v151
	v_min_i32_e32 v161, 15, v150
	v_dual_cndmask_b32 v160, 7, v160 :: v_dual_and_b32 v151, 0x80, v151
	s_delay_alu instid0(VALU_DEP_1) | instskip(SKIP_1) | instid1(VALU_DEP_2)
	v_or_b32_e32 v150, v150, v160
	v_and_b32_e32 v162, 7, v160
	v_cmp_ne_u32_e32 vcc_lo, 0, v150
	v_lshlrev_b32_e32 v161, 3, v161
	s_delay_alu instid0(VALU_DEP_1) | instskip(NEXT) | instid1(VALU_DEP_1)
	v_or3_b32 v151, v161, v151, v162
	v_cndmask_b32_e32 v150, 0, v151, vcc_lo
.LBB4_3855:                             ;   in Loop: Header=BB4_3808 Depth=3
	s_or_b32 exec_lo, exec_lo, s17
.LBB4_3856:                             ;   in Loop: Header=BB4_3808 Depth=3
	s_delay_alu instid0(SALU_CYCLE_1) | instskip(SKIP_3) | instid1(VALU_DEP_1)
	s_or_b32 exec_lo, exec_lo, s16
	v_lshrrev_b32_e32 v160, 24, v20
	s_mov_b32 s13, 0
	s_mov_b32 s17, exec_lo
                                        ; implicit-def: $sgpr16
	v_cmpx_lt_i16_e64 0x7f, v160
	s_xor_b32 s17, exec_lo, s17
	s_cbranch_execnz .LBB4_4342
; %bb.3857:                             ;   in Loop: Header=BB4_3808 Depth=3
	s_or_saveexec_b32 s17, s17
	v_mov_b32_e32 v151, s16
	s_xor_b32 exec_lo, exec_lo, s17
	s_cbranch_execnz .LBB4_4345
.LBB4_3858:                             ;   in Loop: Header=BB4_3808 Depth=3
	s_or_b32 exec_lo, exec_lo, s17
	s_and_saveexec_b32 s16, s13
	s_cbranch_execz .LBB4_3860
.LBB4_3859:                             ;   in Loop: Header=BB4_3808 Depth=3
	v_bfe_u32 v151, v20, 24, 3
	s_delay_alu instid0(VALU_DEP_1) | instskip(NEXT) | instid1(VALU_DEP_1)
	v_clz_i32_u32_e32 v161, v151
	v_min_u32_e32 v161, 32, v161
	s_delay_alu instid0(VALU_DEP_1) | instskip(SKIP_1) | instid1(VALU_DEP_2)
	v_subrev_nc_u32_e32 v162, 28, v161
	v_sub_nc_u32_e32 v161, 29, v161
	v_lshlrev_b32_e32 v160, v162, v160
	v_bfe_u32 v162, v20, 27, 4
	v_and_b32_e32 v20, 0x80000000, v20
	s_delay_alu instid0(VALU_DEP_2) | instskip(NEXT) | instid1(VALU_DEP_4)
	v_cmp_eq_u32_e32 vcc_lo, 0, v162
	v_dual_cndmask_b32 v161, v162, v161 :: v_dual_and_b32 v160, 7, v160
	s_delay_alu instid0(VALU_DEP_1) | instskip(NEXT) | instid1(VALU_DEP_2)
	v_cndmask_b32_e32 v151, v151, v160, vcc_lo
	v_lshl_add_u32 v160, v161, 23, 0x3b800000
	s_delay_alu instid0(VALU_DEP_2) | instskip(NEXT) | instid1(VALU_DEP_1)
	v_lshlrev_b32_e32 v151, 20, v151
	v_or3_b32 v151, v20, v160, v151
.LBB4_3860:                             ;   in Loop: Header=BB4_3808 Depth=3
	s_or_b32 exec_lo, exec_lo, s16
	v_lshrrev_b32_e32 v20, 24, v16
	s_mov_b32 s13, 0
	s_mov_b32 s17, exec_lo
                                        ; implicit-def: $sgpr16
	s_delay_alu instid0(VALU_DEP_1)
	v_cmpx_lt_i16_e32 0x7f, v20
	s_xor_b32 s17, exec_lo, s17
	s_cbranch_execnz .LBB4_4346
; %bb.3861:                             ;   in Loop: Header=BB4_3808 Depth=3
	s_or_saveexec_b32 s17, s17
	v_mov_b32_e32 v160, s16
	s_xor_b32 exec_lo, exec_lo, s17
	s_cbranch_execnz .LBB4_4349
.LBB4_3862:                             ;   in Loop: Header=BB4_3808 Depth=3
	s_or_b32 exec_lo, exec_lo, s17
	s_and_saveexec_b32 s16, s13
	s_cbranch_execz .LBB4_3864
.LBB4_3863:                             ;   in Loop: Header=BB4_3808 Depth=3
	v_bfe_u32 v160, v16, 24, 3
	s_delay_alu instid0(VALU_DEP_1) | instskip(NEXT) | instid1(VALU_DEP_1)
	v_clz_i32_u32_e32 v161, v160
	v_min_u32_e32 v161, 32, v161
	s_delay_alu instid0(VALU_DEP_1) | instskip(SKIP_1) | instid1(VALU_DEP_2)
	v_subrev_nc_u32_e32 v162, 28, v161
	v_sub_nc_u32_e32 v161, 29, v161
	v_lshlrev_b32_e32 v20, v162, v20
	v_bfe_u32 v162, v16, 27, 4
	v_and_b32_e32 v16, 0x80000000, v16
	s_delay_alu instid0(VALU_DEP_2) | instskip(NEXT) | instid1(VALU_DEP_4)
	v_cmp_eq_u32_e32 vcc_lo, 0, v162
	v_dual_cndmask_b32 v161, v162, v161 :: v_dual_and_b32 v20, 7, v20
	s_delay_alu instid0(VALU_DEP_1) | instskip(NEXT) | instid1(VALU_DEP_2)
	v_cndmask_b32_e32 v20, v160, v20, vcc_lo
	v_lshl_add_u32 v160, v161, 23, 0x3b800000
	s_delay_alu instid0(VALU_DEP_2) | instskip(NEXT) | instid1(VALU_DEP_1)
	v_lshlrev_b32_e32 v20, 20, v20
	v_or3_b32 v160, v16, v160, v20
.LBB4_3864:                             ;   in Loop: Header=BB4_3808 Depth=3
	s_or_b32 exec_lo, exec_lo, s16
	s_delay_alu instid0(VALU_DEP_1) | instskip(NEXT) | instid1(VALU_DEP_1)
	v_add_f32_e32 v20, v151, v160
	v_and_b32_e32 v16, 0x7f800000, v20
	s_delay_alu instid0(VALU_DEP_1)
	v_cmp_ne_u32_e32 vcc_lo, 0x7f800000, v16
	v_mov_b32_e32 v16, 0x80
	s_and_saveexec_b32 s16, vcc_lo
	s_cbranch_execz .LBB4_3872
; %bb.3865:                             ;   in Loop: Header=BB4_3808 Depth=3
	v_mov_b32_e32 v16, 0
	s_mov_b32 s17, exec_lo
	v_cmpx_ne_u32_e32 0, v20
	s_cbranch_execz .LBB4_3871
; %bb.3866:                             ;   in Loop: Header=BB4_3808 Depth=3
	v_bfe_u32 v16, v20, 23, 8
	v_and_b32_e32 v151, 0x7fffff, v20
	s_delay_alu instid0(VALU_DEP_2) | instskip(SKIP_1) | instid1(VALU_DEP_3)
	v_sub_nc_u32_e32 v160, 0x78, v16
	v_cmp_gt_u32_e32 vcc_lo, 0x79, v16
	v_or_b32_e32 v161, 0x800000, v151
	s_delay_alu instid0(VALU_DEP_3) | instskip(SKIP_1) | instid1(VALU_DEP_3)
	v_cndmask_b32_e32 v160, 0, v160, vcc_lo
	v_cmp_eq_u32_e32 vcc_lo, 0, v16
	v_dual_cndmask_b32 v151, v161, v151 :: v_dual_add_nc_u32 v16, 0xffffff89, v16
	s_delay_alu instid0(VALU_DEP_3) | instskip(NEXT) | instid1(VALU_DEP_2)
	v_cndmask_b32_e64 v160, v160, 0x77, vcc_lo
	v_cndmask_b32_e64 v16, v16, 0xffffff8a, vcc_lo
	s_delay_alu instid0(VALU_DEP_2) | instskip(SKIP_2) | instid1(VALU_DEP_4)
	v_lshrrev_b32_e32 v162, v160, v151
	v_lshl_add_u32 v161, 0x100000, v160, -1
	v_lshlrev_b32_e64 v164, v160, 0x80000
	v_add_nc_u32_e32 v160, v160, v16
	s_delay_alu instid0(VALU_DEP_4) | instskip(NEXT) | instid1(VALU_DEP_4)
	v_bfe_u32 v163, v162, 20, 1
	v_and_b32_e32 v151, v161, v151
	s_delay_alu instid0(VALU_DEP_2) | instskip(NEXT) | instid1(VALU_DEP_2)
	v_add_nc_u32_e32 v161, -1, v163
	v_cmp_eq_u32_e64 s13, v151, v164
	s_delay_alu instid0(VALU_DEP_1) | instskip(SKIP_2) | instid1(VALU_DEP_2)
	v_cndmask_b32_e64 v151, 0, v161, s13
	v_lshrrev_b32_e32 v161, 23, v162
	s_mov_b32 s13, exec_lo
	v_add_nc_u32_e32 v151, v151, v162
	s_delay_alu instid0(VALU_DEP_2) | instskip(NEXT) | instid1(VALU_DEP_2)
	v_xor_b32_e32 v161, 1, v161
	v_and_b32_e32 v16, 0xfffff, v151
	s_delay_alu instid0(VALU_DEP_1) | instskip(NEXT) | instid1(VALU_DEP_3)
	v_add_nc_u32_e32 v151, v16, v162
                                        ; implicit-def: $vgpr16
	v_cmpx_ne_u32_e64 v160, v161
	s_xor_b32 s13, exec_lo, s13
; %bb.3867:                             ;   in Loop: Header=BB4_3808 Depth=3
	s_delay_alu instid0(VALU_DEP_2) | instskip(SKIP_2) | instid1(VALU_DEP_2)
	v_cmp_lt_u32_e32 vcc_lo, 0xffffff, v151
	v_sub_nc_u32_e32 v16, v160, v161
	v_cndmask_b32_e64 v160, 0, 1, vcc_lo
	v_add_co_ci_u32_e32 v16, vcc_lo, 0, v16, vcc_lo
	s_delay_alu instid0(VALU_DEP_2)
	v_lshrrev_b32_e32 v151, v160, v151
; %bb.3868:                             ;   in Loop: Header=BB4_3808 Depth=3
	s_and_not1_saveexec_b32 s13, s13
; %bb.3869:                             ;   in Loop: Header=BB4_3808 Depth=3
	s_delay_alu instid0(VALU_DEP_1)
	v_bfe_u32 v16, v151, 23, 1
; %bb.3870:                             ;   in Loop: Header=BB4_3808 Depth=3
	s_or_b32 exec_lo, exec_lo, s13
	v_lshrrev_b32_e32 v151, 20, v151
	s_delay_alu instid0(VALU_DEP_2) | instskip(SKIP_2) | instid1(VALU_DEP_2)
	v_cmp_gt_i32_e32 vcc_lo, 16, v16
	v_lshrrev_b32_e32 v20, 24, v20
	v_min_i32_e32 v160, 15, v16
	v_dual_cndmask_b32 v151, 7, v151 :: v_dual_and_b32 v20, 0x80, v20
	s_delay_alu instid0(VALU_DEP_2) | instskip(NEXT) | instid1(VALU_DEP_2)
	v_lshlrev_b32_e32 v160, 3, v160
	v_or_b32_e32 v16, v16, v151
	s_delay_alu instid0(VALU_DEP_1) | instskip(SKIP_1) | instid1(VALU_DEP_1)
	v_cmp_ne_u32_e32 vcc_lo, 0, v16
	v_and_b32_e32 v161, 7, v151
	v_or3_b32 v20, v160, v20, v161
	s_delay_alu instid0(VALU_DEP_1)
	v_cndmask_b32_e32 v16, 0, v20, vcc_lo
.LBB4_3871:                             ;   in Loop: Header=BB4_3808 Depth=3
	s_or_b32 exec_lo, exec_lo, s17
.LBB4_3872:                             ;   in Loop: Header=BB4_3808 Depth=3
	s_delay_alu instid0(SALU_CYCLE_1) | instskip(SKIP_3) | instid1(VALU_DEP_1)
	s_or_b32 exec_lo, exec_lo, s16
	v_and_b32_e32 v151, 0xff, v21
	s_mov_b32 s13, 0
	s_mov_b32 s17, exec_lo
                                        ; implicit-def: $sgpr16
	v_cmpx_lt_i16_e64 0x7f, v151
	s_xor_b32 s17, exec_lo, s17
	s_cbranch_execnz .LBB4_4350
; %bb.3873:                             ;   in Loop: Header=BB4_3808 Depth=3
	s_or_saveexec_b32 s17, s17
	v_mov_b32_e32 v20, s16
	s_xor_b32 exec_lo, exec_lo, s17
	s_cbranch_execnz .LBB4_4353
.LBB4_3874:                             ;   in Loop: Header=BB4_3808 Depth=3
	s_or_b32 exec_lo, exec_lo, s17
	s_and_saveexec_b32 s16, s13
	s_cbranch_execz .LBB4_3876
.LBB4_3875:                             ;   in Loop: Header=BB4_3808 Depth=3
	v_bfe_u32 v161, v21, 3, 4
	v_lshlrev_b32_e32 v162, 24, v21
	s_delay_alu instid0(VALU_DEP_2) | instskip(SKIP_1) | instid1(VALU_DEP_1)
	v_cmp_eq_u32_e32 vcc_lo, 0, v161
	v_and_b32_e32 v20, 7, v21
	v_clz_i32_u32_e32 v151, v20
	s_delay_alu instid0(VALU_DEP_1) | instskip(NEXT) | instid1(VALU_DEP_1)
	v_min_u32_e32 v151, 32, v151
	v_subrev_nc_u32_e32 v160, 28, v151
	v_sub_nc_u32_e32 v151, 29, v151
	s_delay_alu instid0(VALU_DEP_1) | instskip(NEXT) | instid1(VALU_DEP_1)
	v_dual_cndmask_b32 v151, v161, v151 :: v_dual_lshlrev_b32 v160, v160, v21
	v_and_b32_e32 v160, 7, v160
	s_delay_alu instid0(VALU_DEP_2) | instskip(NEXT) | instid1(VALU_DEP_2)
	v_lshl_add_u32 v151, v151, 23, 0x3b800000
	v_cndmask_b32_e32 v20, v20, v160, vcc_lo
	v_and_b32_e32 v160, 0x80000000, v162
	s_delay_alu instid0(VALU_DEP_2) | instskip(NEXT) | instid1(VALU_DEP_1)
	v_lshlrev_b32_e32 v20, 20, v20
	v_or3_b32 v20, v160, v151, v20
.LBB4_3876:                             ;   in Loop: Header=BB4_3808 Depth=3
	s_or_b32 exec_lo, exec_lo, s16
	v_and_b32_e32 v160, 0xff, v17
	s_mov_b32 s13, 0
	s_mov_b32 s17, exec_lo
                                        ; implicit-def: $sgpr16
	s_delay_alu instid0(VALU_DEP_1)
	v_cmpx_lt_i16_e64 0x7f, v160
	s_xor_b32 s17, exec_lo, s17
	s_cbranch_execnz .LBB4_4354
; %bb.3877:                             ;   in Loop: Header=BB4_3808 Depth=3
	s_or_saveexec_b32 s17, s17
	v_mov_b32_e32 v151, s16
	s_xor_b32 exec_lo, exec_lo, s17
	s_cbranch_execnz .LBB4_4357
.LBB4_3878:                             ;   in Loop: Header=BB4_3808 Depth=3
	s_or_b32 exec_lo, exec_lo, s17
	s_and_saveexec_b32 s16, s13
	s_cbranch_execz .LBB4_3880
.LBB4_3879:                             ;   in Loop: Header=BB4_3808 Depth=3
	v_bfe_u32 v162, v17, 3, 4
	v_lshlrev_b32_e32 v163, 24, v17
	s_delay_alu instid0(VALU_DEP_2) | instskip(SKIP_1) | instid1(VALU_DEP_1)
	v_cmp_eq_u32_e32 vcc_lo, 0, v162
	v_and_b32_e32 v151, 7, v17
	v_clz_i32_u32_e32 v160, v151
	s_delay_alu instid0(VALU_DEP_1) | instskip(NEXT) | instid1(VALU_DEP_1)
	v_min_u32_e32 v160, 32, v160
	v_subrev_nc_u32_e32 v161, 28, v160
	v_sub_nc_u32_e32 v160, 29, v160
	s_delay_alu instid0(VALU_DEP_1) | instskip(NEXT) | instid1(VALU_DEP_1)
	v_dual_cndmask_b32 v160, v162, v160 :: v_dual_lshlrev_b32 v161, v161, v17
	v_and_b32_e32 v161, 7, v161
	s_delay_alu instid0(VALU_DEP_2) | instskip(NEXT) | instid1(VALU_DEP_2)
	v_lshl_add_u32 v160, v160, 23, 0x3b800000
	v_cndmask_b32_e32 v151, v151, v161, vcc_lo
	v_and_b32_e32 v161, 0x80000000, v163
	s_delay_alu instid0(VALU_DEP_2) | instskip(NEXT) | instid1(VALU_DEP_1)
	v_lshlrev_b32_e32 v151, 20, v151
	v_or3_b32 v151, v161, v160, v151
.LBB4_3880:                             ;   in Loop: Header=BB4_3808 Depth=3
	s_or_b32 exec_lo, exec_lo, s16
	s_delay_alu instid0(VALU_DEP_1) | instskip(NEXT) | instid1(VALU_DEP_1)
	v_add_f32_e32 v151, v20, v151
	v_and_b32_e32 v20, 0x7f800000, v151
	s_delay_alu instid0(VALU_DEP_1)
	v_cmp_ne_u32_e32 vcc_lo, 0x7f800000, v20
	v_mov_b32_e32 v20, 0x80
	s_and_saveexec_b32 s16, vcc_lo
	s_cbranch_execz .LBB4_3888
; %bb.3881:                             ;   in Loop: Header=BB4_3808 Depth=3
	v_mov_b32_e32 v20, 0
	s_mov_b32 s17, exec_lo
	v_cmpx_ne_u32_e32 0, v151
	s_cbranch_execz .LBB4_3887
; %bb.3882:                             ;   in Loop: Header=BB4_3808 Depth=3
	v_bfe_u32 v20, v151, 23, 8
	s_delay_alu instid0(VALU_DEP_1) | instskip(SKIP_1) | instid1(VALU_DEP_2)
	v_sub_nc_u32_e32 v161, 0x78, v20
	v_cmp_gt_u32_e32 vcc_lo, 0x79, v20
	v_dual_cndmask_b32 v161, 0, v161 :: v_dual_and_b32 v160, 0x7fffff, v151
	s_delay_alu instid0(VALU_DEP_1) | instskip(SKIP_2) | instid1(VALU_DEP_4)
	v_or_b32_e32 v162, 0x800000, v160
	v_cmp_eq_u32_e32 vcc_lo, 0, v20
	v_add_nc_u32_e32 v20, 0xffffff89, v20
	v_cndmask_b32_e64 v161, v161, 0x77, vcc_lo
	s_delay_alu instid0(VALU_DEP_4) | instskip(NEXT) | instid1(VALU_DEP_3)
	v_cndmask_b32_e32 v160, v162, v160, vcc_lo
	v_cndmask_b32_e64 v20, v20, 0xffffff8a, vcc_lo
	s_delay_alu instid0(VALU_DEP_3) | instskip(NEXT) | instid1(VALU_DEP_3)
	v_lshl_add_u32 v162, 0x100000, v161, -1
	v_lshrrev_b32_e32 v163, v161, v160
	v_lshlrev_b32_e64 v165, v161, 0x80000
	s_delay_alu instid0(VALU_DEP_4) | instskip(NEXT) | instid1(VALU_DEP_4)
	v_add_nc_u32_e32 v161, v161, v20
	v_and_b32_e32 v160, v162, v160
	s_delay_alu instid0(VALU_DEP_4) | instskip(NEXT) | instid1(VALU_DEP_2)
	v_bfe_u32 v164, v163, 20, 1
	v_cmp_eq_u32_e64 s13, v160, v165
	s_delay_alu instid0(VALU_DEP_2) | instskip(NEXT) | instid1(VALU_DEP_1)
	v_add_nc_u32_e32 v162, -1, v164
	v_cndmask_b32_e64 v160, 0, v162, s13
	v_lshrrev_b32_e32 v162, 23, v163
	s_mov_b32 s13, exec_lo
	s_delay_alu instid0(VALU_DEP_2) | instskip(NEXT) | instid1(VALU_DEP_2)
	v_add_nc_u32_e32 v160, v160, v163
	v_xor_b32_e32 v162, 1, v162
	s_delay_alu instid0(VALU_DEP_2) | instskip(NEXT) | instid1(VALU_DEP_1)
	v_and_b32_e32 v20, 0xfffff, v160
	v_add_nc_u32_e32 v160, v20, v163
                                        ; implicit-def: $vgpr20
	s_delay_alu instid0(VALU_DEP_3)
	v_cmpx_ne_u32_e64 v161, v162
	s_xor_b32 s13, exec_lo, s13
; %bb.3883:                             ;   in Loop: Header=BB4_3808 Depth=3
	s_delay_alu instid0(VALU_DEP_2) | instskip(SKIP_2) | instid1(VALU_DEP_2)
	v_cmp_lt_u32_e32 vcc_lo, 0xffffff, v160
	v_sub_nc_u32_e32 v20, v161, v162
	v_cndmask_b32_e64 v161, 0, 1, vcc_lo
	v_add_co_ci_u32_e32 v20, vcc_lo, 0, v20, vcc_lo
	s_delay_alu instid0(VALU_DEP_2)
	v_lshrrev_b32_e32 v160, v161, v160
; %bb.3884:                             ;   in Loop: Header=BB4_3808 Depth=3
	s_and_not1_saveexec_b32 s13, s13
; %bb.3885:                             ;   in Loop: Header=BB4_3808 Depth=3
	s_delay_alu instid0(VALU_DEP_1)
	v_bfe_u32 v20, v160, 23, 1
; %bb.3886:                             ;   in Loop: Header=BB4_3808 Depth=3
	s_or_b32 exec_lo, exec_lo, s13
	v_lshrrev_b32_e32 v160, 20, v160
	s_delay_alu instid0(VALU_DEP_2) | instskip(SKIP_2) | instid1(VALU_DEP_2)
	v_cmp_gt_i32_e32 vcc_lo, 16, v20
	v_lshrrev_b32_e32 v151, 24, v151
	v_min_i32_e32 v161, 15, v20
	v_dual_cndmask_b32 v160, 7, v160 :: v_dual_and_b32 v151, 0x80, v151
	s_delay_alu instid0(VALU_DEP_1) | instskip(SKIP_1) | instid1(VALU_DEP_2)
	v_or_b32_e32 v20, v20, v160
	v_and_b32_e32 v162, 7, v160
	v_cmp_ne_u32_e32 vcc_lo, 0, v20
	v_lshlrev_b32_e32 v161, 3, v161
	s_delay_alu instid0(VALU_DEP_1) | instskip(NEXT) | instid1(VALU_DEP_1)
	v_or3_b32 v151, v161, v151, v162
	v_cndmask_b32_e32 v20, 0, v151, vcc_lo
.LBB4_3887:                             ;   in Loop: Header=BB4_3808 Depth=3
	s_or_b32 exec_lo, exec_lo, s17
.LBB4_3888:                             ;   in Loop: Header=BB4_3808 Depth=3
	s_delay_alu instid0(SALU_CYCLE_1) | instskip(SKIP_3) | instid1(VALU_DEP_1)
	s_or_b32 exec_lo, exec_lo, s16
	v_lshrrev_b16 v160, 8, v21
	s_mov_b32 s13, 0
	s_mov_b32 s17, exec_lo
                                        ; implicit-def: $sgpr16
	v_cmpx_lt_i16_e64 0x7f, v160
	s_xor_b32 s17, exec_lo, s17
	s_cbranch_execnz .LBB4_4358
; %bb.3889:                             ;   in Loop: Header=BB4_3808 Depth=3
	s_or_saveexec_b32 s17, s17
	v_mov_b32_e32 v151, s16
	s_xor_b32 exec_lo, exec_lo, s17
	s_cbranch_execnz .LBB4_4361
.LBB4_3890:                             ;   in Loop: Header=BB4_3808 Depth=3
	s_or_b32 exec_lo, exec_lo, s17
	s_and_saveexec_b32 s16, s13
	s_cbranch_execz .LBB4_3892
.LBB4_3891:                             ;   in Loop: Header=BB4_3808 Depth=3
	v_and_b32_e32 v151, 0xffff, v160
	s_delay_alu instid0(VALU_DEP_1) | instskip(NEXT) | instid1(VALU_DEP_1)
	v_and_b32_e32 v161, 7, v151
	v_clz_i32_u32_e32 v162, v161
	s_delay_alu instid0(VALU_DEP_1) | instskip(NEXT) | instid1(VALU_DEP_1)
	v_min_u32_e32 v162, 32, v162
	v_subrev_nc_u32_e32 v163, 28, v162
	v_sub_nc_u32_e32 v162, 29, v162
	s_delay_alu instid0(VALU_DEP_2) | instskip(SKIP_1) | instid1(VALU_DEP_2)
	v_lshlrev_b32_e32 v163, v163, v151
	v_bfe_u32 v151, v151, 3, 4
	v_and_b32_e32 v163, 7, v163
	s_delay_alu instid0(VALU_DEP_2) | instskip(SKIP_1) | instid1(VALU_DEP_1)
	v_cmp_eq_u32_e32 vcc_lo, 0, v151
	v_dual_cndmask_b32 v151, v151, v162 :: v_dual_lshlrev_b32 v160, 24, v160
	v_dual_cndmask_b32 v161, v161, v163 :: v_dual_and_b32 v160, 0x80000000, v160
	s_delay_alu instid0(VALU_DEP_2) | instskip(NEXT) | instid1(VALU_DEP_2)
	v_lshl_add_u32 v151, v151, 23, 0x3b800000
	v_lshlrev_b32_e32 v161, 20, v161
	s_delay_alu instid0(VALU_DEP_1)
	v_or3_b32 v151, v160, v151, v161
.LBB4_3892:                             ;   in Loop: Header=BB4_3808 Depth=3
	s_or_b32 exec_lo, exec_lo, s16
	v_lshrrev_b16 v160, 8, v17
	s_mov_b32 s13, 0
	s_mov_b32 s17, exec_lo
                                        ; implicit-def: $sgpr16
	s_delay_alu instid0(VALU_DEP_1)
	v_cmpx_lt_i16_e64 0x7f, v160
	s_xor_b32 s17, exec_lo, s17
	s_cbranch_execnz .LBB4_4362
; %bb.3893:                             ;   in Loop: Header=BB4_3808 Depth=3
	s_or_saveexec_b32 s17, s17
	v_mov_b32_e32 v161, s16
	s_xor_b32 exec_lo, exec_lo, s17
	s_cbranch_execnz .LBB4_4365
.LBB4_3894:                             ;   in Loop: Header=BB4_3808 Depth=3
	s_or_b32 exec_lo, exec_lo, s17
	s_and_saveexec_b32 s16, s13
	s_cbranch_execz .LBB4_3896
.LBB4_3895:                             ;   in Loop: Header=BB4_3808 Depth=3
	v_and_b32_e32 v161, 0xffff, v160
	v_lshlrev_b32_e32 v160, 24, v160
	s_delay_alu instid0(VALU_DEP_2) | instskip(NEXT) | instid1(VALU_DEP_2)
	v_and_b32_e32 v162, 7, v161
	v_and_b32_e32 v160, 0x80000000, v160
	s_delay_alu instid0(VALU_DEP_2) | instskip(NEXT) | instid1(VALU_DEP_1)
	v_clz_i32_u32_e32 v163, v162
	v_min_u32_e32 v163, 32, v163
	s_delay_alu instid0(VALU_DEP_1) | instskip(SKIP_1) | instid1(VALU_DEP_2)
	v_subrev_nc_u32_e32 v164, 28, v163
	v_sub_nc_u32_e32 v163, 29, v163
	v_lshlrev_b32_e32 v164, v164, v161
	v_bfe_u32 v161, v161, 3, 4
	s_delay_alu instid0(VALU_DEP_2) | instskip(NEXT) | instid1(VALU_DEP_2)
	v_and_b32_e32 v164, 7, v164
	v_cmp_eq_u32_e32 vcc_lo, 0, v161
	s_delay_alu instid0(VALU_DEP_2) | instskip(NEXT) | instid1(VALU_DEP_1)
	v_dual_cndmask_b32 v161, v161, v163 :: v_dual_cndmask_b32 v162, v162, v164
	v_lshl_add_u32 v161, v161, 23, 0x3b800000
	s_delay_alu instid0(VALU_DEP_2) | instskip(NEXT) | instid1(VALU_DEP_1)
	v_lshlrev_b32_e32 v162, 20, v162
	v_or3_b32 v161, v160, v161, v162
.LBB4_3896:                             ;   in Loop: Header=BB4_3808 Depth=3
	s_or_b32 exec_lo, exec_lo, s16
	s_delay_alu instid0(VALU_DEP_1) | instskip(NEXT) | instid1(VALU_DEP_1)
	v_add_f32_e32 v160, v151, v161
	v_and_b32_e32 v151, 0x7f800000, v160
	s_delay_alu instid0(VALU_DEP_1)
	v_cmp_ne_u32_e32 vcc_lo, 0x7f800000, v151
	v_mov_b32_e32 v151, 0x8000
	s_and_saveexec_b32 s16, vcc_lo
	s_cbranch_execz .LBB4_3904
; %bb.3897:                             ;   in Loop: Header=BB4_3808 Depth=3
	v_mov_b32_e32 v151, 0
	s_mov_b32 s17, exec_lo
	v_cmpx_ne_u32_e32 0, v160
	s_cbranch_execz .LBB4_3903
; %bb.3898:                             ;   in Loop: Header=BB4_3808 Depth=3
	v_bfe_u32 v151, v160, 23, 8
	s_delay_alu instid0(VALU_DEP_1) | instskip(SKIP_1) | instid1(VALU_DEP_2)
	v_sub_nc_u32_e32 v162, 0x78, v151
	v_cmp_gt_u32_e32 vcc_lo, 0x79, v151
	v_dual_cndmask_b32 v162, 0, v162 :: v_dual_and_b32 v161, 0x7fffff, v160
	s_delay_alu instid0(VALU_DEP_1) | instskip(SKIP_2) | instid1(VALU_DEP_4)
	v_or_b32_e32 v163, 0x800000, v161
	v_cmp_eq_u32_e32 vcc_lo, 0, v151
	v_add_nc_u32_e32 v151, 0xffffff89, v151
	v_cndmask_b32_e64 v162, v162, 0x77, vcc_lo
	s_delay_alu instid0(VALU_DEP_2) | instskip(SKIP_1) | instid1(VALU_DEP_3)
	v_cndmask_b32_e64 v151, v151, 0xffffff8a, vcc_lo
	v_cndmask_b32_e32 v161, v163, v161, vcc_lo
	v_lshl_add_u32 v163, 0x100000, v162, -1
	v_lshlrev_b32_e64 v166, v162, 0x80000
	s_delay_alu instid0(VALU_DEP_3) | instskip(SKIP_1) | instid1(VALU_DEP_4)
	v_lshrrev_b32_e32 v164, v162, v161
	v_add_nc_u32_e32 v162, v162, v151
	v_and_b32_e32 v161, v163, v161
	s_delay_alu instid0(VALU_DEP_3) | instskip(NEXT) | instid1(VALU_DEP_2)
	v_bfe_u32 v165, v164, 20, 1
	v_cmp_eq_u32_e64 s13, v161, v166
	s_delay_alu instid0(VALU_DEP_2) | instskip(NEXT) | instid1(VALU_DEP_1)
	v_add_nc_u32_e32 v163, -1, v165
	v_cndmask_b32_e64 v161, 0, v163, s13
	v_lshrrev_b32_e32 v163, 23, v164
	s_mov_b32 s13, exec_lo
	s_delay_alu instid0(VALU_DEP_2) | instskip(NEXT) | instid1(VALU_DEP_2)
	v_add_nc_u32_e32 v161, v161, v164
	v_xor_b32_e32 v163, 1, v163
	s_delay_alu instid0(VALU_DEP_2) | instskip(NEXT) | instid1(VALU_DEP_1)
	v_and_b32_e32 v151, 0xfffff, v161
	v_add_nc_u32_e32 v161, v151, v164
                                        ; implicit-def: $vgpr151
	s_delay_alu instid0(VALU_DEP_3)
	v_cmpx_ne_u32_e64 v162, v163
	s_xor_b32 s13, exec_lo, s13
; %bb.3899:                             ;   in Loop: Header=BB4_3808 Depth=3
	s_delay_alu instid0(VALU_DEP_2) | instskip(SKIP_2) | instid1(VALU_DEP_2)
	v_cmp_lt_u32_e32 vcc_lo, 0xffffff, v161
	v_sub_nc_u32_e32 v151, v162, v163
	v_cndmask_b32_e64 v162, 0, 1, vcc_lo
	v_add_co_ci_u32_e32 v151, vcc_lo, 0, v151, vcc_lo
	s_delay_alu instid0(VALU_DEP_2)
	v_lshrrev_b32_e32 v161, v162, v161
; %bb.3900:                             ;   in Loop: Header=BB4_3808 Depth=3
	s_and_not1_saveexec_b32 s13, s13
; %bb.3901:                             ;   in Loop: Header=BB4_3808 Depth=3
	s_delay_alu instid0(VALU_DEP_1)
	v_bfe_u32 v151, v161, 23, 1
; %bb.3902:                             ;   in Loop: Header=BB4_3808 Depth=3
	s_or_b32 exec_lo, exec_lo, s13
	v_lshrrev_b32_e32 v161, 20, v161
	s_delay_alu instid0(VALU_DEP_2) | instskip(SKIP_2) | instid1(VALU_DEP_2)
	v_cmp_gt_i32_e32 vcc_lo, 16, v151
	v_min_i32_e32 v162, 15, v151
	v_lshrrev_b32_e32 v160, 24, v160
	v_dual_cndmask_b32 v161, 7, v161 :: v_dual_lshlrev_b32 v162, 3, v162
	s_delay_alu instid0(VALU_DEP_2) | instskip(NEXT) | instid1(VALU_DEP_2)
	v_and_b32_e32 v160, 0x80, v160
	v_or_b32_e32 v151, v151, v161
	v_and_b32_e32 v163, 7, v161
	s_delay_alu instid0(VALU_DEP_2) | instskip(SKIP_1) | instid1(VALU_DEP_1)
	v_cmp_ne_u32_e32 vcc_lo, 0, v151
	v_and_b32_e32 v162, 0xf8, v162
	v_or3_b32 v160, v160, v162, v163
	s_delay_alu instid0(VALU_DEP_1) | instskip(NEXT) | instid1(VALU_DEP_1)
	v_lshlrev_b32_e32 v160, 8, v160
	v_cndmask_b32_e32 v151, 0, v160, vcc_lo
.LBB4_3903:                             ;   in Loop: Header=BB4_3808 Depth=3
	s_or_b32 exec_lo, exec_lo, s17
.LBB4_3904:                             ;   in Loop: Header=BB4_3808 Depth=3
	s_delay_alu instid0(SALU_CYCLE_1) | instskip(SKIP_3) | instid1(VALU_DEP_1)
	s_or_b32 exec_lo, exec_lo, s16
	v_lshrrev_b32_e32 v161, 16, v21
	s_mov_b32 s13, 0
	s_mov_b32 s17, exec_lo
                                        ; implicit-def: $sgpr16
	v_and_b32_e32 v162, 0xff, v161
	s_delay_alu instid0(VALU_DEP_1)
	v_cmpx_lt_i16_e64 0x7f, v162
	s_xor_b32 s17, exec_lo, s17
	s_cbranch_execnz .LBB4_4366
; %bb.3905:                             ;   in Loop: Header=BB4_3808 Depth=3
	s_or_saveexec_b32 s17, s17
	v_mov_b32_e32 v160, s16
	s_xor_b32 exec_lo, exec_lo, s17
	s_cbranch_execnz .LBB4_4369
.LBB4_3906:                             ;   in Loop: Header=BB4_3808 Depth=3
	s_or_b32 exec_lo, exec_lo, s17
	s_and_saveexec_b32 s16, s13
	s_cbranch_execz .LBB4_3908
.LBB4_3907:                             ;   in Loop: Header=BB4_3808 Depth=3
	v_bfe_u32 v160, v21, 16, 3
	v_lshlrev_b32_e32 v164, 8, v21
	s_delay_alu instid0(VALU_DEP_2) | instskip(NEXT) | instid1(VALU_DEP_1)
	v_clz_i32_u32_e32 v162, v160
	v_min_u32_e32 v162, 32, v162
	s_delay_alu instid0(VALU_DEP_1) | instskip(SKIP_1) | instid1(VALU_DEP_2)
	v_subrev_nc_u32_e32 v163, 28, v162
	v_sub_nc_u32_e32 v162, 29, v162
	v_lshlrev_b32_e32 v161, v163, v161
	v_bfe_u32 v163, v21, 19, 4
	s_delay_alu instid0(VALU_DEP_1) | instskip(NEXT) | instid1(VALU_DEP_3)
	v_cmp_eq_u32_e32 vcc_lo, 0, v163
	v_dual_cndmask_b32 v162, v163, v162 :: v_dual_and_b32 v161, 7, v161
	s_delay_alu instid0(VALU_DEP_1) | instskip(NEXT) | instid1(VALU_DEP_2)
	v_dual_cndmask_b32 v160, v160, v161 :: v_dual_and_b32 v161, 0x80000000, v164
	v_lshl_add_u32 v162, v162, 23, 0x3b800000
	s_delay_alu instid0(VALU_DEP_2) | instskip(NEXT) | instid1(VALU_DEP_1)
	v_lshlrev_b32_e32 v160, 20, v160
	v_or3_b32 v160, v161, v162, v160
.LBB4_3908:                             ;   in Loop: Header=BB4_3808 Depth=3
	s_or_b32 exec_lo, exec_lo, s16
	v_lshrrev_b32_e32 v161, 16, v17
	s_mov_b32 s13, 0
	s_mov_b32 s17, exec_lo
                                        ; implicit-def: $sgpr16
	s_delay_alu instid0(VALU_DEP_1) | instskip(NEXT) | instid1(VALU_DEP_1)
	v_and_b32_e32 v163, 0xff, v161
	v_cmpx_lt_i16_e64 0x7f, v163
	s_xor_b32 s17, exec_lo, s17
	s_cbranch_execnz .LBB4_4370
; %bb.3909:                             ;   in Loop: Header=BB4_3808 Depth=3
	s_or_saveexec_b32 s17, s17
	v_mov_b32_e32 v162, s16
	s_xor_b32 exec_lo, exec_lo, s17
	s_cbranch_execnz .LBB4_4373
.LBB4_3910:                             ;   in Loop: Header=BB4_3808 Depth=3
	s_or_b32 exec_lo, exec_lo, s17
	s_and_saveexec_b32 s16, s13
	s_cbranch_execz .LBB4_3912
.LBB4_3911:                             ;   in Loop: Header=BB4_3808 Depth=3
	v_bfe_u32 v162, v17, 16, 3
	v_lshlrev_b32_e32 v165, 8, v17
	s_delay_alu instid0(VALU_DEP_2) | instskip(NEXT) | instid1(VALU_DEP_1)
	v_clz_i32_u32_e32 v163, v162
	v_min_u32_e32 v163, 32, v163
	s_delay_alu instid0(VALU_DEP_1) | instskip(SKIP_1) | instid1(VALU_DEP_2)
	v_subrev_nc_u32_e32 v164, 28, v163
	v_sub_nc_u32_e32 v163, 29, v163
	v_lshlrev_b32_e32 v161, v164, v161
	v_bfe_u32 v164, v17, 19, 4
	s_delay_alu instid0(VALU_DEP_2) | instskip(NEXT) | instid1(VALU_DEP_2)
	v_and_b32_e32 v161, 7, v161
	v_cmp_eq_u32_e32 vcc_lo, 0, v164
	v_cndmask_b32_e32 v163, v164, v163, vcc_lo
	s_delay_alu instid0(VALU_DEP_3) | instskip(SKIP_1) | instid1(VALU_DEP_3)
	v_cndmask_b32_e32 v161, v162, v161, vcc_lo
	v_and_b32_e32 v162, 0x80000000, v165
	v_lshl_add_u32 v163, v163, 23, 0x3b800000
	s_delay_alu instid0(VALU_DEP_3) | instskip(NEXT) | instid1(VALU_DEP_1)
	v_lshlrev_b32_e32 v161, 20, v161
	v_or3_b32 v162, v162, v163, v161
.LBB4_3912:                             ;   in Loop: Header=BB4_3808 Depth=3
	s_or_b32 exec_lo, exec_lo, s16
	s_delay_alu instid0(VALU_DEP_1) | instskip(NEXT) | instid1(VALU_DEP_1)
	v_add_f32_e32 v161, v160, v162
	v_and_b32_e32 v160, 0x7f800000, v161
	s_delay_alu instid0(VALU_DEP_1)
	v_cmp_ne_u32_e32 vcc_lo, 0x7f800000, v160
	v_mov_b32_e32 v160, 0x80
	s_and_saveexec_b32 s16, vcc_lo
	s_cbranch_execz .LBB4_3920
; %bb.3913:                             ;   in Loop: Header=BB4_3808 Depth=3
	v_mov_b32_e32 v160, 0
	s_mov_b32 s17, exec_lo
	v_cmpx_ne_u32_e32 0, v161
	s_cbranch_execz .LBB4_3919
; %bb.3914:                             ;   in Loop: Header=BB4_3808 Depth=3
	v_bfe_u32 v160, v161, 23, 8
	s_delay_alu instid0(VALU_DEP_1) | instskip(SKIP_1) | instid1(VALU_DEP_2)
	v_sub_nc_u32_e32 v163, 0x78, v160
	v_cmp_gt_u32_e32 vcc_lo, 0x79, v160
	v_dual_cndmask_b32 v163, 0, v163 :: v_dual_and_b32 v162, 0x7fffff, v161
	s_delay_alu instid0(VALU_DEP_1) | instskip(SKIP_2) | instid1(VALU_DEP_4)
	v_or_b32_e32 v164, 0x800000, v162
	v_cmp_eq_u32_e32 vcc_lo, 0, v160
	v_add_nc_u32_e32 v160, 0xffffff89, v160
	v_cndmask_b32_e64 v163, v163, 0x77, vcc_lo
	s_delay_alu instid0(VALU_DEP_2) | instskip(SKIP_1) | instid1(VALU_DEP_3)
	v_cndmask_b32_e64 v160, v160, 0xffffff8a, vcc_lo
	v_cndmask_b32_e32 v162, v164, v162, vcc_lo
	v_lshl_add_u32 v164, 0x100000, v163, -1
	v_lshlrev_b32_e64 v167, v163, 0x80000
	s_delay_alu instid0(VALU_DEP_3) | instskip(SKIP_1) | instid1(VALU_DEP_4)
	v_lshrrev_b32_e32 v165, v163, v162
	v_add_nc_u32_e32 v163, v163, v160
	v_and_b32_e32 v162, v164, v162
	s_delay_alu instid0(VALU_DEP_3) | instskip(NEXT) | instid1(VALU_DEP_2)
	v_bfe_u32 v166, v165, 20, 1
	v_cmp_eq_u32_e64 s13, v162, v167
	s_delay_alu instid0(VALU_DEP_2) | instskip(NEXT) | instid1(VALU_DEP_1)
	v_add_nc_u32_e32 v164, -1, v166
	v_cndmask_b32_e64 v162, 0, v164, s13
	v_lshrrev_b32_e32 v164, 23, v165
	s_mov_b32 s13, exec_lo
	s_delay_alu instid0(VALU_DEP_2) | instskip(NEXT) | instid1(VALU_DEP_2)
	v_add_nc_u32_e32 v162, v162, v165
	v_xor_b32_e32 v164, 1, v164
	s_delay_alu instid0(VALU_DEP_2) | instskip(NEXT) | instid1(VALU_DEP_1)
	v_and_b32_e32 v160, 0xfffff, v162
	v_add_nc_u32_e32 v162, v160, v165
                                        ; implicit-def: $vgpr160
	s_delay_alu instid0(VALU_DEP_3)
	v_cmpx_ne_u32_e64 v163, v164
	s_xor_b32 s13, exec_lo, s13
; %bb.3915:                             ;   in Loop: Header=BB4_3808 Depth=3
	s_delay_alu instid0(VALU_DEP_2) | instskip(SKIP_2) | instid1(VALU_DEP_2)
	v_cmp_lt_u32_e32 vcc_lo, 0xffffff, v162
	v_sub_nc_u32_e32 v160, v163, v164
	v_cndmask_b32_e64 v163, 0, 1, vcc_lo
	v_add_co_ci_u32_e32 v160, vcc_lo, 0, v160, vcc_lo
	s_delay_alu instid0(VALU_DEP_2)
	v_lshrrev_b32_e32 v162, v163, v162
; %bb.3916:                             ;   in Loop: Header=BB4_3808 Depth=3
	s_and_not1_saveexec_b32 s13, s13
; %bb.3917:                             ;   in Loop: Header=BB4_3808 Depth=3
	s_delay_alu instid0(VALU_DEP_1)
	v_bfe_u32 v160, v162, 23, 1
; %bb.3918:                             ;   in Loop: Header=BB4_3808 Depth=3
	s_or_b32 exec_lo, exec_lo, s13
	v_lshrrev_b32_e32 v162, 20, v162
	s_delay_alu instid0(VALU_DEP_2) | instskip(SKIP_2) | instid1(VALU_DEP_2)
	v_cmp_gt_i32_e32 vcc_lo, 16, v160
	v_min_i32_e32 v163, 15, v160
	v_lshrrev_b32_e32 v161, 24, v161
	v_dual_cndmask_b32 v162, 7, v162 :: v_dual_lshlrev_b32 v163, 3, v163
	s_delay_alu instid0(VALU_DEP_2) | instskip(NEXT) | instid1(VALU_DEP_2)
	v_and_b32_e32 v161, 0x80, v161
	v_or_b32_e32 v160, v160, v162
	v_and_b32_e32 v164, 7, v162
	s_delay_alu instid0(VALU_DEP_2) | instskip(SKIP_1) | instid1(VALU_DEP_1)
	v_cmp_ne_u32_e32 vcc_lo, 0, v160
	v_and_b32_e32 v163, 0xf8, v163
	v_or3_b32 v161, v163, v161, v164
	s_delay_alu instid0(VALU_DEP_1)
	v_cndmask_b32_e32 v160, 0, v161, vcc_lo
.LBB4_3919:                             ;   in Loop: Header=BB4_3808 Depth=3
	s_or_b32 exec_lo, exec_lo, s17
.LBB4_3920:                             ;   in Loop: Header=BB4_3808 Depth=3
	s_delay_alu instid0(SALU_CYCLE_1) | instskip(SKIP_3) | instid1(VALU_DEP_1)
	s_or_b32 exec_lo, exec_lo, s16
	v_lshrrev_b32_e32 v162, 24, v21
	s_mov_b32 s13, 0
	s_mov_b32 s17, exec_lo
                                        ; implicit-def: $sgpr16
	v_cmpx_lt_i16_e64 0x7f, v162
	s_xor_b32 s17, exec_lo, s17
	s_cbranch_execnz .LBB4_4374
; %bb.3921:                             ;   in Loop: Header=BB4_3808 Depth=3
	s_or_saveexec_b32 s17, s17
	v_mov_b32_e32 v161, s16
	s_xor_b32 exec_lo, exec_lo, s17
	s_cbranch_execnz .LBB4_4377
.LBB4_3922:                             ;   in Loop: Header=BB4_3808 Depth=3
	s_or_b32 exec_lo, exec_lo, s17
	s_and_saveexec_b32 s16, s13
	s_cbranch_execz .LBB4_3924
.LBB4_3923:                             ;   in Loop: Header=BB4_3808 Depth=3
	v_bfe_u32 v161, v21, 24, 3
	s_delay_alu instid0(VALU_DEP_1) | instskip(NEXT) | instid1(VALU_DEP_1)
	v_clz_i32_u32_e32 v163, v161
	v_min_u32_e32 v163, 32, v163
	s_delay_alu instid0(VALU_DEP_1) | instskip(SKIP_1) | instid1(VALU_DEP_2)
	v_subrev_nc_u32_e32 v164, 28, v163
	v_sub_nc_u32_e32 v163, 29, v163
	v_lshlrev_b32_e32 v162, v164, v162
	v_bfe_u32 v164, v21, 27, 4
	v_and_b32_e32 v21, 0x80000000, v21
	s_delay_alu instid0(VALU_DEP_2) | instskip(NEXT) | instid1(VALU_DEP_4)
	v_cmp_eq_u32_e32 vcc_lo, 0, v164
	v_dual_cndmask_b32 v163, v164, v163 :: v_dual_and_b32 v162, 7, v162
	s_delay_alu instid0(VALU_DEP_1) | instskip(NEXT) | instid1(VALU_DEP_2)
	v_cndmask_b32_e32 v161, v161, v162, vcc_lo
	v_lshl_add_u32 v162, v163, 23, 0x3b800000
	s_delay_alu instid0(VALU_DEP_2) | instskip(NEXT) | instid1(VALU_DEP_1)
	v_lshlrev_b32_e32 v161, 20, v161
	v_or3_b32 v161, v21, v162, v161
.LBB4_3924:                             ;   in Loop: Header=BB4_3808 Depth=3
	s_or_b32 exec_lo, exec_lo, s16
	v_lshrrev_b32_e32 v21, 24, v17
	s_mov_b32 s13, 0
	s_mov_b32 s17, exec_lo
                                        ; implicit-def: $sgpr16
	s_delay_alu instid0(VALU_DEP_1)
	v_cmpx_lt_i16_e32 0x7f, v21
	s_xor_b32 s17, exec_lo, s17
	s_cbranch_execnz .LBB4_4378
; %bb.3925:                             ;   in Loop: Header=BB4_3808 Depth=3
	s_or_saveexec_b32 s17, s17
	v_mov_b32_e32 v162, s16
	s_xor_b32 exec_lo, exec_lo, s17
	s_cbranch_execnz .LBB4_4381
.LBB4_3926:                             ;   in Loop: Header=BB4_3808 Depth=3
	s_or_b32 exec_lo, exec_lo, s17
	s_and_saveexec_b32 s16, s13
	s_cbranch_execz .LBB4_3928
.LBB4_3927:                             ;   in Loop: Header=BB4_3808 Depth=3
	v_bfe_u32 v162, v17, 24, 3
	s_delay_alu instid0(VALU_DEP_1) | instskip(NEXT) | instid1(VALU_DEP_1)
	v_clz_i32_u32_e32 v163, v162
	v_min_u32_e32 v163, 32, v163
	s_delay_alu instid0(VALU_DEP_1) | instskip(SKIP_1) | instid1(VALU_DEP_2)
	v_subrev_nc_u32_e32 v164, 28, v163
	v_sub_nc_u32_e32 v163, 29, v163
	v_lshlrev_b32_e32 v21, v164, v21
	v_bfe_u32 v164, v17, 27, 4
	v_and_b32_e32 v17, 0x80000000, v17
	s_delay_alu instid0(VALU_DEP_3) | instskip(NEXT) | instid1(VALU_DEP_3)
	v_and_b32_e32 v21, 7, v21
	v_cmp_eq_u32_e32 vcc_lo, 0, v164
	v_cndmask_b32_e32 v163, v164, v163, vcc_lo
	s_delay_alu instid0(VALU_DEP_3) | instskip(NEXT) | instid1(VALU_DEP_2)
	v_cndmask_b32_e32 v21, v162, v21, vcc_lo
	v_lshl_add_u32 v162, v163, 23, 0x3b800000
	s_delay_alu instid0(VALU_DEP_2) | instskip(NEXT) | instid1(VALU_DEP_1)
	v_lshlrev_b32_e32 v21, 20, v21
	v_or3_b32 v162, v17, v162, v21
.LBB4_3928:                             ;   in Loop: Header=BB4_3808 Depth=3
	s_or_b32 exec_lo, exec_lo, s16
	s_delay_alu instid0(VALU_DEP_1) | instskip(NEXT) | instid1(VALU_DEP_1)
	v_add_f32_e32 v21, v161, v162
	v_and_b32_e32 v17, 0x7f800000, v21
	s_delay_alu instid0(VALU_DEP_1)
	v_cmp_ne_u32_e32 vcc_lo, 0x7f800000, v17
	v_mov_b32_e32 v17, 0x8000
	s_and_saveexec_b32 s16, vcc_lo
	s_cbranch_execz .LBB4_3936
; %bb.3929:                             ;   in Loop: Header=BB4_3808 Depth=3
	v_mov_b32_e32 v17, 0
	s_mov_b32 s17, exec_lo
	v_cmpx_ne_u32_e32 0, v21
	s_cbranch_execz .LBB4_3935
; %bb.3930:                             ;   in Loop: Header=BB4_3808 Depth=3
	v_bfe_u32 v17, v21, 23, 8
	s_delay_alu instid0(VALU_DEP_1) | instskip(SKIP_1) | instid1(VALU_DEP_2)
	v_sub_nc_u32_e32 v162, 0x78, v17
	v_cmp_gt_u32_e32 vcc_lo, 0x79, v17
	v_dual_cndmask_b32 v162, 0, v162 :: v_dual_and_b32 v161, 0x7fffff, v21
	s_delay_alu instid0(VALU_DEP_1) | instskip(SKIP_2) | instid1(VALU_DEP_4)
	v_or_b32_e32 v163, 0x800000, v161
	v_cmp_eq_u32_e32 vcc_lo, 0, v17
	v_add_nc_u32_e32 v17, 0xffffff89, v17
	v_cndmask_b32_e64 v162, v162, 0x77, vcc_lo
	s_delay_alu instid0(VALU_DEP_4) | instskip(NEXT) | instid1(VALU_DEP_3)
	v_cndmask_b32_e32 v161, v163, v161, vcc_lo
	v_cndmask_b32_e64 v17, v17, 0xffffff8a, vcc_lo
	s_delay_alu instid0(VALU_DEP_3) | instskip(NEXT) | instid1(VALU_DEP_3)
	v_lshl_add_u32 v163, 0x100000, v162, -1
	v_lshrrev_b32_e32 v164, v162, v161
	v_lshlrev_b32_e64 v166, v162, 0x80000
	s_delay_alu instid0(VALU_DEP_4) | instskip(NEXT) | instid1(VALU_DEP_4)
	v_add_nc_u32_e32 v162, v162, v17
	v_and_b32_e32 v161, v163, v161
	s_delay_alu instid0(VALU_DEP_4) | instskip(NEXT) | instid1(VALU_DEP_2)
	v_bfe_u32 v165, v164, 20, 1
	v_cmp_eq_u32_e64 s13, v161, v166
	s_delay_alu instid0(VALU_DEP_2) | instskip(NEXT) | instid1(VALU_DEP_1)
	v_add_nc_u32_e32 v163, -1, v165
	v_cndmask_b32_e64 v161, 0, v163, s13
	v_lshrrev_b32_e32 v163, 23, v164
	s_mov_b32 s13, exec_lo
	s_delay_alu instid0(VALU_DEP_2) | instskip(NEXT) | instid1(VALU_DEP_2)
	v_add_nc_u32_e32 v161, v161, v164
	v_xor_b32_e32 v163, 1, v163
	s_delay_alu instid0(VALU_DEP_2) | instskip(NEXT) | instid1(VALU_DEP_1)
	v_and_b32_e32 v17, 0xfffff, v161
	v_add_nc_u32_e32 v161, v17, v164
                                        ; implicit-def: $vgpr17
	s_delay_alu instid0(VALU_DEP_3)
	v_cmpx_ne_u32_e64 v162, v163
	s_xor_b32 s13, exec_lo, s13
; %bb.3931:                             ;   in Loop: Header=BB4_3808 Depth=3
	s_delay_alu instid0(VALU_DEP_2) | instskip(SKIP_2) | instid1(VALU_DEP_2)
	v_cmp_lt_u32_e32 vcc_lo, 0xffffff, v161
	v_sub_nc_u32_e32 v17, v162, v163
	v_cndmask_b32_e64 v162, 0, 1, vcc_lo
	v_add_co_ci_u32_e32 v17, vcc_lo, 0, v17, vcc_lo
	s_delay_alu instid0(VALU_DEP_2)
	v_lshrrev_b32_e32 v161, v162, v161
; %bb.3932:                             ;   in Loop: Header=BB4_3808 Depth=3
	s_and_not1_saveexec_b32 s13, s13
; %bb.3933:                             ;   in Loop: Header=BB4_3808 Depth=3
	s_delay_alu instid0(VALU_DEP_1)
	v_bfe_u32 v17, v161, 23, 1
; %bb.3934:                             ;   in Loop: Header=BB4_3808 Depth=3
	s_or_b32 exec_lo, exec_lo, s13
	v_lshrrev_b32_e32 v161, 20, v161
	s_delay_alu instid0(VALU_DEP_2) | instskip(SKIP_2) | instid1(VALU_DEP_2)
	v_cmp_gt_i32_e32 vcc_lo, 16, v17
	v_min_i32_e32 v162, 15, v17
	v_lshrrev_b32_e32 v21, 24, v21
	v_dual_cndmask_b32 v161, 7, v161 :: v_dual_lshlrev_b32 v162, 3, v162
	s_delay_alu instid0(VALU_DEP_2) | instskip(NEXT) | instid1(VALU_DEP_2)
	v_and_b32_e32 v21, 0x80, v21
	v_or_b32_e32 v17, v17, v161
	v_and_b32_e32 v163, 7, v161
	s_delay_alu instid0(VALU_DEP_2) | instskip(SKIP_1) | instid1(VALU_DEP_1)
	v_cmp_ne_u32_e32 vcc_lo, 0, v17
	v_and_b32_e32 v162, 0xf8, v162
	v_or3_b32 v21, v21, v162, v163
	s_delay_alu instid0(VALU_DEP_1) | instskip(NEXT) | instid1(VALU_DEP_1)
	v_lshlrev_b32_e32 v21, 8, v21
	v_cndmask_b32_e32 v17, 0, v21, vcc_lo
.LBB4_3935:                             ;   in Loop: Header=BB4_3808 Depth=3
	s_or_b32 exec_lo, exec_lo, s17
.LBB4_3936:                             ;   in Loop: Header=BB4_3808 Depth=3
	s_delay_alu instid0(SALU_CYCLE_1) | instskip(SKIP_3) | instid1(VALU_DEP_1)
	s_or_b32 exec_lo, exec_lo, s16
	v_and_b32_e32 v161, 0xff, v22
	s_mov_b32 s13, 0
	s_mov_b32 s17, exec_lo
                                        ; implicit-def: $sgpr16
	v_cmpx_lt_i16_e64 0x7f, v161
	s_xor_b32 s17, exec_lo, s17
	s_cbranch_execnz .LBB4_4382
; %bb.3937:                             ;   in Loop: Header=BB4_3808 Depth=3
	s_or_saveexec_b32 s17, s17
	v_mov_b32_e32 v21, s16
	s_xor_b32 exec_lo, exec_lo, s17
	s_cbranch_execnz .LBB4_4385
.LBB4_3938:                             ;   in Loop: Header=BB4_3808 Depth=3
	s_or_b32 exec_lo, exec_lo, s17
	s_and_saveexec_b32 s16, s13
	s_cbranch_execz .LBB4_3940
.LBB4_3939:                             ;   in Loop: Header=BB4_3808 Depth=3
	v_and_b32_e32 v21, 7, v22
	v_bfe_u32 v163, v22, 3, 4
	v_lshlrev_b32_e32 v164, 24, v22
	s_delay_alu instid0(VALU_DEP_3) | instskip(NEXT) | instid1(VALU_DEP_3)
	v_clz_i32_u32_e32 v161, v21
	v_cmp_eq_u32_e32 vcc_lo, 0, v163
	s_delay_alu instid0(VALU_DEP_2) | instskip(NEXT) | instid1(VALU_DEP_1)
	v_min_u32_e32 v161, 32, v161
	v_subrev_nc_u32_e32 v162, 28, v161
	v_sub_nc_u32_e32 v161, 29, v161
	s_delay_alu instid0(VALU_DEP_1) | instskip(NEXT) | instid1(VALU_DEP_1)
	v_dual_cndmask_b32 v161, v163, v161 :: v_dual_lshlrev_b32 v162, v162, v22
	v_and_b32_e32 v162, 7, v162
	s_delay_alu instid0(VALU_DEP_2) | instskip(NEXT) | instid1(VALU_DEP_2)
	v_lshl_add_u32 v161, v161, 23, 0x3b800000
	v_dual_cndmask_b32 v21, v21, v162 :: v_dual_and_b32 v162, 0x80000000, v164
	s_delay_alu instid0(VALU_DEP_1) | instskip(NEXT) | instid1(VALU_DEP_1)
	v_lshlrev_b32_e32 v21, 20, v21
	v_or3_b32 v21, v162, v161, v21
.LBB4_3940:                             ;   in Loop: Header=BB4_3808 Depth=3
	s_or_b32 exec_lo, exec_lo, s16
	v_and_b32_e32 v162, 0xff, v18
	s_mov_b32 s13, 0
	s_mov_b32 s17, exec_lo
                                        ; implicit-def: $sgpr16
	s_delay_alu instid0(VALU_DEP_1)
	v_cmpx_lt_i16_e64 0x7f, v162
	s_xor_b32 s17, exec_lo, s17
	s_cbranch_execnz .LBB4_4386
; %bb.3941:                             ;   in Loop: Header=BB4_3808 Depth=3
	s_or_saveexec_b32 s17, s17
	v_mov_b32_e32 v161, s16
	s_xor_b32 exec_lo, exec_lo, s17
	s_cbranch_execnz .LBB4_4389
.LBB4_3942:                             ;   in Loop: Header=BB4_3808 Depth=3
	s_or_b32 exec_lo, exec_lo, s17
	s_and_saveexec_b32 s16, s13
	s_cbranch_execz .LBB4_3944
.LBB4_3943:                             ;   in Loop: Header=BB4_3808 Depth=3
	v_and_b32_e32 v161, 7, v18
	v_bfe_u32 v164, v18, 3, 4
	v_lshlrev_b32_e32 v165, 24, v18
	s_delay_alu instid0(VALU_DEP_3) | instskip(NEXT) | instid1(VALU_DEP_3)
	v_clz_i32_u32_e32 v162, v161
	v_cmp_eq_u32_e32 vcc_lo, 0, v164
	s_delay_alu instid0(VALU_DEP_2) | instskip(NEXT) | instid1(VALU_DEP_1)
	v_min_u32_e32 v162, 32, v162
	v_subrev_nc_u32_e32 v163, 28, v162
	v_sub_nc_u32_e32 v162, 29, v162
	s_delay_alu instid0(VALU_DEP_2) | instskip(NEXT) | instid1(VALU_DEP_1)
	v_lshlrev_b32_e32 v163, v163, v18
	v_dual_cndmask_b32 v162, v164, v162 :: v_dual_and_b32 v163, 7, v163
	s_delay_alu instid0(VALU_DEP_1) | instskip(NEXT) | instid1(VALU_DEP_2)
	v_lshl_add_u32 v162, v162, 23, 0x3b800000
	v_cndmask_b32_e32 v161, v161, v163, vcc_lo
	v_and_b32_e32 v163, 0x80000000, v165
	s_delay_alu instid0(VALU_DEP_2) | instskip(NEXT) | instid1(VALU_DEP_1)
	v_lshlrev_b32_e32 v161, 20, v161
	v_or3_b32 v161, v163, v162, v161
.LBB4_3944:                             ;   in Loop: Header=BB4_3808 Depth=3
	s_or_b32 exec_lo, exec_lo, s16
	s_delay_alu instid0(VALU_DEP_1) | instskip(NEXT) | instid1(VALU_DEP_1)
	v_add_f32_e32 v161, v21, v161
	v_and_b32_e32 v21, 0x7f800000, v161
	s_delay_alu instid0(VALU_DEP_1)
	v_cmp_ne_u32_e32 vcc_lo, 0x7f800000, v21
	v_mov_b32_e32 v21, 0x80
	s_and_saveexec_b32 s16, vcc_lo
	s_cbranch_execz .LBB4_3952
; %bb.3945:                             ;   in Loop: Header=BB4_3808 Depth=3
	v_mov_b32_e32 v21, 0
	s_mov_b32 s17, exec_lo
	v_cmpx_ne_u32_e32 0, v161
	s_cbranch_execz .LBB4_3951
; %bb.3946:                             ;   in Loop: Header=BB4_3808 Depth=3
	v_bfe_u32 v21, v161, 23, 8
	s_delay_alu instid0(VALU_DEP_1) | instskip(SKIP_1) | instid1(VALU_DEP_2)
	v_sub_nc_u32_e32 v163, 0x78, v21
	v_cmp_gt_u32_e32 vcc_lo, 0x79, v21
	v_dual_cndmask_b32 v163, 0, v163 :: v_dual_and_b32 v162, 0x7fffff, v161
	s_delay_alu instid0(VALU_DEP_1) | instskip(SKIP_2) | instid1(VALU_DEP_4)
	v_or_b32_e32 v164, 0x800000, v162
	v_cmp_eq_u32_e32 vcc_lo, 0, v21
	v_add_nc_u32_e32 v21, 0xffffff89, v21
	v_cndmask_b32_e64 v163, v163, 0x77, vcc_lo
	s_delay_alu instid0(VALU_DEP_4) | instskip(NEXT) | instid1(VALU_DEP_3)
	v_cndmask_b32_e32 v162, v164, v162, vcc_lo
	v_cndmask_b32_e64 v21, v21, 0xffffff8a, vcc_lo
	s_delay_alu instid0(VALU_DEP_3) | instskip(NEXT) | instid1(VALU_DEP_3)
	v_lshl_add_u32 v164, 0x100000, v163, -1
	v_lshrrev_b32_e32 v165, v163, v162
	v_lshlrev_b32_e64 v167, v163, 0x80000
	s_delay_alu instid0(VALU_DEP_4) | instskip(NEXT) | instid1(VALU_DEP_4)
	v_add_nc_u32_e32 v163, v163, v21
	v_and_b32_e32 v162, v164, v162
	s_delay_alu instid0(VALU_DEP_4) | instskip(NEXT) | instid1(VALU_DEP_2)
	v_bfe_u32 v166, v165, 20, 1
	v_cmp_eq_u32_e64 s13, v162, v167
	s_delay_alu instid0(VALU_DEP_2) | instskip(NEXT) | instid1(VALU_DEP_1)
	v_add_nc_u32_e32 v164, -1, v166
	v_cndmask_b32_e64 v162, 0, v164, s13
	v_lshrrev_b32_e32 v164, 23, v165
	s_mov_b32 s13, exec_lo
	s_delay_alu instid0(VALU_DEP_2) | instskip(NEXT) | instid1(VALU_DEP_2)
	v_add_nc_u32_e32 v162, v162, v165
	v_xor_b32_e32 v164, 1, v164
	s_delay_alu instid0(VALU_DEP_2) | instskip(NEXT) | instid1(VALU_DEP_1)
	v_and_b32_e32 v21, 0xfffff, v162
	v_add_nc_u32_e32 v162, v21, v165
                                        ; implicit-def: $vgpr21
	s_delay_alu instid0(VALU_DEP_3)
	v_cmpx_ne_u32_e64 v163, v164
	s_xor_b32 s13, exec_lo, s13
; %bb.3947:                             ;   in Loop: Header=BB4_3808 Depth=3
	s_delay_alu instid0(VALU_DEP_2) | instskip(SKIP_2) | instid1(VALU_DEP_2)
	v_cmp_lt_u32_e32 vcc_lo, 0xffffff, v162
	v_sub_nc_u32_e32 v21, v163, v164
	v_cndmask_b32_e64 v163, 0, 1, vcc_lo
	v_add_co_ci_u32_e32 v21, vcc_lo, 0, v21, vcc_lo
	s_delay_alu instid0(VALU_DEP_2)
	v_lshrrev_b32_e32 v162, v163, v162
; %bb.3948:                             ;   in Loop: Header=BB4_3808 Depth=3
	s_and_not1_saveexec_b32 s13, s13
; %bb.3949:                             ;   in Loop: Header=BB4_3808 Depth=3
	s_delay_alu instid0(VALU_DEP_1)
	v_bfe_u32 v21, v162, 23, 1
; %bb.3950:                             ;   in Loop: Header=BB4_3808 Depth=3
	s_or_b32 exec_lo, exec_lo, s13
	v_lshrrev_b32_e32 v162, 20, v162
	s_delay_alu instid0(VALU_DEP_2) | instskip(SKIP_2) | instid1(VALU_DEP_2)
	v_cmp_gt_i32_e32 vcc_lo, 16, v21
	v_lshrrev_b32_e32 v161, 24, v161
	v_min_i32_e32 v163, 15, v21
	v_dual_cndmask_b32 v162, 7, v162 :: v_dual_and_b32 v161, 0x80, v161
	s_delay_alu instid0(VALU_DEP_2) | instskip(NEXT) | instid1(VALU_DEP_2)
	v_lshlrev_b32_e32 v163, 3, v163
	v_or_b32_e32 v21, v21, v162
	s_delay_alu instid0(VALU_DEP_1) | instskip(SKIP_1) | instid1(VALU_DEP_1)
	v_cmp_ne_u32_e32 vcc_lo, 0, v21
	v_and_b32_e32 v164, 7, v162
	v_or3_b32 v161, v163, v161, v164
	s_delay_alu instid0(VALU_DEP_1)
	v_cndmask_b32_e32 v21, 0, v161, vcc_lo
.LBB4_3951:                             ;   in Loop: Header=BB4_3808 Depth=3
	s_or_b32 exec_lo, exec_lo, s17
.LBB4_3952:                             ;   in Loop: Header=BB4_3808 Depth=3
	s_delay_alu instid0(SALU_CYCLE_1) | instskip(SKIP_3) | instid1(VALU_DEP_1)
	s_or_b32 exec_lo, exec_lo, s16
	v_lshrrev_b16 v162, 8, v22
	s_mov_b32 s13, 0
	s_mov_b32 s17, exec_lo
                                        ; implicit-def: $sgpr16
	v_cmpx_lt_i16_e64 0x7f, v162
	s_xor_b32 s17, exec_lo, s17
	s_cbranch_execnz .LBB4_4390
; %bb.3953:                             ;   in Loop: Header=BB4_3808 Depth=3
	s_or_saveexec_b32 s17, s17
	v_mov_b32_e32 v161, s16
	s_xor_b32 exec_lo, exec_lo, s17
	s_cbranch_execnz .LBB4_4393
.LBB4_3954:                             ;   in Loop: Header=BB4_3808 Depth=3
	s_or_b32 exec_lo, exec_lo, s17
	s_and_saveexec_b32 s16, s13
	s_cbranch_execz .LBB4_3956
.LBB4_3955:                             ;   in Loop: Header=BB4_3808 Depth=3
	v_and_b32_e32 v161, 0xffff, v162
	s_delay_alu instid0(VALU_DEP_1) | instskip(NEXT) | instid1(VALU_DEP_1)
	v_and_b32_e32 v163, 7, v161
	v_clz_i32_u32_e32 v164, v163
	s_delay_alu instid0(VALU_DEP_1) | instskip(NEXT) | instid1(VALU_DEP_1)
	v_min_u32_e32 v164, 32, v164
	v_subrev_nc_u32_e32 v165, 28, v164
	v_sub_nc_u32_e32 v164, 29, v164
	s_delay_alu instid0(VALU_DEP_2) | instskip(SKIP_1) | instid1(VALU_DEP_2)
	v_lshlrev_b32_e32 v165, v165, v161
	v_bfe_u32 v161, v161, 3, 4
	v_and_b32_e32 v165, 7, v165
	s_delay_alu instid0(VALU_DEP_2) | instskip(SKIP_1) | instid1(VALU_DEP_1)
	v_cmp_eq_u32_e32 vcc_lo, 0, v161
	v_dual_cndmask_b32 v161, v161, v164 :: v_dual_lshlrev_b32 v162, 24, v162
	v_dual_cndmask_b32 v163, v163, v165 :: v_dual_and_b32 v162, 0x80000000, v162
	s_delay_alu instid0(VALU_DEP_2) | instskip(NEXT) | instid1(VALU_DEP_2)
	v_lshl_add_u32 v161, v161, 23, 0x3b800000
	v_lshlrev_b32_e32 v163, 20, v163
	s_delay_alu instid0(VALU_DEP_1)
	v_or3_b32 v161, v162, v161, v163
.LBB4_3956:                             ;   in Loop: Header=BB4_3808 Depth=3
	s_or_b32 exec_lo, exec_lo, s16
	v_lshrrev_b16 v162, 8, v18
	s_mov_b32 s13, 0
	s_mov_b32 s17, exec_lo
                                        ; implicit-def: $sgpr16
	s_delay_alu instid0(VALU_DEP_1)
	v_cmpx_lt_i16_e64 0x7f, v162
	s_xor_b32 s17, exec_lo, s17
	s_cbranch_execnz .LBB4_4394
; %bb.3957:                             ;   in Loop: Header=BB4_3808 Depth=3
	s_or_saveexec_b32 s17, s17
	v_mov_b32_e32 v163, s16
	s_xor_b32 exec_lo, exec_lo, s17
	s_cbranch_execnz .LBB4_4397
.LBB4_3958:                             ;   in Loop: Header=BB4_3808 Depth=3
	s_or_b32 exec_lo, exec_lo, s17
	s_and_saveexec_b32 s16, s13
	s_cbranch_execz .LBB4_3960
.LBB4_3959:                             ;   in Loop: Header=BB4_3808 Depth=3
	v_and_b32_e32 v163, 0xffff, v162
	v_lshlrev_b32_e32 v162, 24, v162
	s_delay_alu instid0(VALU_DEP_2) | instskip(NEXT) | instid1(VALU_DEP_2)
	v_and_b32_e32 v164, 7, v163
	v_and_b32_e32 v162, 0x80000000, v162
	s_delay_alu instid0(VALU_DEP_2) | instskip(NEXT) | instid1(VALU_DEP_1)
	v_clz_i32_u32_e32 v165, v164
	v_min_u32_e32 v165, 32, v165
	s_delay_alu instid0(VALU_DEP_1) | instskip(SKIP_1) | instid1(VALU_DEP_2)
	v_subrev_nc_u32_e32 v166, 28, v165
	v_sub_nc_u32_e32 v165, 29, v165
	v_lshlrev_b32_e32 v166, v166, v163
	v_bfe_u32 v163, v163, 3, 4
	s_delay_alu instid0(VALU_DEP_2) | instskip(NEXT) | instid1(VALU_DEP_2)
	v_and_b32_e32 v166, 7, v166
	v_cmp_eq_u32_e32 vcc_lo, 0, v163
	s_delay_alu instid0(VALU_DEP_2) | instskip(NEXT) | instid1(VALU_DEP_1)
	v_dual_cndmask_b32 v163, v163, v165 :: v_dual_cndmask_b32 v164, v164, v166
	v_lshl_add_u32 v163, v163, 23, 0x3b800000
	s_delay_alu instid0(VALU_DEP_2) | instskip(NEXT) | instid1(VALU_DEP_1)
	v_lshlrev_b32_e32 v164, 20, v164
	v_or3_b32 v163, v162, v163, v164
.LBB4_3960:                             ;   in Loop: Header=BB4_3808 Depth=3
	s_or_b32 exec_lo, exec_lo, s16
	s_delay_alu instid0(VALU_DEP_1) | instskip(NEXT) | instid1(VALU_DEP_1)
	v_add_f32_e32 v162, v161, v163
	v_and_b32_e32 v161, 0x7f800000, v162
	s_delay_alu instid0(VALU_DEP_1)
	v_cmp_ne_u32_e32 vcc_lo, 0x7f800000, v161
	v_mov_b32_e32 v161, 0x80
	s_and_saveexec_b32 s16, vcc_lo
	s_cbranch_execz .LBB4_3968
; %bb.3961:                             ;   in Loop: Header=BB4_3808 Depth=3
	v_mov_b32_e32 v161, 0
	s_mov_b32 s17, exec_lo
	v_cmpx_ne_u32_e32 0, v162
	s_cbranch_execz .LBB4_3967
; %bb.3962:                             ;   in Loop: Header=BB4_3808 Depth=3
	v_bfe_u32 v161, v162, 23, 8
	s_delay_alu instid0(VALU_DEP_1) | instskip(SKIP_1) | instid1(VALU_DEP_2)
	v_sub_nc_u32_e32 v164, 0x78, v161
	v_cmp_gt_u32_e32 vcc_lo, 0x79, v161
	v_dual_cndmask_b32 v164, 0, v164 :: v_dual_and_b32 v163, 0x7fffff, v162
	s_delay_alu instid0(VALU_DEP_1) | instskip(SKIP_2) | instid1(VALU_DEP_4)
	v_or_b32_e32 v165, 0x800000, v163
	v_cmp_eq_u32_e32 vcc_lo, 0, v161
	v_add_nc_u32_e32 v161, 0xffffff89, v161
	v_cndmask_b32_e64 v164, v164, 0x77, vcc_lo
	s_delay_alu instid0(VALU_DEP_2) | instskip(SKIP_1) | instid1(VALU_DEP_3)
	v_cndmask_b32_e64 v161, v161, 0xffffff8a, vcc_lo
	v_cndmask_b32_e32 v163, v165, v163, vcc_lo
	v_lshl_add_u32 v165, 0x100000, v164, -1
	v_lshlrev_b32_e64 v176, v164, 0x80000
	s_delay_alu instid0(VALU_DEP_3) | instskip(SKIP_1) | instid1(VALU_DEP_4)
	v_lshrrev_b32_e32 v166, v164, v163
	v_add_nc_u32_e32 v164, v164, v161
	v_and_b32_e32 v163, v165, v163
	s_delay_alu instid0(VALU_DEP_3) | instskip(NEXT) | instid1(VALU_DEP_2)
	v_bfe_u32 v167, v166, 20, 1
	v_cmp_eq_u32_e64 s13, v163, v176
	s_delay_alu instid0(VALU_DEP_2) | instskip(NEXT) | instid1(VALU_DEP_1)
	v_add_nc_u32_e32 v165, -1, v167
	v_cndmask_b32_e64 v163, 0, v165, s13
	v_lshrrev_b32_e32 v165, 23, v166
	s_mov_b32 s13, exec_lo
	s_delay_alu instid0(VALU_DEP_2) | instskip(NEXT) | instid1(VALU_DEP_2)
	v_add_nc_u32_e32 v163, v163, v166
	v_xor_b32_e32 v165, 1, v165
	s_delay_alu instid0(VALU_DEP_2) | instskip(NEXT) | instid1(VALU_DEP_1)
	v_and_b32_e32 v161, 0xfffff, v163
	v_add_nc_u32_e32 v163, v161, v166
                                        ; implicit-def: $vgpr161
	s_delay_alu instid0(VALU_DEP_3)
	v_cmpx_ne_u32_e64 v164, v165
	s_xor_b32 s13, exec_lo, s13
; %bb.3963:                             ;   in Loop: Header=BB4_3808 Depth=3
	s_delay_alu instid0(VALU_DEP_2) | instskip(SKIP_2) | instid1(VALU_DEP_2)
	v_cmp_lt_u32_e32 vcc_lo, 0xffffff, v163
	v_sub_nc_u32_e32 v161, v164, v165
	v_cndmask_b32_e64 v164, 0, 1, vcc_lo
	v_add_co_ci_u32_e32 v161, vcc_lo, 0, v161, vcc_lo
	s_delay_alu instid0(VALU_DEP_2)
	v_lshrrev_b32_e32 v163, v164, v163
; %bb.3964:                             ;   in Loop: Header=BB4_3808 Depth=3
	s_and_not1_saveexec_b32 s13, s13
; %bb.3965:                             ;   in Loop: Header=BB4_3808 Depth=3
	s_delay_alu instid0(VALU_DEP_1)
	v_bfe_u32 v161, v163, 23, 1
; %bb.3966:                             ;   in Loop: Header=BB4_3808 Depth=3
	s_or_b32 exec_lo, exec_lo, s13
	v_lshrrev_b32_e32 v163, 20, v163
	s_delay_alu instid0(VALU_DEP_2) | instskip(SKIP_2) | instid1(VALU_DEP_2)
	v_cmp_gt_i32_e32 vcc_lo, 16, v161
	v_lshrrev_b32_e32 v162, 24, v162
	v_min_i32_e32 v164, 15, v161
	v_dual_cndmask_b32 v163, 7, v163 :: v_dual_and_b32 v162, 0x80, v162
	s_delay_alu instid0(VALU_DEP_1) | instskip(SKIP_1) | instid1(VALU_DEP_2)
	v_or_b32_e32 v161, v161, v163
	v_and_b32_e32 v165, 7, v163
	v_cmp_ne_u32_e32 vcc_lo, 0, v161
	v_lshlrev_b32_e32 v164, 3, v164
	s_delay_alu instid0(VALU_DEP_1) | instskip(NEXT) | instid1(VALU_DEP_1)
	v_or3_b32 v162, v164, v162, v165
	v_cndmask_b32_e32 v161, 0, v162, vcc_lo
.LBB4_3967:                             ;   in Loop: Header=BB4_3808 Depth=3
	s_or_b32 exec_lo, exec_lo, s17
.LBB4_3968:                             ;   in Loop: Header=BB4_3808 Depth=3
	s_delay_alu instid0(SALU_CYCLE_1) | instskip(SKIP_3) | instid1(VALU_DEP_1)
	s_or_b32 exec_lo, exec_lo, s16
	v_lshrrev_b32_e32 v163, 16, v22
	s_mov_b32 s13, 0
	s_mov_b32 s17, exec_lo
                                        ; implicit-def: $sgpr16
	v_and_b32_e32 v164, 0xff, v163
	s_delay_alu instid0(VALU_DEP_1)
	v_cmpx_lt_i16_e64 0x7f, v164
	s_xor_b32 s17, exec_lo, s17
	s_cbranch_execnz .LBB4_4398
; %bb.3969:                             ;   in Loop: Header=BB4_3808 Depth=3
	s_or_saveexec_b32 s17, s17
	v_mov_b32_e32 v162, s16
	s_xor_b32 exec_lo, exec_lo, s17
	s_cbranch_execnz .LBB4_4401
.LBB4_3970:                             ;   in Loop: Header=BB4_3808 Depth=3
	s_or_b32 exec_lo, exec_lo, s17
	s_and_saveexec_b32 s16, s13
	s_cbranch_execz .LBB4_3972
.LBB4_3971:                             ;   in Loop: Header=BB4_3808 Depth=3
	v_bfe_u32 v162, v22, 16, 3
	v_lshlrev_b32_e32 v166, 8, v22
	s_delay_alu instid0(VALU_DEP_2) | instskip(NEXT) | instid1(VALU_DEP_1)
	v_clz_i32_u32_e32 v164, v162
	v_min_u32_e32 v164, 32, v164
	s_delay_alu instid0(VALU_DEP_1) | instskip(SKIP_1) | instid1(VALU_DEP_2)
	v_subrev_nc_u32_e32 v165, 28, v164
	v_sub_nc_u32_e32 v164, 29, v164
	v_lshlrev_b32_e32 v163, v165, v163
	v_bfe_u32 v165, v22, 19, 4
	s_delay_alu instid0(VALU_DEP_1) | instskip(NEXT) | instid1(VALU_DEP_3)
	v_cmp_eq_u32_e32 vcc_lo, 0, v165
	v_dual_cndmask_b32 v164, v165, v164 :: v_dual_and_b32 v163, 7, v163
	s_delay_alu instid0(VALU_DEP_1) | instskip(NEXT) | instid1(VALU_DEP_2)
	v_dual_cndmask_b32 v162, v162, v163 :: v_dual_and_b32 v163, 0x80000000, v166
	v_lshl_add_u32 v164, v164, 23, 0x3b800000
	s_delay_alu instid0(VALU_DEP_2) | instskip(NEXT) | instid1(VALU_DEP_1)
	v_lshlrev_b32_e32 v162, 20, v162
	v_or3_b32 v162, v163, v164, v162
.LBB4_3972:                             ;   in Loop: Header=BB4_3808 Depth=3
	s_or_b32 exec_lo, exec_lo, s16
	v_lshrrev_b32_e32 v163, 16, v18
	s_mov_b32 s13, 0
	s_mov_b32 s17, exec_lo
                                        ; implicit-def: $sgpr16
	s_delay_alu instid0(VALU_DEP_1) | instskip(NEXT) | instid1(VALU_DEP_1)
	v_and_b32_e32 v165, 0xff, v163
	v_cmpx_lt_i16_e64 0x7f, v165
	s_xor_b32 s17, exec_lo, s17
	s_cbranch_execnz .LBB4_4402
; %bb.3973:                             ;   in Loop: Header=BB4_3808 Depth=3
	s_or_saveexec_b32 s17, s17
	v_mov_b32_e32 v164, s16
	s_xor_b32 exec_lo, exec_lo, s17
	s_cbranch_execnz .LBB4_4405
.LBB4_3974:                             ;   in Loop: Header=BB4_3808 Depth=3
	s_or_b32 exec_lo, exec_lo, s17
	s_and_saveexec_b32 s16, s13
	s_cbranch_execz .LBB4_3976
.LBB4_3975:                             ;   in Loop: Header=BB4_3808 Depth=3
	v_bfe_u32 v164, v18, 16, 3
	v_lshlrev_b32_e32 v167, 8, v18
	s_delay_alu instid0(VALU_DEP_2) | instskip(NEXT) | instid1(VALU_DEP_1)
	v_clz_i32_u32_e32 v165, v164
	v_min_u32_e32 v165, 32, v165
	s_delay_alu instid0(VALU_DEP_1) | instskip(SKIP_1) | instid1(VALU_DEP_2)
	v_subrev_nc_u32_e32 v166, 28, v165
	v_sub_nc_u32_e32 v165, 29, v165
	v_lshlrev_b32_e32 v163, v166, v163
	v_bfe_u32 v166, v18, 19, 4
	s_delay_alu instid0(VALU_DEP_2) | instskip(NEXT) | instid1(VALU_DEP_2)
	v_and_b32_e32 v163, 7, v163
	v_cmp_eq_u32_e32 vcc_lo, 0, v166
	v_cndmask_b32_e32 v165, v166, v165, vcc_lo
	s_delay_alu instid0(VALU_DEP_3) | instskip(SKIP_1) | instid1(VALU_DEP_3)
	v_cndmask_b32_e32 v163, v164, v163, vcc_lo
	v_and_b32_e32 v164, 0x80000000, v167
	v_lshl_add_u32 v165, v165, 23, 0x3b800000
	s_delay_alu instid0(VALU_DEP_3) | instskip(NEXT) | instid1(VALU_DEP_1)
	v_lshlrev_b32_e32 v163, 20, v163
	v_or3_b32 v164, v164, v165, v163
.LBB4_3976:                             ;   in Loop: Header=BB4_3808 Depth=3
	s_or_b32 exec_lo, exec_lo, s16
	s_delay_alu instid0(VALU_DEP_1) | instskip(NEXT) | instid1(VALU_DEP_1)
	v_add_f32_e32 v163, v162, v164
	v_and_b32_e32 v162, 0x7f800000, v163
	s_delay_alu instid0(VALU_DEP_1)
	v_cmp_ne_u32_e32 vcc_lo, 0x7f800000, v162
	v_mov_b32_e32 v162, 0x80
	s_and_saveexec_b32 s16, vcc_lo
	s_cbranch_execz .LBB4_3984
; %bb.3977:                             ;   in Loop: Header=BB4_3808 Depth=3
	v_mov_b32_e32 v162, 0
	s_mov_b32 s17, exec_lo
	v_cmpx_ne_u32_e32 0, v163
	s_cbranch_execz .LBB4_3983
; %bb.3978:                             ;   in Loop: Header=BB4_3808 Depth=3
	v_bfe_u32 v162, v163, 23, 8
	s_delay_alu instid0(VALU_DEP_1) | instskip(SKIP_1) | instid1(VALU_DEP_2)
	v_sub_nc_u32_e32 v165, 0x78, v162
	v_cmp_gt_u32_e32 vcc_lo, 0x79, v162
	v_dual_cndmask_b32 v165, 0, v165 :: v_dual_and_b32 v164, 0x7fffff, v163
	s_delay_alu instid0(VALU_DEP_1) | instskip(SKIP_2) | instid1(VALU_DEP_4)
	v_or_b32_e32 v166, 0x800000, v164
	v_cmp_eq_u32_e32 vcc_lo, 0, v162
	v_add_nc_u32_e32 v162, 0xffffff89, v162
	v_cndmask_b32_e64 v165, v165, 0x77, vcc_lo
	s_delay_alu instid0(VALU_DEP_2) | instskip(SKIP_1) | instid1(VALU_DEP_3)
	v_cndmask_b32_e64 v162, v162, 0xffffff8a, vcc_lo
	v_cndmask_b32_e32 v164, v166, v164, vcc_lo
	v_lshl_add_u32 v166, 0x100000, v165, -1
	v_lshlrev_b32_e64 v177, v165, 0x80000
	s_delay_alu instid0(VALU_DEP_3) | instskip(SKIP_1) | instid1(VALU_DEP_4)
	v_lshrrev_b32_e32 v167, v165, v164
	v_add_nc_u32_e32 v165, v165, v162
	v_and_b32_e32 v164, v166, v164
	s_delay_alu instid0(VALU_DEP_3) | instskip(NEXT) | instid1(VALU_DEP_2)
	v_bfe_u32 v176, v167, 20, 1
	v_cmp_eq_u32_e64 s13, v164, v177
	s_delay_alu instid0(VALU_DEP_2) | instskip(NEXT) | instid1(VALU_DEP_1)
	v_add_nc_u32_e32 v166, -1, v176
	v_cndmask_b32_e64 v164, 0, v166, s13
	v_lshrrev_b32_e32 v166, 23, v167
	s_mov_b32 s13, exec_lo
	s_delay_alu instid0(VALU_DEP_2) | instskip(NEXT) | instid1(VALU_DEP_2)
	v_add_nc_u32_e32 v164, v164, v167
	v_xor_b32_e32 v166, 1, v166
	s_delay_alu instid0(VALU_DEP_2) | instskip(NEXT) | instid1(VALU_DEP_1)
	v_and_b32_e32 v162, 0xfffff, v164
	v_add_nc_u32_e32 v164, v162, v167
                                        ; implicit-def: $vgpr162
	s_delay_alu instid0(VALU_DEP_3)
	v_cmpx_ne_u32_e64 v165, v166
	s_xor_b32 s13, exec_lo, s13
; %bb.3979:                             ;   in Loop: Header=BB4_3808 Depth=3
	s_delay_alu instid0(VALU_DEP_2) | instskip(SKIP_2) | instid1(VALU_DEP_2)
	v_cmp_lt_u32_e32 vcc_lo, 0xffffff, v164
	v_sub_nc_u32_e32 v162, v165, v166
	v_cndmask_b32_e64 v165, 0, 1, vcc_lo
	v_add_co_ci_u32_e32 v162, vcc_lo, 0, v162, vcc_lo
	s_delay_alu instid0(VALU_DEP_2)
	v_lshrrev_b32_e32 v164, v165, v164
; %bb.3980:                             ;   in Loop: Header=BB4_3808 Depth=3
	s_and_not1_saveexec_b32 s13, s13
; %bb.3981:                             ;   in Loop: Header=BB4_3808 Depth=3
	s_delay_alu instid0(VALU_DEP_1)
	v_bfe_u32 v162, v164, 23, 1
; %bb.3982:                             ;   in Loop: Header=BB4_3808 Depth=3
	s_or_b32 exec_lo, exec_lo, s13
	v_lshrrev_b32_e32 v164, 20, v164
	s_delay_alu instid0(VALU_DEP_2) | instskip(SKIP_2) | instid1(VALU_DEP_2)
	v_cmp_gt_i32_e32 vcc_lo, 16, v162
	v_lshrrev_b32_e32 v163, 24, v163
	v_min_i32_e32 v165, 15, v162
	v_dual_cndmask_b32 v164, 7, v164 :: v_dual_and_b32 v163, 0x80, v163
	s_delay_alu instid0(VALU_DEP_1) | instskip(SKIP_1) | instid1(VALU_DEP_2)
	v_or_b32_e32 v162, v162, v164
	v_and_b32_e32 v166, 7, v164
	v_cmp_ne_u32_e32 vcc_lo, 0, v162
	v_lshlrev_b32_e32 v165, 3, v165
	s_delay_alu instid0(VALU_DEP_1) | instskip(NEXT) | instid1(VALU_DEP_1)
	v_or3_b32 v163, v165, v163, v166
	v_cndmask_b32_e32 v162, 0, v163, vcc_lo
.LBB4_3983:                             ;   in Loop: Header=BB4_3808 Depth=3
	s_or_b32 exec_lo, exec_lo, s17
.LBB4_3984:                             ;   in Loop: Header=BB4_3808 Depth=3
	s_delay_alu instid0(SALU_CYCLE_1) | instskip(SKIP_3) | instid1(VALU_DEP_1)
	s_or_b32 exec_lo, exec_lo, s16
	v_lshrrev_b32_e32 v164, 24, v22
	s_mov_b32 s13, 0
	s_mov_b32 s17, exec_lo
                                        ; implicit-def: $sgpr16
	v_cmpx_lt_i16_e64 0x7f, v164
	s_xor_b32 s17, exec_lo, s17
	s_cbranch_execnz .LBB4_4406
; %bb.3985:                             ;   in Loop: Header=BB4_3808 Depth=3
	s_or_saveexec_b32 s17, s17
	v_mov_b32_e32 v163, s16
	s_xor_b32 exec_lo, exec_lo, s17
	s_cbranch_execnz .LBB4_4409
.LBB4_3986:                             ;   in Loop: Header=BB4_3808 Depth=3
	s_or_b32 exec_lo, exec_lo, s17
	s_and_saveexec_b32 s16, s13
	s_cbranch_execz .LBB4_3988
.LBB4_3987:                             ;   in Loop: Header=BB4_3808 Depth=3
	v_bfe_u32 v163, v22, 24, 3
	s_delay_alu instid0(VALU_DEP_1) | instskip(NEXT) | instid1(VALU_DEP_1)
	v_clz_i32_u32_e32 v165, v163
	v_min_u32_e32 v165, 32, v165
	s_delay_alu instid0(VALU_DEP_1) | instskip(SKIP_1) | instid1(VALU_DEP_2)
	v_subrev_nc_u32_e32 v166, 28, v165
	v_sub_nc_u32_e32 v165, 29, v165
	v_lshlrev_b32_e32 v164, v166, v164
	v_bfe_u32 v166, v22, 27, 4
	v_and_b32_e32 v22, 0x80000000, v22
	s_delay_alu instid0(VALU_DEP_2) | instskip(NEXT) | instid1(VALU_DEP_4)
	v_cmp_eq_u32_e32 vcc_lo, 0, v166
	v_dual_cndmask_b32 v165, v166, v165 :: v_dual_and_b32 v164, 7, v164
	s_delay_alu instid0(VALU_DEP_1) | instskip(NEXT) | instid1(VALU_DEP_2)
	v_cndmask_b32_e32 v163, v163, v164, vcc_lo
	v_lshl_add_u32 v164, v165, 23, 0x3b800000
	s_delay_alu instid0(VALU_DEP_2) | instskip(NEXT) | instid1(VALU_DEP_1)
	v_lshlrev_b32_e32 v163, 20, v163
	v_or3_b32 v163, v22, v164, v163
.LBB4_3988:                             ;   in Loop: Header=BB4_3808 Depth=3
	s_or_b32 exec_lo, exec_lo, s16
	v_lshrrev_b32_e32 v22, 24, v18
	s_mov_b32 s13, 0
	s_mov_b32 s17, exec_lo
                                        ; implicit-def: $sgpr16
	s_delay_alu instid0(VALU_DEP_1)
	v_cmpx_lt_i16_e32 0x7f, v22
	s_xor_b32 s17, exec_lo, s17
	s_cbranch_execnz .LBB4_4410
; %bb.3989:                             ;   in Loop: Header=BB4_3808 Depth=3
	s_or_saveexec_b32 s17, s17
	v_mov_b32_e32 v164, s16
	s_xor_b32 exec_lo, exec_lo, s17
	s_cbranch_execnz .LBB4_4413
.LBB4_3990:                             ;   in Loop: Header=BB4_3808 Depth=3
	s_or_b32 exec_lo, exec_lo, s17
	s_and_saveexec_b32 s16, s13
	s_cbranch_execz .LBB4_3992
.LBB4_3991:                             ;   in Loop: Header=BB4_3808 Depth=3
	v_bfe_u32 v164, v18, 24, 3
	s_delay_alu instid0(VALU_DEP_1) | instskip(NEXT) | instid1(VALU_DEP_1)
	v_clz_i32_u32_e32 v165, v164
	v_min_u32_e32 v165, 32, v165
	s_delay_alu instid0(VALU_DEP_1) | instskip(SKIP_1) | instid1(VALU_DEP_2)
	v_subrev_nc_u32_e32 v166, 28, v165
	v_sub_nc_u32_e32 v165, 29, v165
	v_lshlrev_b32_e32 v22, v166, v22
	v_bfe_u32 v166, v18, 27, 4
	v_and_b32_e32 v18, 0x80000000, v18
	s_delay_alu instid0(VALU_DEP_2) | instskip(NEXT) | instid1(VALU_DEP_4)
	v_cmp_eq_u32_e32 vcc_lo, 0, v166
	v_dual_cndmask_b32 v165, v166, v165 :: v_dual_and_b32 v22, 7, v22
	s_delay_alu instid0(VALU_DEP_1) | instskip(NEXT) | instid1(VALU_DEP_2)
	v_cndmask_b32_e32 v22, v164, v22, vcc_lo
	v_lshl_add_u32 v164, v165, 23, 0x3b800000
	s_delay_alu instid0(VALU_DEP_2) | instskip(NEXT) | instid1(VALU_DEP_1)
	v_lshlrev_b32_e32 v22, 20, v22
	v_or3_b32 v164, v18, v164, v22
.LBB4_3992:                             ;   in Loop: Header=BB4_3808 Depth=3
	s_or_b32 exec_lo, exec_lo, s16
	s_delay_alu instid0(VALU_DEP_1) | instskip(NEXT) | instid1(VALU_DEP_1)
	v_add_f32_e32 v22, v163, v164
	v_and_b32_e32 v18, 0x7f800000, v22
	s_delay_alu instid0(VALU_DEP_1)
	v_cmp_ne_u32_e32 vcc_lo, 0x7f800000, v18
	v_mov_b32_e32 v18, 0x80
	s_and_saveexec_b32 s16, vcc_lo
	s_cbranch_execz .LBB4_4000
; %bb.3993:                             ;   in Loop: Header=BB4_3808 Depth=3
	v_mov_b32_e32 v18, 0
	s_mov_b32 s17, exec_lo
	v_cmpx_ne_u32_e32 0, v22
	s_cbranch_execz .LBB4_3999
; %bb.3994:                             ;   in Loop: Header=BB4_3808 Depth=3
	v_bfe_u32 v18, v22, 23, 8
	s_delay_alu instid0(VALU_DEP_1) | instskip(SKIP_1) | instid1(VALU_DEP_2)
	v_sub_nc_u32_e32 v164, 0x78, v18
	v_cmp_gt_u32_e32 vcc_lo, 0x79, v18
	v_dual_cndmask_b32 v164, 0, v164 :: v_dual_and_b32 v163, 0x7fffff, v22
	s_delay_alu instid0(VALU_DEP_1) | instskip(SKIP_2) | instid1(VALU_DEP_4)
	v_or_b32_e32 v165, 0x800000, v163
	v_cmp_eq_u32_e32 vcc_lo, 0, v18
	v_add_nc_u32_e32 v18, 0xffffff89, v18
	v_cndmask_b32_e64 v164, v164, 0x77, vcc_lo
	s_delay_alu instid0(VALU_DEP_4) | instskip(NEXT) | instid1(VALU_DEP_3)
	v_cndmask_b32_e32 v163, v165, v163, vcc_lo
	v_cndmask_b32_e64 v18, v18, 0xffffff8a, vcc_lo
	s_delay_alu instid0(VALU_DEP_3) | instskip(NEXT) | instid1(VALU_DEP_3)
	v_lshl_add_u32 v165, 0x100000, v164, -1
	v_lshrrev_b32_e32 v166, v164, v163
	v_lshlrev_b32_e64 v176, v164, 0x80000
	s_delay_alu instid0(VALU_DEP_4) | instskip(NEXT) | instid1(VALU_DEP_4)
	v_add_nc_u32_e32 v164, v164, v18
	v_and_b32_e32 v163, v165, v163
	s_delay_alu instid0(VALU_DEP_4) | instskip(NEXT) | instid1(VALU_DEP_2)
	v_bfe_u32 v167, v166, 20, 1
	v_cmp_eq_u32_e64 s13, v163, v176
	s_delay_alu instid0(VALU_DEP_2) | instskip(NEXT) | instid1(VALU_DEP_1)
	v_add_nc_u32_e32 v165, -1, v167
	v_cndmask_b32_e64 v163, 0, v165, s13
	v_lshrrev_b32_e32 v165, 23, v166
	s_mov_b32 s13, exec_lo
	s_delay_alu instid0(VALU_DEP_2) | instskip(NEXT) | instid1(VALU_DEP_2)
	v_add_nc_u32_e32 v163, v163, v166
	v_xor_b32_e32 v165, 1, v165
	s_delay_alu instid0(VALU_DEP_2) | instskip(NEXT) | instid1(VALU_DEP_1)
	v_and_b32_e32 v18, 0xfffff, v163
	v_add_nc_u32_e32 v163, v18, v166
                                        ; implicit-def: $vgpr18
	s_delay_alu instid0(VALU_DEP_3)
	v_cmpx_ne_u32_e64 v164, v165
	s_xor_b32 s13, exec_lo, s13
; %bb.3995:                             ;   in Loop: Header=BB4_3808 Depth=3
	s_delay_alu instid0(VALU_DEP_2) | instskip(SKIP_2) | instid1(VALU_DEP_2)
	v_cmp_lt_u32_e32 vcc_lo, 0xffffff, v163
	v_sub_nc_u32_e32 v18, v164, v165
	v_cndmask_b32_e64 v164, 0, 1, vcc_lo
	v_add_co_ci_u32_e32 v18, vcc_lo, 0, v18, vcc_lo
	s_delay_alu instid0(VALU_DEP_2)
	v_lshrrev_b32_e32 v163, v164, v163
; %bb.3996:                             ;   in Loop: Header=BB4_3808 Depth=3
	s_and_not1_saveexec_b32 s13, s13
; %bb.3997:                             ;   in Loop: Header=BB4_3808 Depth=3
	s_delay_alu instid0(VALU_DEP_1)
	v_bfe_u32 v18, v163, 23, 1
; %bb.3998:                             ;   in Loop: Header=BB4_3808 Depth=3
	s_or_b32 exec_lo, exec_lo, s13
	v_lshrrev_b32_e32 v163, 20, v163
	s_delay_alu instid0(VALU_DEP_2) | instskip(SKIP_2) | instid1(VALU_DEP_2)
	v_cmp_gt_i32_e32 vcc_lo, 16, v18
	v_lshrrev_b32_e32 v22, 24, v22
	v_min_i32_e32 v164, 15, v18
	v_dual_cndmask_b32 v163, 7, v163 :: v_dual_and_b32 v22, 0x80, v22
	s_delay_alu instid0(VALU_DEP_2) | instskip(NEXT) | instid1(VALU_DEP_2)
	v_lshlrev_b32_e32 v164, 3, v164
	v_or_b32_e32 v18, v18, v163
	s_delay_alu instid0(VALU_DEP_1) | instskip(SKIP_1) | instid1(VALU_DEP_1)
	v_cmp_ne_u32_e32 vcc_lo, 0, v18
	v_and_b32_e32 v165, 7, v163
	v_or3_b32 v22, v164, v22, v165
	s_delay_alu instid0(VALU_DEP_1)
	v_cndmask_b32_e32 v18, 0, v22, vcc_lo
.LBB4_3999:                             ;   in Loop: Header=BB4_3808 Depth=3
	s_or_b32 exec_lo, exec_lo, s17
.LBB4_4000:                             ;   in Loop: Header=BB4_3808 Depth=3
	s_delay_alu instid0(SALU_CYCLE_1) | instskip(SKIP_3) | instid1(VALU_DEP_1)
	s_or_b32 exec_lo, exec_lo, s16
	v_and_b32_e32 v163, 0xff, v23
	s_mov_b32 s13, 0
	s_mov_b32 s17, exec_lo
                                        ; implicit-def: $sgpr16
	v_cmpx_lt_i16_e64 0x7f, v163
	s_xor_b32 s17, exec_lo, s17
	s_cbranch_execnz .LBB4_4414
; %bb.4001:                             ;   in Loop: Header=BB4_3808 Depth=3
	s_or_saveexec_b32 s17, s17
	v_mov_b32_e32 v22, s16
	s_xor_b32 exec_lo, exec_lo, s17
	s_cbranch_execnz .LBB4_4417
.LBB4_4002:                             ;   in Loop: Header=BB4_3808 Depth=3
	s_or_b32 exec_lo, exec_lo, s17
	s_and_saveexec_b32 s16, s13
	s_cbranch_execz .LBB4_4004
.LBB4_4003:                             ;   in Loop: Header=BB4_3808 Depth=3
	v_and_b32_e32 v22, 7, v23
	v_bfe_u32 v165, v23, 3, 4
	v_lshlrev_b32_e32 v166, 24, v23
	s_delay_alu instid0(VALU_DEP_3) | instskip(NEXT) | instid1(VALU_DEP_3)
	v_clz_i32_u32_e32 v163, v22
	v_cmp_eq_u32_e32 vcc_lo, 0, v165
	s_delay_alu instid0(VALU_DEP_2) | instskip(NEXT) | instid1(VALU_DEP_1)
	v_min_u32_e32 v163, 32, v163
	v_subrev_nc_u32_e32 v164, 28, v163
	v_sub_nc_u32_e32 v163, 29, v163
	s_delay_alu instid0(VALU_DEP_2) | instskip(NEXT) | instid1(VALU_DEP_1)
	v_lshlrev_b32_e32 v164, v164, v23
	v_dual_cndmask_b32 v163, v165, v163 :: v_dual_and_b32 v164, 7, v164
	s_delay_alu instid0(VALU_DEP_1) | instskip(NEXT) | instid1(VALU_DEP_2)
	v_lshl_add_u32 v163, v163, 23, 0x3b800000
	v_cndmask_b32_e32 v22, v22, v164, vcc_lo
	v_and_b32_e32 v164, 0x80000000, v166
	s_delay_alu instid0(VALU_DEP_2) | instskip(NEXT) | instid1(VALU_DEP_1)
	v_lshlrev_b32_e32 v22, 20, v22
	v_or3_b32 v22, v164, v163, v22
.LBB4_4004:                             ;   in Loop: Header=BB4_3808 Depth=3
	s_or_b32 exec_lo, exec_lo, s16
	v_and_b32_e32 v164, 0xff, v19
	s_mov_b32 s13, 0
	s_mov_b32 s17, exec_lo
                                        ; implicit-def: $sgpr16
	s_delay_alu instid0(VALU_DEP_1)
	v_cmpx_lt_i16_e64 0x7f, v164
	s_xor_b32 s17, exec_lo, s17
	s_cbranch_execnz .LBB4_4418
; %bb.4005:                             ;   in Loop: Header=BB4_3808 Depth=3
	s_or_saveexec_b32 s17, s17
	v_mov_b32_e32 v163, s16
	s_xor_b32 exec_lo, exec_lo, s17
	s_cbranch_execnz .LBB4_4421
.LBB4_4006:                             ;   in Loop: Header=BB4_3808 Depth=3
	s_or_b32 exec_lo, exec_lo, s17
	s_and_saveexec_b32 s16, s13
	s_cbranch_execz .LBB4_4008
.LBB4_4007:                             ;   in Loop: Header=BB4_3808 Depth=3
	v_bfe_u32 v166, v19, 3, 4
	v_lshlrev_b32_e32 v167, 24, v19
	s_delay_alu instid0(VALU_DEP_2) | instskip(SKIP_1) | instid1(VALU_DEP_1)
	v_cmp_eq_u32_e32 vcc_lo, 0, v166
	v_and_b32_e32 v163, 7, v19
	v_clz_i32_u32_e32 v164, v163
	s_delay_alu instid0(VALU_DEP_1) | instskip(NEXT) | instid1(VALU_DEP_1)
	v_min_u32_e32 v164, 32, v164
	v_subrev_nc_u32_e32 v165, 28, v164
	v_sub_nc_u32_e32 v164, 29, v164
	s_delay_alu instid0(VALU_DEP_1) | instskip(NEXT) | instid1(VALU_DEP_1)
	v_dual_cndmask_b32 v164, v166, v164 :: v_dual_lshlrev_b32 v165, v165, v19
	v_and_b32_e32 v165, 7, v165
	s_delay_alu instid0(VALU_DEP_2) | instskip(NEXT) | instid1(VALU_DEP_2)
	v_lshl_add_u32 v164, v164, 23, 0x3b800000
	v_cndmask_b32_e32 v163, v163, v165, vcc_lo
	v_and_b32_e32 v165, 0x80000000, v167
	s_delay_alu instid0(VALU_DEP_2) | instskip(NEXT) | instid1(VALU_DEP_1)
	v_lshlrev_b32_e32 v163, 20, v163
	v_or3_b32 v163, v165, v164, v163
.LBB4_4008:                             ;   in Loop: Header=BB4_3808 Depth=3
	s_or_b32 exec_lo, exec_lo, s16
	s_delay_alu instid0(VALU_DEP_1) | instskip(NEXT) | instid1(VALU_DEP_1)
	v_add_f32_e32 v163, v22, v163
	v_and_b32_e32 v22, 0x7f800000, v163
	s_delay_alu instid0(VALU_DEP_1)
	v_cmp_ne_u32_e32 vcc_lo, 0x7f800000, v22
	v_mov_b32_e32 v22, 0x80
	s_and_saveexec_b32 s16, vcc_lo
	s_cbranch_execz .LBB4_4016
; %bb.4009:                             ;   in Loop: Header=BB4_3808 Depth=3
	v_mov_b32_e32 v22, 0
	s_mov_b32 s17, exec_lo
	v_cmpx_ne_u32_e32 0, v163
	s_cbranch_execz .LBB4_4015
; %bb.4010:                             ;   in Loop: Header=BB4_3808 Depth=3
	v_bfe_u32 v22, v163, 23, 8
	s_delay_alu instid0(VALU_DEP_1) | instskip(SKIP_1) | instid1(VALU_DEP_2)
	v_sub_nc_u32_e32 v165, 0x78, v22
	v_cmp_gt_u32_e32 vcc_lo, 0x79, v22
	v_dual_cndmask_b32 v165, 0, v165 :: v_dual_and_b32 v164, 0x7fffff, v163
	s_delay_alu instid0(VALU_DEP_1) | instskip(SKIP_2) | instid1(VALU_DEP_4)
	v_or_b32_e32 v166, 0x800000, v164
	v_cmp_eq_u32_e32 vcc_lo, 0, v22
	v_add_nc_u32_e32 v22, 0xffffff89, v22
	v_cndmask_b32_e64 v165, v165, 0x77, vcc_lo
	s_delay_alu instid0(VALU_DEP_2) | instskip(SKIP_1) | instid1(VALU_DEP_3)
	v_cndmask_b32_e64 v22, v22, 0xffffff8a, vcc_lo
	v_cndmask_b32_e32 v164, v166, v164, vcc_lo
	v_lshl_add_u32 v166, 0x100000, v165, -1
	v_lshlrev_b32_e64 v177, v165, 0x80000
	s_delay_alu instid0(VALU_DEP_3) | instskip(SKIP_1) | instid1(VALU_DEP_4)
	v_lshrrev_b32_e32 v167, v165, v164
	v_add_nc_u32_e32 v165, v165, v22
	v_and_b32_e32 v164, v166, v164
	s_delay_alu instid0(VALU_DEP_3) | instskip(NEXT) | instid1(VALU_DEP_2)
	v_bfe_u32 v176, v167, 20, 1
	v_cmp_eq_u32_e64 s13, v164, v177
	s_delay_alu instid0(VALU_DEP_2) | instskip(NEXT) | instid1(VALU_DEP_1)
	v_add_nc_u32_e32 v166, -1, v176
	v_cndmask_b32_e64 v164, 0, v166, s13
	v_lshrrev_b32_e32 v166, 23, v167
	s_mov_b32 s13, exec_lo
	s_delay_alu instid0(VALU_DEP_2) | instskip(NEXT) | instid1(VALU_DEP_2)
	v_add_nc_u32_e32 v164, v164, v167
	v_xor_b32_e32 v166, 1, v166
	s_delay_alu instid0(VALU_DEP_2) | instskip(NEXT) | instid1(VALU_DEP_1)
	v_and_b32_e32 v22, 0xfffff, v164
	v_add_nc_u32_e32 v164, v22, v167
                                        ; implicit-def: $vgpr22
	s_delay_alu instid0(VALU_DEP_3)
	v_cmpx_ne_u32_e64 v165, v166
	s_xor_b32 s13, exec_lo, s13
; %bb.4011:                             ;   in Loop: Header=BB4_3808 Depth=3
	s_delay_alu instid0(VALU_DEP_2) | instskip(SKIP_2) | instid1(VALU_DEP_2)
	v_cmp_lt_u32_e32 vcc_lo, 0xffffff, v164
	v_sub_nc_u32_e32 v22, v165, v166
	v_cndmask_b32_e64 v165, 0, 1, vcc_lo
	v_add_co_ci_u32_e32 v22, vcc_lo, 0, v22, vcc_lo
	s_delay_alu instid0(VALU_DEP_2)
	v_lshrrev_b32_e32 v164, v165, v164
; %bb.4012:                             ;   in Loop: Header=BB4_3808 Depth=3
	s_and_not1_saveexec_b32 s13, s13
; %bb.4013:                             ;   in Loop: Header=BB4_3808 Depth=3
	s_delay_alu instid0(VALU_DEP_1)
	v_bfe_u32 v22, v164, 23, 1
; %bb.4014:                             ;   in Loop: Header=BB4_3808 Depth=3
	s_or_b32 exec_lo, exec_lo, s13
	v_lshrrev_b32_e32 v164, 20, v164
	s_delay_alu instid0(VALU_DEP_2) | instskip(SKIP_2) | instid1(VALU_DEP_2)
	v_cmp_gt_i32_e32 vcc_lo, 16, v22
	v_lshrrev_b32_e32 v163, 24, v163
	v_min_i32_e32 v165, 15, v22
	v_dual_cndmask_b32 v164, 7, v164 :: v_dual_and_b32 v163, 0x80, v163
	s_delay_alu instid0(VALU_DEP_1) | instskip(SKIP_1) | instid1(VALU_DEP_2)
	v_or_b32_e32 v22, v22, v164
	v_and_b32_e32 v166, 7, v164
	v_cmp_ne_u32_e32 vcc_lo, 0, v22
	v_lshlrev_b32_e32 v165, 3, v165
	s_delay_alu instid0(VALU_DEP_1) | instskip(NEXT) | instid1(VALU_DEP_1)
	v_or3_b32 v163, v165, v163, v166
	v_cndmask_b32_e32 v22, 0, v163, vcc_lo
.LBB4_4015:                             ;   in Loop: Header=BB4_3808 Depth=3
	s_or_b32 exec_lo, exec_lo, s17
.LBB4_4016:                             ;   in Loop: Header=BB4_3808 Depth=3
	s_delay_alu instid0(SALU_CYCLE_1) | instskip(SKIP_3) | instid1(VALU_DEP_1)
	s_or_b32 exec_lo, exec_lo, s16
	v_lshrrev_b16 v164, 8, v23
	s_mov_b32 s13, 0
	s_mov_b32 s17, exec_lo
                                        ; implicit-def: $sgpr16
	v_cmpx_lt_i16_e64 0x7f, v164
	s_xor_b32 s17, exec_lo, s17
	s_cbranch_execnz .LBB4_4422
; %bb.4017:                             ;   in Loop: Header=BB4_3808 Depth=3
	s_or_saveexec_b32 s17, s17
	v_mov_b32_e32 v163, s16
	s_xor_b32 exec_lo, exec_lo, s17
	s_cbranch_execnz .LBB4_4425
.LBB4_4018:                             ;   in Loop: Header=BB4_3808 Depth=3
	s_or_b32 exec_lo, exec_lo, s17
	s_and_saveexec_b32 s16, s13
	s_cbranch_execz .LBB4_4020
.LBB4_4019:                             ;   in Loop: Header=BB4_3808 Depth=3
	v_and_b32_e32 v163, 0xffff, v164
	s_delay_alu instid0(VALU_DEP_1) | instskip(NEXT) | instid1(VALU_DEP_1)
	v_and_b32_e32 v165, 7, v163
	v_clz_i32_u32_e32 v166, v165
	s_delay_alu instid0(VALU_DEP_1) | instskip(NEXT) | instid1(VALU_DEP_1)
	v_min_u32_e32 v166, 32, v166
	v_subrev_nc_u32_e32 v167, 28, v166
	v_sub_nc_u32_e32 v166, 29, v166
	s_delay_alu instid0(VALU_DEP_2) | instskip(SKIP_1) | instid1(VALU_DEP_2)
	v_lshlrev_b32_e32 v167, v167, v163
	v_bfe_u32 v163, v163, 3, 4
	v_and_b32_e32 v167, 7, v167
	s_delay_alu instid0(VALU_DEP_2) | instskip(SKIP_1) | instid1(VALU_DEP_1)
	v_cmp_eq_u32_e32 vcc_lo, 0, v163
	v_dual_cndmask_b32 v163, v163, v166 :: v_dual_lshlrev_b32 v164, 24, v164
	v_dual_cndmask_b32 v165, v165, v167 :: v_dual_and_b32 v164, 0x80000000, v164
	s_delay_alu instid0(VALU_DEP_2) | instskip(NEXT) | instid1(VALU_DEP_2)
	v_lshl_add_u32 v163, v163, 23, 0x3b800000
	v_lshlrev_b32_e32 v165, 20, v165
	s_delay_alu instid0(VALU_DEP_1)
	v_or3_b32 v163, v164, v163, v165
.LBB4_4020:                             ;   in Loop: Header=BB4_3808 Depth=3
	s_or_b32 exec_lo, exec_lo, s16
	v_lshrrev_b16 v164, 8, v19
	s_mov_b32 s13, 0
	s_mov_b32 s17, exec_lo
                                        ; implicit-def: $sgpr16
	s_delay_alu instid0(VALU_DEP_1)
	v_cmpx_lt_i16_e64 0x7f, v164
	s_xor_b32 s17, exec_lo, s17
	s_cbranch_execnz .LBB4_4426
; %bb.4021:                             ;   in Loop: Header=BB4_3808 Depth=3
	s_or_saveexec_b32 s17, s17
	v_mov_b32_e32 v165, s16
	s_xor_b32 exec_lo, exec_lo, s17
	s_cbranch_execnz .LBB4_4429
.LBB4_4022:                             ;   in Loop: Header=BB4_3808 Depth=3
	s_or_b32 exec_lo, exec_lo, s17
	s_and_saveexec_b32 s16, s13
	s_cbranch_execz .LBB4_4024
.LBB4_4023:                             ;   in Loop: Header=BB4_3808 Depth=3
	v_and_b32_e32 v165, 0xffff, v164
	v_lshlrev_b32_e32 v164, 24, v164
	s_delay_alu instid0(VALU_DEP_2) | instskip(NEXT) | instid1(VALU_DEP_2)
	v_and_b32_e32 v166, 7, v165
	v_and_b32_e32 v164, 0x80000000, v164
	s_delay_alu instid0(VALU_DEP_2) | instskip(NEXT) | instid1(VALU_DEP_1)
	v_clz_i32_u32_e32 v167, v166
	v_min_u32_e32 v167, 32, v167
	s_delay_alu instid0(VALU_DEP_1) | instskip(SKIP_1) | instid1(VALU_DEP_2)
	v_subrev_nc_u32_e32 v176, 28, v167
	v_sub_nc_u32_e32 v167, 29, v167
	v_lshlrev_b32_e32 v176, v176, v165
	v_bfe_u32 v165, v165, 3, 4
	s_delay_alu instid0(VALU_DEP_2) | instskip(NEXT) | instid1(VALU_DEP_2)
	v_and_b32_e32 v176, 7, v176
	v_cmp_eq_u32_e32 vcc_lo, 0, v165
	s_delay_alu instid0(VALU_DEP_2) | instskip(NEXT) | instid1(VALU_DEP_1)
	v_dual_cndmask_b32 v165, v165, v167 :: v_dual_cndmask_b32 v166, v166, v176
	v_lshl_add_u32 v165, v165, 23, 0x3b800000
	s_delay_alu instid0(VALU_DEP_2) | instskip(NEXT) | instid1(VALU_DEP_1)
	v_lshlrev_b32_e32 v166, 20, v166
	v_or3_b32 v165, v164, v165, v166
.LBB4_4024:                             ;   in Loop: Header=BB4_3808 Depth=3
	s_or_b32 exec_lo, exec_lo, s16
	s_delay_alu instid0(VALU_DEP_1) | instskip(NEXT) | instid1(VALU_DEP_1)
	v_add_f32_e32 v164, v163, v165
	v_and_b32_e32 v163, 0x7f800000, v164
	s_delay_alu instid0(VALU_DEP_1)
	v_cmp_ne_u32_e32 vcc_lo, 0x7f800000, v163
	v_mov_b32_e32 v163, 0x8000
	s_and_saveexec_b32 s16, vcc_lo
	s_cbranch_execz .LBB4_4032
; %bb.4025:                             ;   in Loop: Header=BB4_3808 Depth=3
	v_mov_b32_e32 v163, 0
	s_mov_b32 s17, exec_lo
	v_cmpx_ne_u32_e32 0, v164
	s_cbranch_execz .LBB4_4031
; %bb.4026:                             ;   in Loop: Header=BB4_3808 Depth=3
	v_bfe_u32 v163, v164, 23, 8
	s_delay_alu instid0(VALU_DEP_1) | instskip(SKIP_1) | instid1(VALU_DEP_2)
	v_sub_nc_u32_e32 v166, 0x78, v163
	v_cmp_gt_u32_e32 vcc_lo, 0x79, v163
	v_dual_cndmask_b32 v166, 0, v166 :: v_dual_and_b32 v165, 0x7fffff, v164
	s_delay_alu instid0(VALU_DEP_1) | instskip(SKIP_2) | instid1(VALU_DEP_4)
	v_or_b32_e32 v167, 0x800000, v165
	v_cmp_eq_u32_e32 vcc_lo, 0, v163
	v_add_nc_u32_e32 v163, 0xffffff89, v163
	v_cndmask_b32_e64 v166, v166, 0x77, vcc_lo
	s_delay_alu instid0(VALU_DEP_2) | instskip(SKIP_1) | instid1(VALU_DEP_3)
	v_cndmask_b32_e64 v163, v163, 0xffffff8a, vcc_lo
	v_cndmask_b32_e32 v165, v167, v165, vcc_lo
	v_lshl_add_u32 v167, 0x100000, v166, -1
	v_lshlrev_b32_e64 v178, v166, 0x80000
	s_delay_alu instid0(VALU_DEP_3) | instskip(SKIP_1) | instid1(VALU_DEP_4)
	v_lshrrev_b32_e32 v176, v166, v165
	v_add_nc_u32_e32 v166, v166, v163
	v_and_b32_e32 v165, v167, v165
	s_delay_alu instid0(VALU_DEP_3) | instskip(NEXT) | instid1(VALU_DEP_2)
	v_bfe_u32 v177, v176, 20, 1
	v_cmp_eq_u32_e64 s13, v165, v178
	s_delay_alu instid0(VALU_DEP_2) | instskip(NEXT) | instid1(VALU_DEP_1)
	v_add_nc_u32_e32 v167, -1, v177
	v_cndmask_b32_e64 v165, 0, v167, s13
	v_lshrrev_b32_e32 v167, 23, v176
	s_mov_b32 s13, exec_lo
	s_delay_alu instid0(VALU_DEP_2) | instskip(NEXT) | instid1(VALU_DEP_2)
	v_add_nc_u32_e32 v165, v165, v176
	v_xor_b32_e32 v167, 1, v167
	s_delay_alu instid0(VALU_DEP_2) | instskip(NEXT) | instid1(VALU_DEP_1)
	v_and_b32_e32 v163, 0xfffff, v165
	v_add_nc_u32_e32 v165, v163, v176
                                        ; implicit-def: $vgpr163
	s_delay_alu instid0(VALU_DEP_3)
	v_cmpx_ne_u32_e64 v166, v167
	s_xor_b32 s13, exec_lo, s13
; %bb.4027:                             ;   in Loop: Header=BB4_3808 Depth=3
	s_delay_alu instid0(VALU_DEP_2) | instskip(SKIP_2) | instid1(VALU_DEP_2)
	v_cmp_lt_u32_e32 vcc_lo, 0xffffff, v165
	v_sub_nc_u32_e32 v163, v166, v167
	v_cndmask_b32_e64 v166, 0, 1, vcc_lo
	v_add_co_ci_u32_e32 v163, vcc_lo, 0, v163, vcc_lo
	s_delay_alu instid0(VALU_DEP_2)
	v_lshrrev_b32_e32 v165, v166, v165
; %bb.4028:                             ;   in Loop: Header=BB4_3808 Depth=3
	s_and_not1_saveexec_b32 s13, s13
; %bb.4029:                             ;   in Loop: Header=BB4_3808 Depth=3
	s_delay_alu instid0(VALU_DEP_1)
	v_bfe_u32 v163, v165, 23, 1
; %bb.4030:                             ;   in Loop: Header=BB4_3808 Depth=3
	s_or_b32 exec_lo, exec_lo, s13
	v_lshrrev_b32_e32 v165, 20, v165
	s_delay_alu instid0(VALU_DEP_2) | instskip(SKIP_2) | instid1(VALU_DEP_2)
	v_cmp_gt_i32_e32 vcc_lo, 16, v163
	v_min_i32_e32 v166, 15, v163
	v_lshrrev_b32_e32 v164, 24, v164
	v_dual_cndmask_b32 v165, 7, v165 :: v_dual_lshlrev_b32 v166, 3, v166
	s_delay_alu instid0(VALU_DEP_2) | instskip(NEXT) | instid1(VALU_DEP_2)
	v_and_b32_e32 v164, 0x80, v164
	v_or_b32_e32 v163, v163, v165
	v_and_b32_e32 v167, 7, v165
	s_delay_alu instid0(VALU_DEP_2) | instskip(SKIP_1) | instid1(VALU_DEP_1)
	v_cmp_ne_u32_e32 vcc_lo, 0, v163
	v_and_b32_e32 v166, 0xf8, v166
	v_or3_b32 v164, v164, v166, v167
	s_delay_alu instid0(VALU_DEP_1) | instskip(NEXT) | instid1(VALU_DEP_1)
	v_lshlrev_b32_e32 v164, 8, v164
	v_cndmask_b32_e32 v163, 0, v164, vcc_lo
.LBB4_4031:                             ;   in Loop: Header=BB4_3808 Depth=3
	s_or_b32 exec_lo, exec_lo, s17
.LBB4_4032:                             ;   in Loop: Header=BB4_3808 Depth=3
	s_delay_alu instid0(SALU_CYCLE_1) | instskip(SKIP_3) | instid1(VALU_DEP_1)
	s_or_b32 exec_lo, exec_lo, s16
	v_lshrrev_b32_e32 v165, 16, v23
	s_mov_b32 s13, 0
	s_mov_b32 s17, exec_lo
                                        ; implicit-def: $sgpr16
	v_and_b32_e32 v166, 0xff, v165
	s_delay_alu instid0(VALU_DEP_1)
	v_cmpx_lt_i16_e64 0x7f, v166
	s_xor_b32 s17, exec_lo, s17
	s_cbranch_execnz .LBB4_4430
; %bb.4033:                             ;   in Loop: Header=BB4_3808 Depth=3
	s_or_saveexec_b32 s17, s17
	v_mov_b32_e32 v164, s16
	s_xor_b32 exec_lo, exec_lo, s17
	s_cbranch_execnz .LBB4_4433
.LBB4_4034:                             ;   in Loop: Header=BB4_3808 Depth=3
	s_or_b32 exec_lo, exec_lo, s17
	s_and_saveexec_b32 s16, s13
	s_cbranch_execz .LBB4_4036
.LBB4_4035:                             ;   in Loop: Header=BB4_3808 Depth=3
	v_bfe_u32 v164, v23, 16, 3
	v_lshlrev_b32_e32 v176, 8, v23
	s_delay_alu instid0(VALU_DEP_2) | instskip(NEXT) | instid1(VALU_DEP_1)
	v_clz_i32_u32_e32 v166, v164
	v_min_u32_e32 v166, 32, v166
	s_delay_alu instid0(VALU_DEP_1) | instskip(SKIP_1) | instid1(VALU_DEP_2)
	v_subrev_nc_u32_e32 v167, 28, v166
	v_sub_nc_u32_e32 v166, 29, v166
	v_lshlrev_b32_e32 v165, v167, v165
	v_bfe_u32 v167, v23, 19, 4
	s_delay_alu instid0(VALU_DEP_1) | instskip(NEXT) | instid1(VALU_DEP_3)
	v_cmp_eq_u32_e32 vcc_lo, 0, v167
	v_dual_cndmask_b32 v166, v167, v166 :: v_dual_and_b32 v165, 7, v165
	s_delay_alu instid0(VALU_DEP_1) | instskip(NEXT) | instid1(VALU_DEP_2)
	v_dual_cndmask_b32 v164, v164, v165 :: v_dual_and_b32 v165, 0x80000000, v176
	v_lshl_add_u32 v166, v166, 23, 0x3b800000
	s_delay_alu instid0(VALU_DEP_2) | instskip(NEXT) | instid1(VALU_DEP_1)
	v_lshlrev_b32_e32 v164, 20, v164
	v_or3_b32 v164, v165, v166, v164
.LBB4_4036:                             ;   in Loop: Header=BB4_3808 Depth=3
	s_or_b32 exec_lo, exec_lo, s16
	v_lshrrev_b32_e32 v165, 16, v19
	s_mov_b32 s13, 0
	s_mov_b32 s17, exec_lo
                                        ; implicit-def: $sgpr16
	s_delay_alu instid0(VALU_DEP_1) | instskip(NEXT) | instid1(VALU_DEP_1)
	v_and_b32_e32 v167, 0xff, v165
	v_cmpx_lt_i16_e64 0x7f, v167
	s_xor_b32 s17, exec_lo, s17
	s_cbranch_execnz .LBB4_4434
; %bb.4037:                             ;   in Loop: Header=BB4_3808 Depth=3
	s_or_saveexec_b32 s17, s17
	v_mov_b32_e32 v166, s16
	s_xor_b32 exec_lo, exec_lo, s17
	s_cbranch_execnz .LBB4_4437
.LBB4_4038:                             ;   in Loop: Header=BB4_3808 Depth=3
	s_or_b32 exec_lo, exec_lo, s17
	s_and_saveexec_b32 s16, s13
	s_cbranch_execz .LBB4_4040
.LBB4_4039:                             ;   in Loop: Header=BB4_3808 Depth=3
	v_bfe_u32 v166, v19, 16, 3
	v_lshlrev_b32_e32 v177, 8, v19
	s_delay_alu instid0(VALU_DEP_2) | instskip(NEXT) | instid1(VALU_DEP_1)
	v_clz_i32_u32_e32 v167, v166
	v_min_u32_e32 v167, 32, v167
	s_delay_alu instid0(VALU_DEP_1) | instskip(SKIP_1) | instid1(VALU_DEP_2)
	v_subrev_nc_u32_e32 v176, 28, v167
	v_sub_nc_u32_e32 v167, 29, v167
	v_lshlrev_b32_e32 v165, v176, v165
	v_bfe_u32 v176, v19, 19, 4
	s_delay_alu instid0(VALU_DEP_2) | instskip(NEXT) | instid1(VALU_DEP_2)
	v_and_b32_e32 v165, 7, v165
	v_cmp_eq_u32_e32 vcc_lo, 0, v176
	v_cndmask_b32_e32 v167, v176, v167, vcc_lo
	s_delay_alu instid0(VALU_DEP_3) | instskip(SKIP_1) | instid1(VALU_DEP_3)
	v_cndmask_b32_e32 v165, v166, v165, vcc_lo
	v_and_b32_e32 v166, 0x80000000, v177
	v_lshl_add_u32 v167, v167, 23, 0x3b800000
	s_delay_alu instid0(VALU_DEP_3) | instskip(NEXT) | instid1(VALU_DEP_1)
	v_lshlrev_b32_e32 v165, 20, v165
	v_or3_b32 v166, v166, v167, v165
.LBB4_4040:                             ;   in Loop: Header=BB4_3808 Depth=3
	s_or_b32 exec_lo, exec_lo, s16
	s_delay_alu instid0(VALU_DEP_1) | instskip(NEXT) | instid1(VALU_DEP_1)
	v_add_f32_e32 v165, v164, v166
	v_and_b32_e32 v164, 0x7f800000, v165
	s_delay_alu instid0(VALU_DEP_1)
	v_cmp_ne_u32_e32 vcc_lo, 0x7f800000, v164
	v_mov_b32_e32 v164, 0x80
	s_and_saveexec_b32 s16, vcc_lo
	s_cbranch_execz .LBB4_4048
; %bb.4041:                             ;   in Loop: Header=BB4_3808 Depth=3
	v_mov_b32_e32 v164, 0
	s_mov_b32 s17, exec_lo
	v_cmpx_ne_u32_e32 0, v165
	s_cbranch_execz .LBB4_4047
; %bb.4042:                             ;   in Loop: Header=BB4_3808 Depth=3
	v_bfe_u32 v164, v165, 23, 8
	s_delay_alu instid0(VALU_DEP_1) | instskip(SKIP_1) | instid1(VALU_DEP_2)
	v_sub_nc_u32_e32 v167, 0x78, v164
	v_cmp_gt_u32_e32 vcc_lo, 0x79, v164
	v_dual_cndmask_b32 v167, 0, v167 :: v_dual_and_b32 v166, 0x7fffff, v165
	s_delay_alu instid0(VALU_DEP_1) | instskip(SKIP_2) | instid1(VALU_DEP_4)
	v_or_b32_e32 v176, 0x800000, v166
	v_cmp_eq_u32_e32 vcc_lo, 0, v164
	v_add_nc_u32_e32 v164, 0xffffff89, v164
	v_cndmask_b32_e64 v167, v167, 0x77, vcc_lo
	s_delay_alu instid0(VALU_DEP_2) | instskip(SKIP_1) | instid1(VALU_DEP_3)
	v_cndmask_b32_e64 v164, v164, 0xffffff8a, vcc_lo
	v_cndmask_b32_e32 v166, v176, v166, vcc_lo
	v_lshl_add_u32 v176, 0x100000, v167, -1
	v_lshlrev_b32_e64 v179, v167, 0x80000
	s_delay_alu instid0(VALU_DEP_3) | instskip(SKIP_1) | instid1(VALU_DEP_4)
	v_lshrrev_b32_e32 v177, v167, v166
	v_add_nc_u32_e32 v167, v167, v164
	v_and_b32_e32 v166, v176, v166
	s_delay_alu instid0(VALU_DEP_3) | instskip(NEXT) | instid1(VALU_DEP_2)
	v_bfe_u32 v178, v177, 20, 1
	v_cmp_eq_u32_e64 s13, v166, v179
	s_delay_alu instid0(VALU_DEP_2) | instskip(NEXT) | instid1(VALU_DEP_1)
	v_add_nc_u32_e32 v176, -1, v178
	v_cndmask_b32_e64 v166, 0, v176, s13
	v_lshrrev_b32_e32 v176, 23, v177
	s_mov_b32 s13, exec_lo
	s_delay_alu instid0(VALU_DEP_2) | instskip(NEXT) | instid1(VALU_DEP_2)
	v_add_nc_u32_e32 v166, v166, v177
	v_xor_b32_e32 v176, 1, v176
	s_delay_alu instid0(VALU_DEP_2) | instskip(NEXT) | instid1(VALU_DEP_1)
	v_and_b32_e32 v164, 0xfffff, v166
	v_add_nc_u32_e32 v166, v164, v177
                                        ; implicit-def: $vgpr164
	s_delay_alu instid0(VALU_DEP_3)
	v_cmpx_ne_u32_e64 v167, v176
	s_xor_b32 s13, exec_lo, s13
; %bb.4043:                             ;   in Loop: Header=BB4_3808 Depth=3
	s_delay_alu instid0(VALU_DEP_2) | instskip(SKIP_2) | instid1(VALU_DEP_2)
	v_cmp_lt_u32_e32 vcc_lo, 0xffffff, v166
	v_sub_nc_u32_e32 v164, v167, v176
	v_cndmask_b32_e64 v167, 0, 1, vcc_lo
	v_add_co_ci_u32_e32 v164, vcc_lo, 0, v164, vcc_lo
	s_delay_alu instid0(VALU_DEP_2)
	v_lshrrev_b32_e32 v166, v167, v166
; %bb.4044:                             ;   in Loop: Header=BB4_3808 Depth=3
	s_and_not1_saveexec_b32 s13, s13
; %bb.4045:                             ;   in Loop: Header=BB4_3808 Depth=3
	s_delay_alu instid0(VALU_DEP_1)
	v_bfe_u32 v164, v166, 23, 1
; %bb.4046:                             ;   in Loop: Header=BB4_3808 Depth=3
	s_or_b32 exec_lo, exec_lo, s13
	v_lshrrev_b32_e32 v166, 20, v166
	s_delay_alu instid0(VALU_DEP_2) | instskip(SKIP_2) | instid1(VALU_DEP_2)
	v_cmp_gt_i32_e32 vcc_lo, 16, v164
	v_min_i32_e32 v167, 15, v164
	v_lshrrev_b32_e32 v165, 24, v165
	v_dual_cndmask_b32 v166, 7, v166 :: v_dual_lshlrev_b32 v167, 3, v167
	s_delay_alu instid0(VALU_DEP_2) | instskip(NEXT) | instid1(VALU_DEP_2)
	v_and_b32_e32 v165, 0x80, v165
	v_or_b32_e32 v164, v164, v166
	v_and_b32_e32 v176, 7, v166
	s_delay_alu instid0(VALU_DEP_2) | instskip(SKIP_1) | instid1(VALU_DEP_1)
	v_cmp_ne_u32_e32 vcc_lo, 0, v164
	v_and_b32_e32 v167, 0xf8, v167
	v_or3_b32 v165, v167, v165, v176
	s_delay_alu instid0(VALU_DEP_1)
	v_cndmask_b32_e32 v164, 0, v165, vcc_lo
.LBB4_4047:                             ;   in Loop: Header=BB4_3808 Depth=3
	s_or_b32 exec_lo, exec_lo, s17
.LBB4_4048:                             ;   in Loop: Header=BB4_3808 Depth=3
	s_delay_alu instid0(SALU_CYCLE_1) | instskip(SKIP_3) | instid1(VALU_DEP_1)
	s_or_b32 exec_lo, exec_lo, s16
	v_lshrrev_b32_e32 v166, 24, v23
	s_mov_b32 s13, 0
	s_mov_b32 s17, exec_lo
                                        ; implicit-def: $sgpr16
	v_cmpx_lt_i16_e64 0x7f, v166
	s_xor_b32 s17, exec_lo, s17
	s_cbranch_execnz .LBB4_4438
; %bb.4049:                             ;   in Loop: Header=BB4_3808 Depth=3
	s_or_saveexec_b32 s17, s17
	v_mov_b32_e32 v165, s16
	s_xor_b32 exec_lo, exec_lo, s17
	s_cbranch_execnz .LBB4_4441
.LBB4_4050:                             ;   in Loop: Header=BB4_3808 Depth=3
	s_or_b32 exec_lo, exec_lo, s17
	s_and_saveexec_b32 s16, s13
	s_cbranch_execz .LBB4_4052
.LBB4_4051:                             ;   in Loop: Header=BB4_3808 Depth=3
	v_bfe_u32 v165, v23, 24, 3
	s_delay_alu instid0(VALU_DEP_1) | instskip(NEXT) | instid1(VALU_DEP_1)
	v_clz_i32_u32_e32 v167, v165
	v_min_u32_e32 v167, 32, v167
	s_delay_alu instid0(VALU_DEP_1) | instskip(SKIP_1) | instid1(VALU_DEP_2)
	v_subrev_nc_u32_e32 v176, 28, v167
	v_sub_nc_u32_e32 v167, 29, v167
	v_lshlrev_b32_e32 v166, v176, v166
	v_bfe_u32 v176, v23, 27, 4
	v_and_b32_e32 v23, 0x80000000, v23
	s_delay_alu instid0(VALU_DEP_2) | instskip(NEXT) | instid1(VALU_DEP_4)
	v_cmp_eq_u32_e32 vcc_lo, 0, v176
	v_dual_cndmask_b32 v167, v176, v167 :: v_dual_and_b32 v166, 7, v166
	s_delay_alu instid0(VALU_DEP_1) | instskip(NEXT) | instid1(VALU_DEP_2)
	v_cndmask_b32_e32 v165, v165, v166, vcc_lo
	v_lshl_add_u32 v166, v167, 23, 0x3b800000
	s_delay_alu instid0(VALU_DEP_2) | instskip(NEXT) | instid1(VALU_DEP_1)
	v_lshlrev_b32_e32 v165, 20, v165
	v_or3_b32 v165, v23, v166, v165
.LBB4_4052:                             ;   in Loop: Header=BB4_3808 Depth=3
	s_or_b32 exec_lo, exec_lo, s16
	v_lshrrev_b32_e32 v23, 24, v19
	s_mov_b32 s13, 0
	s_mov_b32 s17, exec_lo
                                        ; implicit-def: $sgpr16
	s_delay_alu instid0(VALU_DEP_1)
	v_cmpx_lt_i16_e32 0x7f, v23
	s_xor_b32 s17, exec_lo, s17
	s_cbranch_execnz .LBB4_4442
; %bb.4053:                             ;   in Loop: Header=BB4_3808 Depth=3
	s_or_saveexec_b32 s17, s17
	v_mov_b32_e32 v166, s16
	s_xor_b32 exec_lo, exec_lo, s17
	s_cbranch_execnz .LBB4_4445
.LBB4_4054:                             ;   in Loop: Header=BB4_3808 Depth=3
	s_or_b32 exec_lo, exec_lo, s17
	s_and_saveexec_b32 s16, s13
	s_cbranch_execz .LBB4_4056
.LBB4_4055:                             ;   in Loop: Header=BB4_3808 Depth=3
	v_bfe_u32 v166, v19, 24, 3
	s_delay_alu instid0(VALU_DEP_1) | instskip(NEXT) | instid1(VALU_DEP_1)
	v_clz_i32_u32_e32 v167, v166
	v_min_u32_e32 v167, 32, v167
	s_delay_alu instid0(VALU_DEP_1) | instskip(SKIP_1) | instid1(VALU_DEP_2)
	v_subrev_nc_u32_e32 v176, 28, v167
	v_sub_nc_u32_e32 v167, 29, v167
	v_lshlrev_b32_e32 v23, v176, v23
	v_bfe_u32 v176, v19, 27, 4
	v_and_b32_e32 v19, 0x80000000, v19
	s_delay_alu instid0(VALU_DEP_3) | instskip(NEXT) | instid1(VALU_DEP_3)
	v_and_b32_e32 v23, 7, v23
	v_cmp_eq_u32_e32 vcc_lo, 0, v176
	v_cndmask_b32_e32 v167, v176, v167, vcc_lo
	s_delay_alu instid0(VALU_DEP_3) | instskip(NEXT) | instid1(VALU_DEP_2)
	v_cndmask_b32_e32 v23, v166, v23, vcc_lo
	v_lshl_add_u32 v166, v167, 23, 0x3b800000
	s_delay_alu instid0(VALU_DEP_2) | instskip(NEXT) | instid1(VALU_DEP_1)
	v_lshlrev_b32_e32 v23, 20, v23
	v_or3_b32 v166, v19, v166, v23
.LBB4_4056:                             ;   in Loop: Header=BB4_3808 Depth=3
	s_or_b32 exec_lo, exec_lo, s16
	s_delay_alu instid0(VALU_DEP_1) | instskip(NEXT) | instid1(VALU_DEP_1)
	v_add_f32_e32 v23, v165, v166
	v_and_b32_e32 v19, 0x7f800000, v23
	s_delay_alu instid0(VALU_DEP_1)
	v_cmp_ne_u32_e32 vcc_lo, 0x7f800000, v19
	v_mov_b32_e32 v19, 0x8000
	s_and_saveexec_b32 s16, vcc_lo
	s_cbranch_execz .LBB4_4064
; %bb.4057:                             ;   in Loop: Header=BB4_3808 Depth=3
	v_mov_b32_e32 v19, 0
	s_mov_b32 s17, exec_lo
	v_cmpx_ne_u32_e32 0, v23
	s_cbranch_execz .LBB4_4063
; %bb.4058:                             ;   in Loop: Header=BB4_3808 Depth=3
	v_bfe_u32 v19, v23, 23, 8
	s_delay_alu instid0(VALU_DEP_1) | instskip(SKIP_1) | instid1(VALU_DEP_2)
	v_sub_nc_u32_e32 v166, 0x78, v19
	v_cmp_gt_u32_e32 vcc_lo, 0x79, v19
	v_dual_cndmask_b32 v166, 0, v166 :: v_dual_and_b32 v165, 0x7fffff, v23
	s_delay_alu instid0(VALU_DEP_1) | instskip(SKIP_2) | instid1(VALU_DEP_4)
	v_or_b32_e32 v167, 0x800000, v165
	v_cmp_eq_u32_e32 vcc_lo, 0, v19
	v_add_nc_u32_e32 v19, 0xffffff89, v19
	v_cndmask_b32_e64 v166, v166, 0x77, vcc_lo
	s_delay_alu instid0(VALU_DEP_2) | instskip(SKIP_1) | instid1(VALU_DEP_3)
	v_cndmask_b32_e64 v19, v19, 0xffffff8a, vcc_lo
	v_cndmask_b32_e32 v165, v167, v165, vcc_lo
	v_lshl_add_u32 v167, 0x100000, v166, -1
	v_lshlrev_b32_e64 v178, v166, 0x80000
	s_delay_alu instid0(VALU_DEP_3) | instskip(SKIP_1) | instid1(VALU_DEP_4)
	v_lshrrev_b32_e32 v176, v166, v165
	v_add_nc_u32_e32 v166, v166, v19
	v_and_b32_e32 v165, v167, v165
	s_delay_alu instid0(VALU_DEP_3) | instskip(NEXT) | instid1(VALU_DEP_2)
	v_bfe_u32 v177, v176, 20, 1
	v_cmp_eq_u32_e64 s13, v165, v178
	s_delay_alu instid0(VALU_DEP_2) | instskip(NEXT) | instid1(VALU_DEP_1)
	v_add_nc_u32_e32 v167, -1, v177
	v_cndmask_b32_e64 v165, 0, v167, s13
	v_lshrrev_b32_e32 v167, 23, v176
	s_mov_b32 s13, exec_lo
	s_delay_alu instid0(VALU_DEP_2) | instskip(NEXT) | instid1(VALU_DEP_2)
	v_add_nc_u32_e32 v165, v165, v176
	v_xor_b32_e32 v167, 1, v167
	s_delay_alu instid0(VALU_DEP_2) | instskip(NEXT) | instid1(VALU_DEP_1)
	v_and_b32_e32 v19, 0xfffff, v165
	v_add_nc_u32_e32 v165, v19, v176
                                        ; implicit-def: $vgpr19
	s_delay_alu instid0(VALU_DEP_3)
	v_cmpx_ne_u32_e64 v166, v167
	s_xor_b32 s13, exec_lo, s13
; %bb.4059:                             ;   in Loop: Header=BB4_3808 Depth=3
	s_delay_alu instid0(VALU_DEP_2) | instskip(SKIP_2) | instid1(VALU_DEP_2)
	v_cmp_lt_u32_e32 vcc_lo, 0xffffff, v165
	v_sub_nc_u32_e32 v19, v166, v167
	v_cndmask_b32_e64 v166, 0, 1, vcc_lo
	v_add_co_ci_u32_e32 v19, vcc_lo, 0, v19, vcc_lo
	s_delay_alu instid0(VALU_DEP_2)
	v_lshrrev_b32_e32 v165, v166, v165
; %bb.4060:                             ;   in Loop: Header=BB4_3808 Depth=3
	s_and_not1_saveexec_b32 s13, s13
; %bb.4061:                             ;   in Loop: Header=BB4_3808 Depth=3
	s_delay_alu instid0(VALU_DEP_1)
	v_bfe_u32 v19, v165, 23, 1
; %bb.4062:                             ;   in Loop: Header=BB4_3808 Depth=3
	s_or_b32 exec_lo, exec_lo, s13
	v_lshrrev_b32_e32 v165, 20, v165
	s_delay_alu instid0(VALU_DEP_2) | instskip(SKIP_2) | instid1(VALU_DEP_2)
	v_cmp_gt_i32_e32 vcc_lo, 16, v19
	v_min_i32_e32 v166, 15, v19
	v_lshrrev_b32_e32 v23, 24, v23
	v_dual_cndmask_b32 v165, 7, v165 :: v_dual_lshlrev_b32 v166, 3, v166
	s_delay_alu instid0(VALU_DEP_2) | instskip(NEXT) | instid1(VALU_DEP_2)
	v_and_b32_e32 v23, 0x80, v23
	v_or_b32_e32 v19, v19, v165
	v_and_b32_e32 v167, 7, v165
	s_delay_alu instid0(VALU_DEP_2) | instskip(SKIP_1) | instid1(VALU_DEP_1)
	v_cmp_ne_u32_e32 vcc_lo, 0, v19
	v_and_b32_e32 v166, 0xf8, v166
	v_or3_b32 v23, v23, v166, v167
	s_delay_alu instid0(VALU_DEP_1) | instskip(NEXT) | instid1(VALU_DEP_1)
	v_lshlrev_b32_e32 v23, 8, v23
	v_cndmask_b32_e32 v19, 0, v23, vcc_lo
.LBB4_4063:                             ;   in Loop: Header=BB4_3808 Depth=3
	s_or_b32 exec_lo, exec_lo, s17
.LBB4_4064:                             ;   in Loop: Header=BB4_3808 Depth=3
	s_delay_alu instid0(SALU_CYCLE_1) | instskip(SKIP_3) | instid1(VALU_DEP_1)
	s_or_b32 exec_lo, exec_lo, s16
	v_and_b32_e32 v165, 0xff, v12
	s_mov_b32 s13, 0
	s_mov_b32 s17, exec_lo
                                        ; implicit-def: $sgpr16
	v_cmpx_lt_i16_e64 0x7f, v165
	s_xor_b32 s17, exec_lo, s17
	s_cbranch_execnz .LBB4_4446
; %bb.4065:                             ;   in Loop: Header=BB4_3808 Depth=3
	s_or_saveexec_b32 s17, s17
	v_mov_b32_e32 v23, s16
	s_xor_b32 exec_lo, exec_lo, s17
	s_cbranch_execnz .LBB4_4449
.LBB4_4066:                             ;   in Loop: Header=BB4_3808 Depth=3
	s_or_b32 exec_lo, exec_lo, s17
	s_and_saveexec_b32 s16, s13
	s_cbranch_execz .LBB4_4068
.LBB4_4067:                             ;   in Loop: Header=BB4_3808 Depth=3
	v_and_b32_e32 v23, 7, v12
	v_bfe_u32 v167, v12, 3, 4
	s_delay_alu instid0(VALU_DEP_2) | instskip(NEXT) | instid1(VALU_DEP_2)
	v_clz_i32_u32_e32 v165, v23
	v_cmp_eq_u32_e32 vcc_lo, 0, v167
	s_delay_alu instid0(VALU_DEP_2) | instskip(NEXT) | instid1(VALU_DEP_1)
	v_min_u32_e32 v165, 32, v165
	v_subrev_nc_u32_e32 v166, 28, v165
	v_sub_nc_u32_e32 v165, 29, v165
	s_delay_alu instid0(VALU_DEP_1) | instskip(NEXT) | instid1(VALU_DEP_1)
	v_dual_cndmask_b32 v165, v167, v165 :: v_dual_lshlrev_b32 v166, v166, v12
	v_and_b32_e32 v166, 7, v166
	v_lshlrev_b32_e32 v176, 24, v12
	s_delay_alu instid0(VALU_DEP_3) | instskip(NEXT) | instid1(VALU_DEP_2)
	v_lshl_add_u32 v165, v165, 23, 0x3b800000
	v_dual_cndmask_b32 v23, v23, v166 :: v_dual_and_b32 v166, 0x80000000, v176
	s_delay_alu instid0(VALU_DEP_1) | instskip(NEXT) | instid1(VALU_DEP_1)
	v_lshlrev_b32_e32 v23, 20, v23
	v_or3_b32 v23, v166, v165, v23
.LBB4_4068:                             ;   in Loop: Header=BB4_3808 Depth=3
	s_or_b32 exec_lo, exec_lo, s16
	s_waitcnt vmcnt(0)
	v_and_b32_e32 v166, 0xff, v8
	s_mov_b32 s13, 0
	s_mov_b32 s17, exec_lo
                                        ; implicit-def: $sgpr16
	s_delay_alu instid0(VALU_DEP_1)
	v_cmpx_lt_i16_e64 0x7f, v166
	s_xor_b32 s17, exec_lo, s17
	s_cbranch_execnz .LBB4_4450
; %bb.4069:                             ;   in Loop: Header=BB4_3808 Depth=3
	s_or_saveexec_b32 s17, s17
	v_mov_b32_e32 v165, s16
	s_xor_b32 exec_lo, exec_lo, s17
	s_cbranch_execnz .LBB4_4453
.LBB4_4070:                             ;   in Loop: Header=BB4_3808 Depth=3
	s_or_b32 exec_lo, exec_lo, s17
	s_and_saveexec_b32 s16, s13
	s_cbranch_execz .LBB4_4072
.LBB4_4071:                             ;   in Loop: Header=BB4_3808 Depth=3
	v_bfe_u32 v176, v8, 3, 4
	v_lshlrev_b32_e32 v177, 24, v8
	s_delay_alu instid0(VALU_DEP_2) | instskip(SKIP_1) | instid1(VALU_DEP_1)
	v_cmp_eq_u32_e32 vcc_lo, 0, v176
	v_and_b32_e32 v165, 7, v8
	v_clz_i32_u32_e32 v166, v165
	s_delay_alu instid0(VALU_DEP_1) | instskip(NEXT) | instid1(VALU_DEP_1)
	v_min_u32_e32 v166, 32, v166
	v_subrev_nc_u32_e32 v167, 28, v166
	v_sub_nc_u32_e32 v166, 29, v166
	s_delay_alu instid0(VALU_DEP_1) | instskip(NEXT) | instid1(VALU_DEP_1)
	v_dual_cndmask_b32 v166, v176, v166 :: v_dual_lshlrev_b32 v167, v167, v8
	v_and_b32_e32 v167, 7, v167
	s_delay_alu instid0(VALU_DEP_2) | instskip(NEXT) | instid1(VALU_DEP_2)
	v_lshl_add_u32 v166, v166, 23, 0x3b800000
	v_cndmask_b32_e32 v165, v165, v167, vcc_lo
	v_and_b32_e32 v167, 0x80000000, v177
	s_delay_alu instid0(VALU_DEP_2) | instskip(NEXT) | instid1(VALU_DEP_1)
	v_lshlrev_b32_e32 v165, 20, v165
	v_or3_b32 v165, v167, v166, v165
.LBB4_4072:                             ;   in Loop: Header=BB4_3808 Depth=3
	s_or_b32 exec_lo, exec_lo, s16
	s_delay_alu instid0(VALU_DEP_1) | instskip(NEXT) | instid1(VALU_DEP_1)
	v_add_f32_e32 v165, v23, v165
	v_and_b32_e32 v23, 0x7f800000, v165
	s_delay_alu instid0(VALU_DEP_1)
	v_cmp_ne_u32_e32 vcc_lo, 0x7f800000, v23
	v_mov_b32_e32 v23, 0x80
	s_and_saveexec_b32 s16, vcc_lo
	s_cbranch_execz .LBB4_4080
; %bb.4073:                             ;   in Loop: Header=BB4_3808 Depth=3
	v_mov_b32_e32 v23, 0
	s_mov_b32 s17, exec_lo
	v_cmpx_ne_u32_e32 0, v165
	s_cbranch_execz .LBB4_4079
; %bb.4074:                             ;   in Loop: Header=BB4_3808 Depth=3
	v_bfe_u32 v23, v165, 23, 8
	s_delay_alu instid0(VALU_DEP_1) | instskip(SKIP_1) | instid1(VALU_DEP_2)
	v_sub_nc_u32_e32 v167, 0x78, v23
	v_cmp_gt_u32_e32 vcc_lo, 0x79, v23
	v_dual_cndmask_b32 v167, 0, v167 :: v_dual_and_b32 v166, 0x7fffff, v165
	s_delay_alu instid0(VALU_DEP_1) | instskip(SKIP_2) | instid1(VALU_DEP_4)
	v_or_b32_e32 v176, 0x800000, v166
	v_cmp_eq_u32_e32 vcc_lo, 0, v23
	v_add_nc_u32_e32 v23, 0xffffff89, v23
	v_cndmask_b32_e64 v167, v167, 0x77, vcc_lo
	s_delay_alu instid0(VALU_DEP_4) | instskip(NEXT) | instid1(VALU_DEP_3)
	v_cndmask_b32_e32 v166, v176, v166, vcc_lo
	v_cndmask_b32_e64 v23, v23, 0xffffff8a, vcc_lo
	s_delay_alu instid0(VALU_DEP_3) | instskip(NEXT) | instid1(VALU_DEP_3)
	v_lshl_add_u32 v176, 0x100000, v167, -1
	v_lshrrev_b32_e32 v177, v167, v166
	v_lshlrev_b32_e64 v179, v167, 0x80000
	s_delay_alu instid0(VALU_DEP_4) | instskip(NEXT) | instid1(VALU_DEP_4)
	v_add_nc_u32_e32 v167, v167, v23
	v_and_b32_e32 v166, v176, v166
	s_delay_alu instid0(VALU_DEP_4) | instskip(NEXT) | instid1(VALU_DEP_2)
	v_bfe_u32 v178, v177, 20, 1
	v_cmp_eq_u32_e64 s13, v166, v179
	s_delay_alu instid0(VALU_DEP_2) | instskip(NEXT) | instid1(VALU_DEP_1)
	v_add_nc_u32_e32 v176, -1, v178
	v_cndmask_b32_e64 v166, 0, v176, s13
	v_lshrrev_b32_e32 v176, 23, v177
	s_mov_b32 s13, exec_lo
	s_delay_alu instid0(VALU_DEP_2) | instskip(NEXT) | instid1(VALU_DEP_2)
	v_add_nc_u32_e32 v166, v166, v177
	v_xor_b32_e32 v176, 1, v176
	s_delay_alu instid0(VALU_DEP_2) | instskip(NEXT) | instid1(VALU_DEP_1)
	v_and_b32_e32 v23, 0xfffff, v166
	v_add_nc_u32_e32 v166, v23, v177
                                        ; implicit-def: $vgpr23
	s_delay_alu instid0(VALU_DEP_3)
	v_cmpx_ne_u32_e64 v167, v176
	s_xor_b32 s13, exec_lo, s13
; %bb.4075:                             ;   in Loop: Header=BB4_3808 Depth=3
	s_delay_alu instid0(VALU_DEP_2) | instskip(SKIP_2) | instid1(VALU_DEP_2)
	v_cmp_lt_u32_e32 vcc_lo, 0xffffff, v166
	v_sub_nc_u32_e32 v23, v167, v176
	v_cndmask_b32_e64 v167, 0, 1, vcc_lo
	v_add_co_ci_u32_e32 v23, vcc_lo, 0, v23, vcc_lo
	s_delay_alu instid0(VALU_DEP_2)
	v_lshrrev_b32_e32 v166, v167, v166
; %bb.4076:                             ;   in Loop: Header=BB4_3808 Depth=3
	s_and_not1_saveexec_b32 s13, s13
; %bb.4077:                             ;   in Loop: Header=BB4_3808 Depth=3
	s_delay_alu instid0(VALU_DEP_1)
	v_bfe_u32 v23, v166, 23, 1
; %bb.4078:                             ;   in Loop: Header=BB4_3808 Depth=3
	s_or_b32 exec_lo, exec_lo, s13
	v_lshrrev_b32_e32 v166, 20, v166
	s_delay_alu instid0(VALU_DEP_2) | instskip(SKIP_2) | instid1(VALU_DEP_2)
	v_cmp_gt_i32_e32 vcc_lo, 16, v23
	v_lshrrev_b32_e32 v165, 24, v165
	v_min_i32_e32 v167, 15, v23
	v_dual_cndmask_b32 v166, 7, v166 :: v_dual_and_b32 v165, 0x80, v165
	s_delay_alu instid0(VALU_DEP_2) | instskip(NEXT) | instid1(VALU_DEP_2)
	v_lshlrev_b32_e32 v167, 3, v167
	v_or_b32_e32 v23, v23, v166
	s_delay_alu instid0(VALU_DEP_1) | instskip(SKIP_1) | instid1(VALU_DEP_1)
	v_cmp_ne_u32_e32 vcc_lo, 0, v23
	v_and_b32_e32 v176, 7, v166
	v_or3_b32 v165, v167, v165, v176
	s_delay_alu instid0(VALU_DEP_1)
	v_cndmask_b32_e32 v23, 0, v165, vcc_lo
.LBB4_4079:                             ;   in Loop: Header=BB4_3808 Depth=3
	s_or_b32 exec_lo, exec_lo, s17
.LBB4_4080:                             ;   in Loop: Header=BB4_3808 Depth=3
	s_delay_alu instid0(SALU_CYCLE_1) | instskip(SKIP_3) | instid1(VALU_DEP_1)
	s_or_b32 exec_lo, exec_lo, s16
	v_lshrrev_b16 v166, 8, v12
	s_mov_b32 s13, 0
	s_mov_b32 s17, exec_lo
                                        ; implicit-def: $sgpr16
	v_cmpx_lt_i16_e64 0x7f, v166
	s_xor_b32 s17, exec_lo, s17
	s_cbranch_execnz .LBB4_4454
; %bb.4081:                             ;   in Loop: Header=BB4_3808 Depth=3
	s_or_saveexec_b32 s17, s17
	v_mov_b32_e32 v165, s16
	s_xor_b32 exec_lo, exec_lo, s17
	s_cbranch_execnz .LBB4_4457
.LBB4_4082:                             ;   in Loop: Header=BB4_3808 Depth=3
	s_or_b32 exec_lo, exec_lo, s17
	s_and_saveexec_b32 s16, s13
	s_cbranch_execz .LBB4_4084
.LBB4_4083:                             ;   in Loop: Header=BB4_3808 Depth=3
	v_and_b32_e32 v165, 0xffff, v166
	s_delay_alu instid0(VALU_DEP_1) | instskip(NEXT) | instid1(VALU_DEP_1)
	v_and_b32_e32 v167, 7, v165
	v_clz_i32_u32_e32 v176, v167
	s_delay_alu instid0(VALU_DEP_1) | instskip(NEXT) | instid1(VALU_DEP_1)
	v_min_u32_e32 v176, 32, v176
	v_subrev_nc_u32_e32 v177, 28, v176
	v_sub_nc_u32_e32 v176, 29, v176
	s_delay_alu instid0(VALU_DEP_2) | instskip(SKIP_1) | instid1(VALU_DEP_2)
	v_lshlrev_b32_e32 v177, v177, v165
	v_bfe_u32 v165, v165, 3, 4
	v_and_b32_e32 v177, 7, v177
	s_delay_alu instid0(VALU_DEP_2) | instskip(SKIP_1) | instid1(VALU_DEP_1)
	v_cmp_eq_u32_e32 vcc_lo, 0, v165
	v_dual_cndmask_b32 v165, v165, v176 :: v_dual_lshlrev_b32 v166, 24, v166
	v_dual_cndmask_b32 v167, v167, v177 :: v_dual_and_b32 v166, 0x80000000, v166
	s_delay_alu instid0(VALU_DEP_2) | instskip(NEXT) | instid1(VALU_DEP_2)
	v_lshl_add_u32 v165, v165, 23, 0x3b800000
	v_lshlrev_b32_e32 v167, 20, v167
	s_delay_alu instid0(VALU_DEP_1)
	v_or3_b32 v165, v166, v165, v167
.LBB4_4084:                             ;   in Loop: Header=BB4_3808 Depth=3
	s_or_b32 exec_lo, exec_lo, s16
	v_lshrrev_b16 v166, 8, v8
	s_mov_b32 s13, 0
	s_mov_b32 s17, exec_lo
                                        ; implicit-def: $sgpr16
	s_delay_alu instid0(VALU_DEP_1)
	v_cmpx_lt_i16_e64 0x7f, v166
	s_xor_b32 s17, exec_lo, s17
	s_cbranch_execnz .LBB4_4458
; %bb.4085:                             ;   in Loop: Header=BB4_3808 Depth=3
	s_or_saveexec_b32 s17, s17
	v_mov_b32_e32 v167, s16
	s_xor_b32 exec_lo, exec_lo, s17
	s_cbranch_execnz .LBB4_4461
.LBB4_4086:                             ;   in Loop: Header=BB4_3808 Depth=3
	s_or_b32 exec_lo, exec_lo, s17
	s_and_saveexec_b32 s16, s13
	s_cbranch_execz .LBB4_4088
.LBB4_4087:                             ;   in Loop: Header=BB4_3808 Depth=3
	v_and_b32_e32 v167, 0xffff, v166
	v_lshlrev_b32_e32 v166, 24, v166
	s_delay_alu instid0(VALU_DEP_2) | instskip(NEXT) | instid1(VALU_DEP_2)
	v_and_b32_e32 v176, 7, v167
	v_and_b32_e32 v166, 0x80000000, v166
	s_delay_alu instid0(VALU_DEP_2) | instskip(NEXT) | instid1(VALU_DEP_1)
	v_clz_i32_u32_e32 v177, v176
	v_min_u32_e32 v177, 32, v177
	s_delay_alu instid0(VALU_DEP_1) | instskip(SKIP_1) | instid1(VALU_DEP_2)
	v_subrev_nc_u32_e32 v178, 28, v177
	v_sub_nc_u32_e32 v177, 29, v177
	v_lshlrev_b32_e32 v178, v178, v167
	v_bfe_u32 v167, v167, 3, 4
	s_delay_alu instid0(VALU_DEP_2) | instskip(NEXT) | instid1(VALU_DEP_2)
	v_and_b32_e32 v178, 7, v178
	v_cmp_eq_u32_e32 vcc_lo, 0, v167
	s_delay_alu instid0(VALU_DEP_2) | instskip(NEXT) | instid1(VALU_DEP_1)
	v_dual_cndmask_b32 v167, v167, v177 :: v_dual_cndmask_b32 v176, v176, v178
	v_lshl_add_u32 v167, v167, 23, 0x3b800000
	s_delay_alu instid0(VALU_DEP_2) | instskip(NEXT) | instid1(VALU_DEP_1)
	v_lshlrev_b32_e32 v176, 20, v176
	v_or3_b32 v167, v166, v167, v176
.LBB4_4088:                             ;   in Loop: Header=BB4_3808 Depth=3
	s_or_b32 exec_lo, exec_lo, s16
	s_delay_alu instid0(VALU_DEP_1) | instskip(NEXT) | instid1(VALU_DEP_1)
	v_add_f32_e32 v166, v165, v167
	v_and_b32_e32 v165, 0x7f800000, v166
	s_delay_alu instid0(VALU_DEP_1)
	v_cmp_ne_u32_e32 vcc_lo, 0x7f800000, v165
	v_mov_b32_e32 v165, 0x80
	s_and_saveexec_b32 s16, vcc_lo
	s_cbranch_execz .LBB4_4096
; %bb.4089:                             ;   in Loop: Header=BB4_3808 Depth=3
	v_mov_b32_e32 v165, 0
	s_mov_b32 s17, exec_lo
	v_cmpx_ne_u32_e32 0, v166
	s_cbranch_execz .LBB4_4095
; %bb.4090:                             ;   in Loop: Header=BB4_3808 Depth=3
	v_bfe_u32 v165, v166, 23, 8
	s_delay_alu instid0(VALU_DEP_1) | instskip(SKIP_1) | instid1(VALU_DEP_2)
	v_sub_nc_u32_e32 v176, 0x78, v165
	v_cmp_gt_u32_e32 vcc_lo, 0x79, v165
	v_dual_cndmask_b32 v176, 0, v176 :: v_dual_and_b32 v167, 0x7fffff, v166
	s_delay_alu instid0(VALU_DEP_1) | instskip(SKIP_2) | instid1(VALU_DEP_4)
	v_or_b32_e32 v177, 0x800000, v167
	v_cmp_eq_u32_e32 vcc_lo, 0, v165
	v_add_nc_u32_e32 v165, 0xffffff89, v165
	v_cndmask_b32_e64 v176, v176, 0x77, vcc_lo
	s_delay_alu instid0(VALU_DEP_2) | instskip(SKIP_1) | instid1(VALU_DEP_3)
	v_cndmask_b32_e64 v165, v165, 0xffffff8a, vcc_lo
	v_cndmask_b32_e32 v167, v177, v167, vcc_lo
	v_lshl_add_u32 v177, 0x100000, v176, -1
	v_lshlrev_b32_e64 v180, v176, 0x80000
	s_delay_alu instid0(VALU_DEP_3) | instskip(SKIP_1) | instid1(VALU_DEP_4)
	v_lshrrev_b32_e32 v178, v176, v167
	v_add_nc_u32_e32 v176, v176, v165
	v_and_b32_e32 v167, v177, v167
	s_delay_alu instid0(VALU_DEP_3) | instskip(NEXT) | instid1(VALU_DEP_2)
	v_bfe_u32 v179, v178, 20, 1
	v_cmp_eq_u32_e64 s13, v167, v180
	s_delay_alu instid0(VALU_DEP_2) | instskip(NEXT) | instid1(VALU_DEP_1)
	v_add_nc_u32_e32 v177, -1, v179
	v_cndmask_b32_e64 v167, 0, v177, s13
	v_lshrrev_b32_e32 v177, 23, v178
	s_mov_b32 s13, exec_lo
	s_delay_alu instid0(VALU_DEP_2) | instskip(NEXT) | instid1(VALU_DEP_2)
	v_add_nc_u32_e32 v167, v167, v178
	v_xor_b32_e32 v177, 1, v177
	s_delay_alu instid0(VALU_DEP_2) | instskip(NEXT) | instid1(VALU_DEP_1)
	v_and_b32_e32 v165, 0xfffff, v167
	v_add_nc_u32_e32 v167, v165, v178
                                        ; implicit-def: $vgpr165
	s_delay_alu instid0(VALU_DEP_3)
	v_cmpx_ne_u32_e64 v176, v177
	s_xor_b32 s13, exec_lo, s13
; %bb.4091:                             ;   in Loop: Header=BB4_3808 Depth=3
	s_delay_alu instid0(VALU_DEP_2) | instskip(SKIP_2) | instid1(VALU_DEP_2)
	v_cmp_lt_u32_e32 vcc_lo, 0xffffff, v167
	v_sub_nc_u32_e32 v165, v176, v177
	v_cndmask_b32_e64 v176, 0, 1, vcc_lo
	v_add_co_ci_u32_e32 v165, vcc_lo, 0, v165, vcc_lo
	s_delay_alu instid0(VALU_DEP_2)
	v_lshrrev_b32_e32 v167, v176, v167
; %bb.4092:                             ;   in Loop: Header=BB4_3808 Depth=3
	s_and_not1_saveexec_b32 s13, s13
; %bb.4093:                             ;   in Loop: Header=BB4_3808 Depth=3
	s_delay_alu instid0(VALU_DEP_1)
	v_bfe_u32 v165, v167, 23, 1
; %bb.4094:                             ;   in Loop: Header=BB4_3808 Depth=3
	s_or_b32 exec_lo, exec_lo, s13
	v_lshrrev_b32_e32 v167, 20, v167
	s_delay_alu instid0(VALU_DEP_2) | instskip(SKIP_2) | instid1(VALU_DEP_2)
	v_cmp_gt_i32_e32 vcc_lo, 16, v165
	v_lshrrev_b32_e32 v166, 24, v166
	v_min_i32_e32 v176, 15, v165
	v_dual_cndmask_b32 v167, 7, v167 :: v_dual_and_b32 v166, 0x80, v166
	s_delay_alu instid0(VALU_DEP_1) | instskip(SKIP_1) | instid1(VALU_DEP_2)
	v_or_b32_e32 v165, v165, v167
	v_and_b32_e32 v177, 7, v167
	v_cmp_ne_u32_e32 vcc_lo, 0, v165
	v_lshlrev_b32_e32 v176, 3, v176
	s_delay_alu instid0(VALU_DEP_1) | instskip(NEXT) | instid1(VALU_DEP_1)
	v_or3_b32 v166, v176, v166, v177
	v_cndmask_b32_e32 v165, 0, v166, vcc_lo
.LBB4_4095:                             ;   in Loop: Header=BB4_3808 Depth=3
	s_or_b32 exec_lo, exec_lo, s17
.LBB4_4096:                             ;   in Loop: Header=BB4_3808 Depth=3
	s_delay_alu instid0(SALU_CYCLE_1) | instskip(SKIP_3) | instid1(VALU_DEP_1)
	s_or_b32 exec_lo, exec_lo, s16
	v_lshrrev_b32_e32 v167, 16, v12
	s_mov_b32 s13, 0
	s_mov_b32 s17, exec_lo
                                        ; implicit-def: $sgpr16
	v_and_b32_e32 v176, 0xff, v167
	s_delay_alu instid0(VALU_DEP_1)
	v_cmpx_lt_i16_e64 0x7f, v176
	s_xor_b32 s17, exec_lo, s17
	s_cbranch_execnz .LBB4_4462
; %bb.4097:                             ;   in Loop: Header=BB4_3808 Depth=3
	s_or_saveexec_b32 s17, s17
	v_mov_b32_e32 v166, s16
	s_xor_b32 exec_lo, exec_lo, s17
	s_cbranch_execnz .LBB4_4465
.LBB4_4098:                             ;   in Loop: Header=BB4_3808 Depth=3
	s_or_b32 exec_lo, exec_lo, s17
	s_and_saveexec_b32 s16, s13
	s_cbranch_execz .LBB4_4100
.LBB4_4099:                             ;   in Loop: Header=BB4_3808 Depth=3
	v_bfe_u32 v166, v12, 16, 3
	v_lshlrev_b32_e32 v178, 8, v12
	s_delay_alu instid0(VALU_DEP_2) | instskip(NEXT) | instid1(VALU_DEP_1)
	v_clz_i32_u32_e32 v176, v166
	v_min_u32_e32 v176, 32, v176
	s_delay_alu instid0(VALU_DEP_1) | instskip(SKIP_1) | instid1(VALU_DEP_2)
	v_subrev_nc_u32_e32 v177, 28, v176
	v_sub_nc_u32_e32 v176, 29, v176
	v_lshlrev_b32_e32 v167, v177, v167
	v_bfe_u32 v177, v12, 19, 4
	s_delay_alu instid0(VALU_DEP_1) | instskip(NEXT) | instid1(VALU_DEP_3)
	v_cmp_eq_u32_e32 vcc_lo, 0, v177
	v_dual_cndmask_b32 v176, v177, v176 :: v_dual_and_b32 v167, 7, v167
	s_delay_alu instid0(VALU_DEP_1) | instskip(NEXT) | instid1(VALU_DEP_2)
	v_dual_cndmask_b32 v166, v166, v167 :: v_dual_and_b32 v167, 0x80000000, v178
	v_lshl_add_u32 v176, v176, 23, 0x3b800000
	s_delay_alu instid0(VALU_DEP_2) | instskip(NEXT) | instid1(VALU_DEP_1)
	v_lshlrev_b32_e32 v166, 20, v166
	v_or3_b32 v166, v167, v176, v166
.LBB4_4100:                             ;   in Loop: Header=BB4_3808 Depth=3
	s_or_b32 exec_lo, exec_lo, s16
	v_lshrrev_b32_e32 v167, 16, v8
	s_mov_b32 s13, 0
	s_mov_b32 s17, exec_lo
                                        ; implicit-def: $sgpr16
	s_delay_alu instid0(VALU_DEP_1) | instskip(NEXT) | instid1(VALU_DEP_1)
	v_and_b32_e32 v177, 0xff, v167
	v_cmpx_lt_i16_e64 0x7f, v177
	s_xor_b32 s17, exec_lo, s17
	s_cbranch_execnz .LBB4_4466
; %bb.4101:                             ;   in Loop: Header=BB4_3808 Depth=3
	s_or_saveexec_b32 s17, s17
	v_mov_b32_e32 v176, s16
	s_xor_b32 exec_lo, exec_lo, s17
	s_cbranch_execnz .LBB4_4469
.LBB4_4102:                             ;   in Loop: Header=BB4_3808 Depth=3
	s_or_b32 exec_lo, exec_lo, s17
	s_and_saveexec_b32 s16, s13
	s_cbranch_execz .LBB4_4104
.LBB4_4103:                             ;   in Loop: Header=BB4_3808 Depth=3
	v_bfe_u32 v176, v8, 16, 3
	v_lshlrev_b32_e32 v179, 8, v8
	s_delay_alu instid0(VALU_DEP_2) | instskip(NEXT) | instid1(VALU_DEP_1)
	v_clz_i32_u32_e32 v177, v176
	v_min_u32_e32 v177, 32, v177
	s_delay_alu instid0(VALU_DEP_1) | instskip(SKIP_1) | instid1(VALU_DEP_2)
	v_subrev_nc_u32_e32 v178, 28, v177
	v_sub_nc_u32_e32 v177, 29, v177
	v_lshlrev_b32_e32 v167, v178, v167
	v_bfe_u32 v178, v8, 19, 4
	s_delay_alu instid0(VALU_DEP_2) | instskip(NEXT) | instid1(VALU_DEP_2)
	v_and_b32_e32 v167, 7, v167
	v_cmp_eq_u32_e32 vcc_lo, 0, v178
	v_cndmask_b32_e32 v177, v178, v177, vcc_lo
	s_delay_alu instid0(VALU_DEP_3) | instskip(SKIP_1) | instid1(VALU_DEP_3)
	v_cndmask_b32_e32 v167, v176, v167, vcc_lo
	v_and_b32_e32 v176, 0x80000000, v179
	v_lshl_add_u32 v177, v177, 23, 0x3b800000
	s_delay_alu instid0(VALU_DEP_3) | instskip(NEXT) | instid1(VALU_DEP_1)
	v_lshlrev_b32_e32 v167, 20, v167
	v_or3_b32 v176, v176, v177, v167
.LBB4_4104:                             ;   in Loop: Header=BB4_3808 Depth=3
	s_or_b32 exec_lo, exec_lo, s16
	s_delay_alu instid0(VALU_DEP_1) | instskip(NEXT) | instid1(VALU_DEP_1)
	v_add_f32_e32 v167, v166, v176
	v_and_b32_e32 v166, 0x7f800000, v167
	s_delay_alu instid0(VALU_DEP_1)
	v_cmp_ne_u32_e32 vcc_lo, 0x7f800000, v166
	v_mov_b32_e32 v166, 0x80
	s_and_saveexec_b32 s16, vcc_lo
	s_cbranch_execz .LBB4_4112
; %bb.4105:                             ;   in Loop: Header=BB4_3808 Depth=3
	v_mov_b32_e32 v166, 0
	s_mov_b32 s17, exec_lo
	v_cmpx_ne_u32_e32 0, v167
	s_cbranch_execz .LBB4_4111
; %bb.4106:                             ;   in Loop: Header=BB4_3808 Depth=3
	v_bfe_u32 v166, v167, 23, 8
	s_delay_alu instid0(VALU_DEP_1) | instskip(SKIP_1) | instid1(VALU_DEP_2)
	v_sub_nc_u32_e32 v177, 0x78, v166
	v_cmp_gt_u32_e32 vcc_lo, 0x79, v166
	v_dual_cndmask_b32 v177, 0, v177 :: v_dual_and_b32 v176, 0x7fffff, v167
	s_delay_alu instid0(VALU_DEP_1) | instskip(SKIP_2) | instid1(VALU_DEP_4)
	v_or_b32_e32 v178, 0x800000, v176
	v_cmp_eq_u32_e32 vcc_lo, 0, v166
	v_add_nc_u32_e32 v166, 0xffffff89, v166
	v_cndmask_b32_e64 v177, v177, 0x77, vcc_lo
	s_delay_alu instid0(VALU_DEP_2) | instskip(SKIP_1) | instid1(VALU_DEP_3)
	v_cndmask_b32_e64 v166, v166, 0xffffff8a, vcc_lo
	v_cndmask_b32_e32 v176, v178, v176, vcc_lo
	v_lshl_add_u32 v178, 0x100000, v177, -1
	v_lshlrev_b32_e64 v181, v177, 0x80000
	s_delay_alu instid0(VALU_DEP_3) | instskip(SKIP_1) | instid1(VALU_DEP_4)
	v_lshrrev_b32_e32 v179, v177, v176
	v_add_nc_u32_e32 v177, v177, v166
	v_and_b32_e32 v176, v178, v176
	s_delay_alu instid0(VALU_DEP_3) | instskip(NEXT) | instid1(VALU_DEP_2)
	v_bfe_u32 v180, v179, 20, 1
	v_cmp_eq_u32_e64 s13, v176, v181
	s_delay_alu instid0(VALU_DEP_2) | instskip(NEXT) | instid1(VALU_DEP_1)
	v_add_nc_u32_e32 v178, -1, v180
	v_cndmask_b32_e64 v176, 0, v178, s13
	v_lshrrev_b32_e32 v178, 23, v179
	s_mov_b32 s13, exec_lo
	s_delay_alu instid0(VALU_DEP_2) | instskip(NEXT) | instid1(VALU_DEP_2)
	v_add_nc_u32_e32 v176, v176, v179
	v_xor_b32_e32 v178, 1, v178
	s_delay_alu instid0(VALU_DEP_2) | instskip(NEXT) | instid1(VALU_DEP_1)
	v_and_b32_e32 v166, 0xfffff, v176
	v_add_nc_u32_e32 v176, v166, v179
                                        ; implicit-def: $vgpr166
	s_delay_alu instid0(VALU_DEP_3)
	v_cmpx_ne_u32_e64 v177, v178
	s_xor_b32 s13, exec_lo, s13
; %bb.4107:                             ;   in Loop: Header=BB4_3808 Depth=3
	s_delay_alu instid0(VALU_DEP_2) | instskip(SKIP_2) | instid1(VALU_DEP_2)
	v_cmp_lt_u32_e32 vcc_lo, 0xffffff, v176
	v_sub_nc_u32_e32 v166, v177, v178
	v_cndmask_b32_e64 v177, 0, 1, vcc_lo
	v_add_co_ci_u32_e32 v166, vcc_lo, 0, v166, vcc_lo
	s_delay_alu instid0(VALU_DEP_2)
	v_lshrrev_b32_e32 v176, v177, v176
; %bb.4108:                             ;   in Loop: Header=BB4_3808 Depth=3
	s_and_not1_saveexec_b32 s13, s13
; %bb.4109:                             ;   in Loop: Header=BB4_3808 Depth=3
	s_delay_alu instid0(VALU_DEP_1)
	v_bfe_u32 v166, v176, 23, 1
; %bb.4110:                             ;   in Loop: Header=BB4_3808 Depth=3
	s_or_b32 exec_lo, exec_lo, s13
	v_lshrrev_b32_e32 v176, 20, v176
	s_delay_alu instid0(VALU_DEP_2) | instskip(SKIP_2) | instid1(VALU_DEP_2)
	v_cmp_gt_i32_e32 vcc_lo, 16, v166
	v_lshrrev_b32_e32 v167, 24, v167
	v_min_i32_e32 v177, 15, v166
	v_dual_cndmask_b32 v176, 7, v176 :: v_dual_and_b32 v167, 0x80, v167
	s_delay_alu instid0(VALU_DEP_1) | instskip(SKIP_1) | instid1(VALU_DEP_2)
	v_or_b32_e32 v166, v166, v176
	v_and_b32_e32 v178, 7, v176
	v_cmp_ne_u32_e32 vcc_lo, 0, v166
	v_lshlrev_b32_e32 v177, 3, v177
	s_delay_alu instid0(VALU_DEP_1) | instskip(NEXT) | instid1(VALU_DEP_1)
	v_or3_b32 v167, v177, v167, v178
	v_cndmask_b32_e32 v166, 0, v167, vcc_lo
.LBB4_4111:                             ;   in Loop: Header=BB4_3808 Depth=3
	s_or_b32 exec_lo, exec_lo, s17
.LBB4_4112:                             ;   in Loop: Header=BB4_3808 Depth=3
	s_delay_alu instid0(SALU_CYCLE_1) | instskip(SKIP_3) | instid1(VALU_DEP_1)
	s_or_b32 exec_lo, exec_lo, s16
	v_lshrrev_b32_e32 v176, 24, v12
	s_mov_b32 s13, 0
	s_mov_b32 s17, exec_lo
                                        ; implicit-def: $sgpr16
	v_cmpx_lt_i16_e64 0x7f, v176
	s_xor_b32 s17, exec_lo, s17
	s_cbranch_execnz .LBB4_4470
; %bb.4113:                             ;   in Loop: Header=BB4_3808 Depth=3
	s_or_saveexec_b32 s17, s17
	v_mov_b32_e32 v167, s16
	s_xor_b32 exec_lo, exec_lo, s17
	s_cbranch_execnz .LBB4_4473
.LBB4_4114:                             ;   in Loop: Header=BB4_3808 Depth=3
	s_or_b32 exec_lo, exec_lo, s17
	s_and_saveexec_b32 s16, s13
	s_cbranch_execz .LBB4_4116
.LBB4_4115:                             ;   in Loop: Header=BB4_3808 Depth=3
	v_bfe_u32 v167, v12, 24, 3
	s_delay_alu instid0(VALU_DEP_1) | instskip(NEXT) | instid1(VALU_DEP_1)
	v_clz_i32_u32_e32 v177, v167
	v_min_u32_e32 v177, 32, v177
	s_delay_alu instid0(VALU_DEP_1) | instskip(SKIP_1) | instid1(VALU_DEP_2)
	v_subrev_nc_u32_e32 v178, 28, v177
	v_sub_nc_u32_e32 v177, 29, v177
	v_lshlrev_b32_e32 v176, v178, v176
	v_bfe_u32 v178, v12, 27, 4
	v_and_b32_e32 v12, 0x80000000, v12
	s_delay_alu instid0(VALU_DEP_2) | instskip(NEXT) | instid1(VALU_DEP_4)
	v_cmp_eq_u32_e32 vcc_lo, 0, v178
	v_dual_cndmask_b32 v177, v178, v177 :: v_dual_and_b32 v176, 7, v176
	s_delay_alu instid0(VALU_DEP_1) | instskip(NEXT) | instid1(VALU_DEP_2)
	v_cndmask_b32_e32 v167, v167, v176, vcc_lo
	v_lshl_add_u32 v176, v177, 23, 0x3b800000
	s_delay_alu instid0(VALU_DEP_2) | instskip(NEXT) | instid1(VALU_DEP_1)
	v_lshlrev_b32_e32 v167, 20, v167
	v_or3_b32 v167, v12, v176, v167
.LBB4_4116:                             ;   in Loop: Header=BB4_3808 Depth=3
	s_or_b32 exec_lo, exec_lo, s16
	v_lshrrev_b32_e32 v12, 24, v8
	s_mov_b32 s13, 0
	s_mov_b32 s17, exec_lo
                                        ; implicit-def: $sgpr16
	s_delay_alu instid0(VALU_DEP_1)
	v_cmpx_lt_i16_e32 0x7f, v12
	s_xor_b32 s17, exec_lo, s17
	s_cbranch_execnz .LBB4_4474
; %bb.4117:                             ;   in Loop: Header=BB4_3808 Depth=3
	s_or_saveexec_b32 s17, s17
	v_mov_b32_e32 v176, s16
	s_xor_b32 exec_lo, exec_lo, s17
	s_cbranch_execnz .LBB4_4477
.LBB4_4118:                             ;   in Loop: Header=BB4_3808 Depth=3
	s_or_b32 exec_lo, exec_lo, s17
	s_and_saveexec_b32 s16, s13
	s_cbranch_execz .LBB4_4120
.LBB4_4119:                             ;   in Loop: Header=BB4_3808 Depth=3
	v_bfe_u32 v176, v8, 24, 3
	s_delay_alu instid0(VALU_DEP_1) | instskip(NEXT) | instid1(VALU_DEP_1)
	v_clz_i32_u32_e32 v177, v176
	v_min_u32_e32 v177, 32, v177
	s_delay_alu instid0(VALU_DEP_1) | instskip(SKIP_1) | instid1(VALU_DEP_2)
	v_subrev_nc_u32_e32 v178, 28, v177
	v_sub_nc_u32_e32 v177, 29, v177
	v_lshlrev_b32_e32 v12, v178, v12
	v_bfe_u32 v178, v8, 27, 4
	v_and_b32_e32 v8, 0x80000000, v8
	s_delay_alu instid0(VALU_DEP_2) | instskip(NEXT) | instid1(VALU_DEP_4)
	v_cmp_eq_u32_e32 vcc_lo, 0, v178
	v_dual_cndmask_b32 v177, v178, v177 :: v_dual_and_b32 v12, 7, v12
	s_delay_alu instid0(VALU_DEP_1) | instskip(NEXT) | instid1(VALU_DEP_2)
	v_cndmask_b32_e32 v12, v176, v12, vcc_lo
	v_lshl_add_u32 v176, v177, 23, 0x3b800000
	s_delay_alu instid0(VALU_DEP_2) | instskip(NEXT) | instid1(VALU_DEP_1)
	v_lshlrev_b32_e32 v12, 20, v12
	v_or3_b32 v176, v8, v176, v12
.LBB4_4120:                             ;   in Loop: Header=BB4_3808 Depth=3
	s_or_b32 exec_lo, exec_lo, s16
	s_delay_alu instid0(VALU_DEP_1) | instskip(NEXT) | instid1(VALU_DEP_1)
	v_add_f32_e32 v12, v167, v176
	v_and_b32_e32 v8, 0x7f800000, v12
	s_delay_alu instid0(VALU_DEP_1)
	v_cmp_ne_u32_e32 vcc_lo, 0x7f800000, v8
	v_mov_b32_e32 v8, 0x80
	s_and_saveexec_b32 s16, vcc_lo
	s_cbranch_execz .LBB4_4128
; %bb.4121:                             ;   in Loop: Header=BB4_3808 Depth=3
	v_mov_b32_e32 v8, 0
	s_mov_b32 s17, exec_lo
	v_cmpx_ne_u32_e32 0, v12
	s_cbranch_execz .LBB4_4127
; %bb.4122:                             ;   in Loop: Header=BB4_3808 Depth=3
	v_bfe_u32 v8, v12, 23, 8
	v_and_b32_e32 v167, 0x7fffff, v12
	s_delay_alu instid0(VALU_DEP_2) | instskip(SKIP_1) | instid1(VALU_DEP_3)
	v_sub_nc_u32_e32 v176, 0x78, v8
	v_cmp_gt_u32_e32 vcc_lo, 0x79, v8
	v_or_b32_e32 v177, 0x800000, v167
	s_delay_alu instid0(VALU_DEP_3) | instskip(SKIP_1) | instid1(VALU_DEP_3)
	v_cndmask_b32_e32 v176, 0, v176, vcc_lo
	v_cmp_eq_u32_e32 vcc_lo, 0, v8
	v_dual_cndmask_b32 v167, v177, v167 :: v_dual_add_nc_u32 v8, 0xffffff89, v8
	s_delay_alu instid0(VALU_DEP_3) | instskip(NEXT) | instid1(VALU_DEP_2)
	v_cndmask_b32_e64 v176, v176, 0x77, vcc_lo
	v_cndmask_b32_e64 v8, v8, 0xffffff8a, vcc_lo
	s_delay_alu instid0(VALU_DEP_2) | instskip(SKIP_2) | instid1(VALU_DEP_4)
	v_lshrrev_b32_e32 v178, v176, v167
	v_lshl_add_u32 v177, 0x100000, v176, -1
	v_lshlrev_b32_e64 v180, v176, 0x80000
	v_add_nc_u32_e32 v176, v176, v8
	s_delay_alu instid0(VALU_DEP_4) | instskip(NEXT) | instid1(VALU_DEP_4)
	v_bfe_u32 v179, v178, 20, 1
	v_and_b32_e32 v167, v177, v167
	s_delay_alu instid0(VALU_DEP_2) | instskip(NEXT) | instid1(VALU_DEP_2)
	v_add_nc_u32_e32 v177, -1, v179
	v_cmp_eq_u32_e64 s13, v167, v180
	s_delay_alu instid0(VALU_DEP_1) | instskip(SKIP_2) | instid1(VALU_DEP_2)
	v_cndmask_b32_e64 v167, 0, v177, s13
	v_lshrrev_b32_e32 v177, 23, v178
	s_mov_b32 s13, exec_lo
	v_add_nc_u32_e32 v167, v167, v178
	s_delay_alu instid0(VALU_DEP_2) | instskip(NEXT) | instid1(VALU_DEP_2)
	v_xor_b32_e32 v177, 1, v177
	v_and_b32_e32 v8, 0xfffff, v167
	s_delay_alu instid0(VALU_DEP_1) | instskip(NEXT) | instid1(VALU_DEP_3)
	v_add_nc_u32_e32 v167, v8, v178
                                        ; implicit-def: $vgpr8
	v_cmpx_ne_u32_e64 v176, v177
	s_xor_b32 s13, exec_lo, s13
; %bb.4123:                             ;   in Loop: Header=BB4_3808 Depth=3
	s_delay_alu instid0(VALU_DEP_2) | instskip(SKIP_2) | instid1(VALU_DEP_2)
	v_cmp_lt_u32_e32 vcc_lo, 0xffffff, v167
	v_sub_nc_u32_e32 v8, v176, v177
	v_cndmask_b32_e64 v176, 0, 1, vcc_lo
	v_add_co_ci_u32_e32 v8, vcc_lo, 0, v8, vcc_lo
	s_delay_alu instid0(VALU_DEP_2)
	v_lshrrev_b32_e32 v167, v176, v167
; %bb.4124:                             ;   in Loop: Header=BB4_3808 Depth=3
	s_and_not1_saveexec_b32 s13, s13
; %bb.4125:                             ;   in Loop: Header=BB4_3808 Depth=3
	s_delay_alu instid0(VALU_DEP_1)
	v_bfe_u32 v8, v167, 23, 1
; %bb.4126:                             ;   in Loop: Header=BB4_3808 Depth=3
	s_or_b32 exec_lo, exec_lo, s13
	v_lshrrev_b32_e32 v167, 20, v167
	s_delay_alu instid0(VALU_DEP_2) | instskip(SKIP_2) | instid1(VALU_DEP_2)
	v_cmp_gt_i32_e32 vcc_lo, 16, v8
	v_lshrrev_b32_e32 v12, 24, v12
	v_min_i32_e32 v176, 15, v8
	v_dual_cndmask_b32 v167, 7, v167 :: v_dual_and_b32 v12, 0x80, v12
	s_delay_alu instid0(VALU_DEP_2) | instskip(NEXT) | instid1(VALU_DEP_2)
	v_lshlrev_b32_e32 v176, 3, v176
	v_or_b32_e32 v8, v8, v167
	s_delay_alu instid0(VALU_DEP_1) | instskip(SKIP_1) | instid1(VALU_DEP_1)
	v_cmp_ne_u32_e32 vcc_lo, 0, v8
	v_and_b32_e32 v177, 7, v167
	v_or3_b32 v12, v176, v12, v177
	s_delay_alu instid0(VALU_DEP_1)
	v_cndmask_b32_e32 v8, 0, v12, vcc_lo
.LBB4_4127:                             ;   in Loop: Header=BB4_3808 Depth=3
	s_or_b32 exec_lo, exec_lo, s17
.LBB4_4128:                             ;   in Loop: Header=BB4_3808 Depth=3
	s_delay_alu instid0(SALU_CYCLE_1) | instskip(SKIP_3) | instid1(VALU_DEP_1)
	s_or_b32 exec_lo, exec_lo, s16
	v_and_b32_e32 v167, 0xff, v13
	s_mov_b32 s13, 0
	s_mov_b32 s17, exec_lo
                                        ; implicit-def: $sgpr16
	v_cmpx_lt_i16_e64 0x7f, v167
	s_xor_b32 s17, exec_lo, s17
	s_cbranch_execnz .LBB4_4478
; %bb.4129:                             ;   in Loop: Header=BB4_3808 Depth=3
	s_or_saveexec_b32 s17, s17
	v_mov_b32_e32 v12, s16
	s_xor_b32 exec_lo, exec_lo, s17
	s_cbranch_execnz .LBB4_4481
.LBB4_4130:                             ;   in Loop: Header=BB4_3808 Depth=3
	s_or_b32 exec_lo, exec_lo, s17
	s_and_saveexec_b32 s16, s13
	s_cbranch_execz .LBB4_4132
.LBB4_4131:                             ;   in Loop: Header=BB4_3808 Depth=3
	v_bfe_u32 v177, v13, 3, 4
	v_lshlrev_b32_e32 v178, 24, v13
	s_delay_alu instid0(VALU_DEP_2) | instskip(SKIP_1) | instid1(VALU_DEP_1)
	v_cmp_eq_u32_e32 vcc_lo, 0, v177
	v_and_b32_e32 v12, 7, v13
	v_clz_i32_u32_e32 v167, v12
	s_delay_alu instid0(VALU_DEP_1) | instskip(NEXT) | instid1(VALU_DEP_1)
	v_min_u32_e32 v167, 32, v167
	v_subrev_nc_u32_e32 v176, 28, v167
	v_sub_nc_u32_e32 v167, 29, v167
	s_delay_alu instid0(VALU_DEP_1) | instskip(NEXT) | instid1(VALU_DEP_1)
	v_dual_cndmask_b32 v167, v177, v167 :: v_dual_lshlrev_b32 v176, v176, v13
	v_and_b32_e32 v176, 7, v176
	s_delay_alu instid0(VALU_DEP_2) | instskip(NEXT) | instid1(VALU_DEP_2)
	v_lshl_add_u32 v167, v167, 23, 0x3b800000
	v_cndmask_b32_e32 v12, v12, v176, vcc_lo
	v_and_b32_e32 v176, 0x80000000, v178
	s_delay_alu instid0(VALU_DEP_2) | instskip(NEXT) | instid1(VALU_DEP_1)
	v_lshlrev_b32_e32 v12, 20, v12
	v_or3_b32 v12, v176, v167, v12
.LBB4_4132:                             ;   in Loop: Header=BB4_3808 Depth=3
	s_or_b32 exec_lo, exec_lo, s16
	v_and_b32_e32 v176, 0xff, v9
	s_mov_b32 s13, 0
	s_mov_b32 s17, exec_lo
                                        ; implicit-def: $sgpr16
	s_delay_alu instid0(VALU_DEP_1)
	v_cmpx_lt_i16_e64 0x7f, v176
	s_xor_b32 s17, exec_lo, s17
	s_cbranch_execnz .LBB4_4482
; %bb.4133:                             ;   in Loop: Header=BB4_3808 Depth=3
	s_or_saveexec_b32 s17, s17
	v_mov_b32_e32 v167, s16
	s_xor_b32 exec_lo, exec_lo, s17
	s_cbranch_execnz .LBB4_4485
.LBB4_4134:                             ;   in Loop: Header=BB4_3808 Depth=3
	s_or_b32 exec_lo, exec_lo, s17
	s_and_saveexec_b32 s16, s13
	s_cbranch_execz .LBB4_4136
.LBB4_4135:                             ;   in Loop: Header=BB4_3808 Depth=3
	v_bfe_u32 v178, v9, 3, 4
	v_lshlrev_b32_e32 v179, 24, v9
	s_delay_alu instid0(VALU_DEP_2) | instskip(SKIP_1) | instid1(VALU_DEP_1)
	v_cmp_eq_u32_e32 vcc_lo, 0, v178
	v_and_b32_e32 v167, 7, v9
	v_clz_i32_u32_e32 v176, v167
	s_delay_alu instid0(VALU_DEP_1) | instskip(NEXT) | instid1(VALU_DEP_1)
	v_min_u32_e32 v176, 32, v176
	v_subrev_nc_u32_e32 v177, 28, v176
	v_sub_nc_u32_e32 v176, 29, v176
	s_delay_alu instid0(VALU_DEP_1) | instskip(NEXT) | instid1(VALU_DEP_1)
	v_dual_cndmask_b32 v176, v178, v176 :: v_dual_lshlrev_b32 v177, v177, v9
	v_and_b32_e32 v177, 7, v177
	s_delay_alu instid0(VALU_DEP_2) | instskip(NEXT) | instid1(VALU_DEP_2)
	v_lshl_add_u32 v176, v176, 23, 0x3b800000
	v_cndmask_b32_e32 v167, v167, v177, vcc_lo
	v_and_b32_e32 v177, 0x80000000, v179
	s_delay_alu instid0(VALU_DEP_2) | instskip(NEXT) | instid1(VALU_DEP_1)
	v_lshlrev_b32_e32 v167, 20, v167
	v_or3_b32 v167, v177, v176, v167
.LBB4_4136:                             ;   in Loop: Header=BB4_3808 Depth=3
	s_or_b32 exec_lo, exec_lo, s16
	s_delay_alu instid0(VALU_DEP_1) | instskip(NEXT) | instid1(VALU_DEP_1)
	v_add_f32_e32 v167, v12, v167
	v_and_b32_e32 v12, 0x7f800000, v167
	s_delay_alu instid0(VALU_DEP_1)
	v_cmp_ne_u32_e32 vcc_lo, 0x7f800000, v12
	v_mov_b32_e32 v12, 0x80
	s_and_saveexec_b32 s16, vcc_lo
	s_cbranch_execz .LBB4_4144
; %bb.4137:                             ;   in Loop: Header=BB4_3808 Depth=3
	v_mov_b32_e32 v12, 0
	s_mov_b32 s17, exec_lo
	v_cmpx_ne_u32_e32 0, v167
	s_cbranch_execz .LBB4_4143
; %bb.4138:                             ;   in Loop: Header=BB4_3808 Depth=3
	v_bfe_u32 v12, v167, 23, 8
	s_delay_alu instid0(VALU_DEP_1) | instskip(SKIP_1) | instid1(VALU_DEP_2)
	v_sub_nc_u32_e32 v177, 0x78, v12
	v_cmp_gt_u32_e32 vcc_lo, 0x79, v12
	v_dual_cndmask_b32 v177, 0, v177 :: v_dual_and_b32 v176, 0x7fffff, v167
	s_delay_alu instid0(VALU_DEP_1) | instskip(SKIP_2) | instid1(VALU_DEP_4)
	v_or_b32_e32 v178, 0x800000, v176
	v_cmp_eq_u32_e32 vcc_lo, 0, v12
	v_add_nc_u32_e32 v12, 0xffffff89, v12
	v_cndmask_b32_e64 v177, v177, 0x77, vcc_lo
	s_delay_alu instid0(VALU_DEP_4) | instskip(NEXT) | instid1(VALU_DEP_3)
	v_cndmask_b32_e32 v176, v178, v176, vcc_lo
	v_cndmask_b32_e64 v12, v12, 0xffffff8a, vcc_lo
	s_delay_alu instid0(VALU_DEP_3) | instskip(NEXT) | instid1(VALU_DEP_3)
	v_lshl_add_u32 v178, 0x100000, v177, -1
	v_lshrrev_b32_e32 v179, v177, v176
	v_lshlrev_b32_e64 v181, v177, 0x80000
	s_delay_alu instid0(VALU_DEP_4) | instskip(NEXT) | instid1(VALU_DEP_4)
	v_add_nc_u32_e32 v177, v177, v12
	v_and_b32_e32 v176, v178, v176
	s_delay_alu instid0(VALU_DEP_4) | instskip(NEXT) | instid1(VALU_DEP_2)
	v_bfe_u32 v180, v179, 20, 1
	v_cmp_eq_u32_e64 s13, v176, v181
	s_delay_alu instid0(VALU_DEP_2) | instskip(NEXT) | instid1(VALU_DEP_1)
	v_add_nc_u32_e32 v178, -1, v180
	v_cndmask_b32_e64 v176, 0, v178, s13
	v_lshrrev_b32_e32 v178, 23, v179
	s_mov_b32 s13, exec_lo
	s_delay_alu instid0(VALU_DEP_2) | instskip(NEXT) | instid1(VALU_DEP_2)
	v_add_nc_u32_e32 v176, v176, v179
	v_xor_b32_e32 v178, 1, v178
	s_delay_alu instid0(VALU_DEP_2) | instskip(NEXT) | instid1(VALU_DEP_1)
	v_and_b32_e32 v12, 0xfffff, v176
	v_add_nc_u32_e32 v176, v12, v179
                                        ; implicit-def: $vgpr12
	s_delay_alu instid0(VALU_DEP_3)
	v_cmpx_ne_u32_e64 v177, v178
	s_xor_b32 s13, exec_lo, s13
; %bb.4139:                             ;   in Loop: Header=BB4_3808 Depth=3
	s_delay_alu instid0(VALU_DEP_2) | instskip(SKIP_2) | instid1(VALU_DEP_2)
	v_cmp_lt_u32_e32 vcc_lo, 0xffffff, v176
	v_sub_nc_u32_e32 v12, v177, v178
	v_cndmask_b32_e64 v177, 0, 1, vcc_lo
	v_add_co_ci_u32_e32 v12, vcc_lo, 0, v12, vcc_lo
	s_delay_alu instid0(VALU_DEP_2)
	v_lshrrev_b32_e32 v176, v177, v176
; %bb.4140:                             ;   in Loop: Header=BB4_3808 Depth=3
	s_and_not1_saveexec_b32 s13, s13
; %bb.4141:                             ;   in Loop: Header=BB4_3808 Depth=3
	s_delay_alu instid0(VALU_DEP_1)
	v_bfe_u32 v12, v176, 23, 1
; %bb.4142:                             ;   in Loop: Header=BB4_3808 Depth=3
	s_or_b32 exec_lo, exec_lo, s13
	v_lshrrev_b32_e32 v176, 20, v176
	s_delay_alu instid0(VALU_DEP_2) | instskip(SKIP_2) | instid1(VALU_DEP_2)
	v_cmp_gt_i32_e32 vcc_lo, 16, v12
	v_lshrrev_b32_e32 v167, 24, v167
	v_min_i32_e32 v177, 15, v12
	v_dual_cndmask_b32 v176, 7, v176 :: v_dual_and_b32 v167, 0x80, v167
	s_delay_alu instid0(VALU_DEP_1) | instskip(SKIP_1) | instid1(VALU_DEP_2)
	v_or_b32_e32 v12, v12, v176
	v_and_b32_e32 v178, 7, v176
	v_cmp_ne_u32_e32 vcc_lo, 0, v12
	v_lshlrev_b32_e32 v177, 3, v177
	s_delay_alu instid0(VALU_DEP_1) | instskip(NEXT) | instid1(VALU_DEP_1)
	v_or3_b32 v167, v177, v167, v178
	v_cndmask_b32_e32 v12, 0, v167, vcc_lo
.LBB4_4143:                             ;   in Loop: Header=BB4_3808 Depth=3
	s_or_b32 exec_lo, exec_lo, s17
.LBB4_4144:                             ;   in Loop: Header=BB4_3808 Depth=3
	s_delay_alu instid0(SALU_CYCLE_1) | instskip(SKIP_3) | instid1(VALU_DEP_1)
	s_or_b32 exec_lo, exec_lo, s16
	v_lshrrev_b16 v176, 8, v13
	s_mov_b32 s13, 0
	s_mov_b32 s17, exec_lo
                                        ; implicit-def: $sgpr16
	v_cmpx_lt_i16_e64 0x7f, v176
	s_xor_b32 s17, exec_lo, s17
	s_cbranch_execnz .LBB4_4486
; %bb.4145:                             ;   in Loop: Header=BB4_3808 Depth=3
	s_or_saveexec_b32 s17, s17
	v_mov_b32_e32 v167, s16
	s_xor_b32 exec_lo, exec_lo, s17
	s_cbranch_execnz .LBB4_4489
.LBB4_4146:                             ;   in Loop: Header=BB4_3808 Depth=3
	s_or_b32 exec_lo, exec_lo, s17
	s_and_saveexec_b32 s16, s13
	s_cbranch_execz .LBB4_4148
.LBB4_4147:                             ;   in Loop: Header=BB4_3808 Depth=3
	v_and_b32_e32 v167, 0xffff, v176
	s_delay_alu instid0(VALU_DEP_1) | instskip(NEXT) | instid1(VALU_DEP_1)
	v_and_b32_e32 v177, 7, v167
	v_clz_i32_u32_e32 v178, v177
	s_delay_alu instid0(VALU_DEP_1) | instskip(NEXT) | instid1(VALU_DEP_1)
	v_min_u32_e32 v178, 32, v178
	v_subrev_nc_u32_e32 v179, 28, v178
	v_sub_nc_u32_e32 v178, 29, v178
	s_delay_alu instid0(VALU_DEP_2) | instskip(SKIP_1) | instid1(VALU_DEP_2)
	v_lshlrev_b32_e32 v179, v179, v167
	v_bfe_u32 v167, v167, 3, 4
	v_and_b32_e32 v179, 7, v179
	s_delay_alu instid0(VALU_DEP_2) | instskip(SKIP_1) | instid1(VALU_DEP_1)
	v_cmp_eq_u32_e32 vcc_lo, 0, v167
	v_dual_cndmask_b32 v167, v167, v178 :: v_dual_lshlrev_b32 v176, 24, v176
	v_dual_cndmask_b32 v177, v177, v179 :: v_dual_and_b32 v176, 0x80000000, v176
	s_delay_alu instid0(VALU_DEP_2) | instskip(NEXT) | instid1(VALU_DEP_2)
	v_lshl_add_u32 v167, v167, 23, 0x3b800000
	v_lshlrev_b32_e32 v177, 20, v177
	s_delay_alu instid0(VALU_DEP_1)
	v_or3_b32 v167, v176, v167, v177
.LBB4_4148:                             ;   in Loop: Header=BB4_3808 Depth=3
	s_or_b32 exec_lo, exec_lo, s16
	v_lshrrev_b16 v176, 8, v9
	s_mov_b32 s13, 0
	s_mov_b32 s17, exec_lo
                                        ; implicit-def: $sgpr16
	s_delay_alu instid0(VALU_DEP_1)
	v_cmpx_lt_i16_e64 0x7f, v176
	s_xor_b32 s17, exec_lo, s17
	s_cbranch_execnz .LBB4_4490
; %bb.4149:                             ;   in Loop: Header=BB4_3808 Depth=3
	s_or_saveexec_b32 s17, s17
	v_mov_b32_e32 v177, s16
	s_xor_b32 exec_lo, exec_lo, s17
	s_cbranch_execnz .LBB4_4493
.LBB4_4150:                             ;   in Loop: Header=BB4_3808 Depth=3
	s_or_b32 exec_lo, exec_lo, s17
	s_and_saveexec_b32 s16, s13
	s_cbranch_execz .LBB4_4152
.LBB4_4151:                             ;   in Loop: Header=BB4_3808 Depth=3
	v_and_b32_e32 v177, 0xffff, v176
	v_lshlrev_b32_e32 v176, 24, v176
	s_delay_alu instid0(VALU_DEP_2) | instskip(NEXT) | instid1(VALU_DEP_2)
	v_and_b32_e32 v178, 7, v177
	v_and_b32_e32 v176, 0x80000000, v176
	s_delay_alu instid0(VALU_DEP_2) | instskip(NEXT) | instid1(VALU_DEP_1)
	v_clz_i32_u32_e32 v179, v178
	v_min_u32_e32 v179, 32, v179
	s_delay_alu instid0(VALU_DEP_1) | instskip(SKIP_1) | instid1(VALU_DEP_2)
	v_subrev_nc_u32_e32 v180, 28, v179
	v_sub_nc_u32_e32 v179, 29, v179
	v_lshlrev_b32_e32 v180, v180, v177
	v_bfe_u32 v177, v177, 3, 4
	s_delay_alu instid0(VALU_DEP_2) | instskip(NEXT) | instid1(VALU_DEP_2)
	v_and_b32_e32 v180, 7, v180
	v_cmp_eq_u32_e32 vcc_lo, 0, v177
	s_delay_alu instid0(VALU_DEP_2) | instskip(NEXT) | instid1(VALU_DEP_1)
	v_dual_cndmask_b32 v177, v177, v179 :: v_dual_cndmask_b32 v178, v178, v180
	v_lshl_add_u32 v177, v177, 23, 0x3b800000
	s_delay_alu instid0(VALU_DEP_2) | instskip(NEXT) | instid1(VALU_DEP_1)
	v_lshlrev_b32_e32 v178, 20, v178
	v_or3_b32 v177, v176, v177, v178
.LBB4_4152:                             ;   in Loop: Header=BB4_3808 Depth=3
	s_or_b32 exec_lo, exec_lo, s16
	s_delay_alu instid0(VALU_DEP_1) | instskip(NEXT) | instid1(VALU_DEP_1)
	v_add_f32_e32 v176, v167, v177
	v_and_b32_e32 v167, 0x7f800000, v176
	s_delay_alu instid0(VALU_DEP_1)
	v_cmp_ne_u32_e32 vcc_lo, 0x7f800000, v167
	v_mov_b32_e32 v167, 0x8000
	s_and_saveexec_b32 s16, vcc_lo
	s_cbranch_execz .LBB4_4160
; %bb.4153:                             ;   in Loop: Header=BB4_3808 Depth=3
	v_mov_b32_e32 v167, 0
	s_mov_b32 s17, exec_lo
	v_cmpx_ne_u32_e32 0, v176
	s_cbranch_execz .LBB4_4159
; %bb.4154:                             ;   in Loop: Header=BB4_3808 Depth=3
	v_bfe_u32 v167, v176, 23, 8
	s_delay_alu instid0(VALU_DEP_1) | instskip(SKIP_1) | instid1(VALU_DEP_2)
	v_sub_nc_u32_e32 v178, 0x78, v167
	v_cmp_gt_u32_e32 vcc_lo, 0x79, v167
	v_dual_cndmask_b32 v178, 0, v178 :: v_dual_and_b32 v177, 0x7fffff, v176
	s_delay_alu instid0(VALU_DEP_1) | instskip(SKIP_2) | instid1(VALU_DEP_4)
	v_or_b32_e32 v179, 0x800000, v177
	v_cmp_eq_u32_e32 vcc_lo, 0, v167
	v_add_nc_u32_e32 v167, 0xffffff89, v167
	v_cndmask_b32_e64 v178, v178, 0x77, vcc_lo
	s_delay_alu instid0(VALU_DEP_2) | instskip(SKIP_1) | instid1(VALU_DEP_3)
	v_cndmask_b32_e64 v167, v167, 0xffffff8a, vcc_lo
	v_cndmask_b32_e32 v177, v179, v177, vcc_lo
	v_lshl_add_u32 v179, 0x100000, v178, -1
	v_lshlrev_b32_e64 v182, v178, 0x80000
	s_delay_alu instid0(VALU_DEP_3) | instskip(SKIP_1) | instid1(VALU_DEP_4)
	v_lshrrev_b32_e32 v180, v178, v177
	v_add_nc_u32_e32 v178, v178, v167
	v_and_b32_e32 v177, v179, v177
	s_delay_alu instid0(VALU_DEP_3) | instskip(NEXT) | instid1(VALU_DEP_2)
	v_bfe_u32 v181, v180, 20, 1
	v_cmp_eq_u32_e64 s13, v177, v182
	s_delay_alu instid0(VALU_DEP_2) | instskip(NEXT) | instid1(VALU_DEP_1)
	v_add_nc_u32_e32 v179, -1, v181
	v_cndmask_b32_e64 v177, 0, v179, s13
	v_lshrrev_b32_e32 v179, 23, v180
	s_mov_b32 s13, exec_lo
	s_delay_alu instid0(VALU_DEP_2) | instskip(NEXT) | instid1(VALU_DEP_2)
	v_add_nc_u32_e32 v177, v177, v180
	v_xor_b32_e32 v179, 1, v179
	s_delay_alu instid0(VALU_DEP_2) | instskip(NEXT) | instid1(VALU_DEP_1)
	v_and_b32_e32 v167, 0xfffff, v177
	v_add_nc_u32_e32 v177, v167, v180
                                        ; implicit-def: $vgpr167
	s_delay_alu instid0(VALU_DEP_3)
	v_cmpx_ne_u32_e64 v178, v179
	s_xor_b32 s13, exec_lo, s13
; %bb.4155:                             ;   in Loop: Header=BB4_3808 Depth=3
	s_delay_alu instid0(VALU_DEP_2) | instskip(SKIP_2) | instid1(VALU_DEP_2)
	v_cmp_lt_u32_e32 vcc_lo, 0xffffff, v177
	v_sub_nc_u32_e32 v167, v178, v179
	v_cndmask_b32_e64 v178, 0, 1, vcc_lo
	v_add_co_ci_u32_e32 v167, vcc_lo, 0, v167, vcc_lo
	s_delay_alu instid0(VALU_DEP_2)
	v_lshrrev_b32_e32 v177, v178, v177
; %bb.4156:                             ;   in Loop: Header=BB4_3808 Depth=3
	s_and_not1_saveexec_b32 s13, s13
; %bb.4157:                             ;   in Loop: Header=BB4_3808 Depth=3
	s_delay_alu instid0(VALU_DEP_1)
	v_bfe_u32 v167, v177, 23, 1
; %bb.4158:                             ;   in Loop: Header=BB4_3808 Depth=3
	s_or_b32 exec_lo, exec_lo, s13
	v_lshrrev_b32_e32 v177, 20, v177
	s_delay_alu instid0(VALU_DEP_2) | instskip(SKIP_2) | instid1(VALU_DEP_2)
	v_cmp_gt_i32_e32 vcc_lo, 16, v167
	v_min_i32_e32 v178, 15, v167
	v_lshrrev_b32_e32 v176, 24, v176
	v_dual_cndmask_b32 v177, 7, v177 :: v_dual_lshlrev_b32 v178, 3, v178
	s_delay_alu instid0(VALU_DEP_2) | instskip(NEXT) | instid1(VALU_DEP_2)
	v_and_b32_e32 v176, 0x80, v176
	v_or_b32_e32 v167, v167, v177
	v_and_b32_e32 v179, 7, v177
	s_delay_alu instid0(VALU_DEP_2) | instskip(SKIP_1) | instid1(VALU_DEP_1)
	v_cmp_ne_u32_e32 vcc_lo, 0, v167
	v_and_b32_e32 v178, 0xf8, v178
	v_or3_b32 v176, v176, v178, v179
	s_delay_alu instid0(VALU_DEP_1) | instskip(NEXT) | instid1(VALU_DEP_1)
	v_lshlrev_b32_e32 v176, 8, v176
	v_cndmask_b32_e32 v167, 0, v176, vcc_lo
.LBB4_4159:                             ;   in Loop: Header=BB4_3808 Depth=3
	s_or_b32 exec_lo, exec_lo, s17
.LBB4_4160:                             ;   in Loop: Header=BB4_3808 Depth=3
	s_delay_alu instid0(SALU_CYCLE_1) | instskip(SKIP_3) | instid1(VALU_DEP_1)
	s_or_b32 exec_lo, exec_lo, s16
	v_lshrrev_b32_e32 v177, 16, v13
	s_mov_b32 s13, 0
	s_mov_b32 s17, exec_lo
                                        ; implicit-def: $sgpr16
	v_and_b32_e32 v178, 0xff, v177
	s_delay_alu instid0(VALU_DEP_1)
	v_cmpx_lt_i16_e64 0x7f, v178
	s_xor_b32 s17, exec_lo, s17
	s_cbranch_execnz .LBB4_4494
; %bb.4161:                             ;   in Loop: Header=BB4_3808 Depth=3
	s_or_saveexec_b32 s17, s17
	v_mov_b32_e32 v176, s16
	s_xor_b32 exec_lo, exec_lo, s17
	s_cbranch_execnz .LBB4_4497
.LBB4_4162:                             ;   in Loop: Header=BB4_3808 Depth=3
	s_or_b32 exec_lo, exec_lo, s17
	s_and_saveexec_b32 s16, s13
	s_cbranch_execz .LBB4_4164
.LBB4_4163:                             ;   in Loop: Header=BB4_3808 Depth=3
	v_bfe_u32 v176, v13, 16, 3
	v_lshlrev_b32_e32 v180, 8, v13
	s_delay_alu instid0(VALU_DEP_2) | instskip(NEXT) | instid1(VALU_DEP_1)
	v_clz_i32_u32_e32 v178, v176
	v_min_u32_e32 v178, 32, v178
	s_delay_alu instid0(VALU_DEP_1) | instskip(SKIP_1) | instid1(VALU_DEP_2)
	v_subrev_nc_u32_e32 v179, 28, v178
	v_sub_nc_u32_e32 v178, 29, v178
	v_lshlrev_b32_e32 v177, v179, v177
	v_bfe_u32 v179, v13, 19, 4
	s_delay_alu instid0(VALU_DEP_1) | instskip(NEXT) | instid1(VALU_DEP_3)
	v_cmp_eq_u32_e32 vcc_lo, 0, v179
	v_dual_cndmask_b32 v178, v179, v178 :: v_dual_and_b32 v177, 7, v177
	s_delay_alu instid0(VALU_DEP_1) | instskip(NEXT) | instid1(VALU_DEP_2)
	v_dual_cndmask_b32 v176, v176, v177 :: v_dual_and_b32 v177, 0x80000000, v180
	v_lshl_add_u32 v178, v178, 23, 0x3b800000
	s_delay_alu instid0(VALU_DEP_2) | instskip(NEXT) | instid1(VALU_DEP_1)
	v_lshlrev_b32_e32 v176, 20, v176
	v_or3_b32 v176, v177, v178, v176
.LBB4_4164:                             ;   in Loop: Header=BB4_3808 Depth=3
	s_or_b32 exec_lo, exec_lo, s16
	v_lshrrev_b32_e32 v177, 16, v9
	s_mov_b32 s13, 0
	s_mov_b32 s17, exec_lo
                                        ; implicit-def: $sgpr16
	s_delay_alu instid0(VALU_DEP_1) | instskip(NEXT) | instid1(VALU_DEP_1)
	v_and_b32_e32 v179, 0xff, v177
	v_cmpx_lt_i16_e64 0x7f, v179
	s_xor_b32 s17, exec_lo, s17
	s_cbranch_execnz .LBB4_4498
; %bb.4165:                             ;   in Loop: Header=BB4_3808 Depth=3
	s_or_saveexec_b32 s17, s17
	v_mov_b32_e32 v178, s16
	s_xor_b32 exec_lo, exec_lo, s17
	s_cbranch_execnz .LBB4_4501
.LBB4_4166:                             ;   in Loop: Header=BB4_3808 Depth=3
	s_or_b32 exec_lo, exec_lo, s17
	s_and_saveexec_b32 s16, s13
	s_cbranch_execz .LBB4_4168
.LBB4_4167:                             ;   in Loop: Header=BB4_3808 Depth=3
	v_bfe_u32 v178, v9, 16, 3
	v_lshlrev_b32_e32 v181, 8, v9
	s_delay_alu instid0(VALU_DEP_2) | instskip(NEXT) | instid1(VALU_DEP_1)
	v_clz_i32_u32_e32 v179, v178
	v_min_u32_e32 v179, 32, v179
	s_delay_alu instid0(VALU_DEP_1) | instskip(SKIP_1) | instid1(VALU_DEP_2)
	v_subrev_nc_u32_e32 v180, 28, v179
	v_sub_nc_u32_e32 v179, 29, v179
	v_lshlrev_b32_e32 v177, v180, v177
	v_bfe_u32 v180, v9, 19, 4
	s_delay_alu instid0(VALU_DEP_2) | instskip(NEXT) | instid1(VALU_DEP_2)
	v_and_b32_e32 v177, 7, v177
	v_cmp_eq_u32_e32 vcc_lo, 0, v180
	v_cndmask_b32_e32 v179, v180, v179, vcc_lo
	s_delay_alu instid0(VALU_DEP_3) | instskip(SKIP_1) | instid1(VALU_DEP_3)
	v_cndmask_b32_e32 v177, v178, v177, vcc_lo
	v_and_b32_e32 v178, 0x80000000, v181
	v_lshl_add_u32 v179, v179, 23, 0x3b800000
	s_delay_alu instid0(VALU_DEP_3) | instskip(NEXT) | instid1(VALU_DEP_1)
	v_lshlrev_b32_e32 v177, 20, v177
	v_or3_b32 v178, v178, v179, v177
.LBB4_4168:                             ;   in Loop: Header=BB4_3808 Depth=3
	s_or_b32 exec_lo, exec_lo, s16
	s_delay_alu instid0(VALU_DEP_1) | instskip(NEXT) | instid1(VALU_DEP_1)
	v_add_f32_e32 v177, v176, v178
	v_and_b32_e32 v176, 0x7f800000, v177
	s_delay_alu instid0(VALU_DEP_1)
	v_cmp_ne_u32_e32 vcc_lo, 0x7f800000, v176
	v_mov_b32_e32 v176, 0x80
	s_and_saveexec_b32 s16, vcc_lo
	s_cbranch_execz .LBB4_4176
; %bb.4169:                             ;   in Loop: Header=BB4_3808 Depth=3
	v_mov_b32_e32 v176, 0
	s_mov_b32 s17, exec_lo
	v_cmpx_ne_u32_e32 0, v177
	s_cbranch_execz .LBB4_4175
; %bb.4170:                             ;   in Loop: Header=BB4_3808 Depth=3
	v_bfe_u32 v176, v177, 23, 8
	s_delay_alu instid0(VALU_DEP_1) | instskip(SKIP_1) | instid1(VALU_DEP_2)
	v_sub_nc_u32_e32 v179, 0x78, v176
	v_cmp_gt_u32_e32 vcc_lo, 0x79, v176
	v_dual_cndmask_b32 v179, 0, v179 :: v_dual_and_b32 v178, 0x7fffff, v177
	s_delay_alu instid0(VALU_DEP_1) | instskip(SKIP_2) | instid1(VALU_DEP_4)
	v_or_b32_e32 v180, 0x800000, v178
	v_cmp_eq_u32_e32 vcc_lo, 0, v176
	v_add_nc_u32_e32 v176, 0xffffff89, v176
	v_cndmask_b32_e64 v179, v179, 0x77, vcc_lo
	s_delay_alu instid0(VALU_DEP_2) | instskip(SKIP_1) | instid1(VALU_DEP_3)
	v_cndmask_b32_e64 v176, v176, 0xffffff8a, vcc_lo
	v_cndmask_b32_e32 v178, v180, v178, vcc_lo
	v_lshl_add_u32 v180, 0x100000, v179, -1
	v_lshlrev_b32_e64 v183, v179, 0x80000
	s_delay_alu instid0(VALU_DEP_3) | instskip(SKIP_1) | instid1(VALU_DEP_4)
	v_lshrrev_b32_e32 v181, v179, v178
	v_add_nc_u32_e32 v179, v179, v176
	v_and_b32_e32 v178, v180, v178
	s_delay_alu instid0(VALU_DEP_3) | instskip(NEXT) | instid1(VALU_DEP_2)
	v_bfe_u32 v182, v181, 20, 1
	v_cmp_eq_u32_e64 s13, v178, v183
	s_delay_alu instid0(VALU_DEP_2) | instskip(NEXT) | instid1(VALU_DEP_1)
	v_add_nc_u32_e32 v180, -1, v182
	v_cndmask_b32_e64 v178, 0, v180, s13
	v_lshrrev_b32_e32 v180, 23, v181
	s_mov_b32 s13, exec_lo
	s_delay_alu instid0(VALU_DEP_2) | instskip(NEXT) | instid1(VALU_DEP_2)
	v_add_nc_u32_e32 v178, v178, v181
	v_xor_b32_e32 v180, 1, v180
	s_delay_alu instid0(VALU_DEP_2) | instskip(NEXT) | instid1(VALU_DEP_1)
	v_and_b32_e32 v176, 0xfffff, v178
	v_add_nc_u32_e32 v178, v176, v181
                                        ; implicit-def: $vgpr176
	s_delay_alu instid0(VALU_DEP_3)
	v_cmpx_ne_u32_e64 v179, v180
	s_xor_b32 s13, exec_lo, s13
; %bb.4171:                             ;   in Loop: Header=BB4_3808 Depth=3
	s_delay_alu instid0(VALU_DEP_2) | instskip(SKIP_2) | instid1(VALU_DEP_2)
	v_cmp_lt_u32_e32 vcc_lo, 0xffffff, v178
	v_sub_nc_u32_e32 v176, v179, v180
	v_cndmask_b32_e64 v179, 0, 1, vcc_lo
	v_add_co_ci_u32_e32 v176, vcc_lo, 0, v176, vcc_lo
	s_delay_alu instid0(VALU_DEP_2)
	v_lshrrev_b32_e32 v178, v179, v178
; %bb.4172:                             ;   in Loop: Header=BB4_3808 Depth=3
	s_and_not1_saveexec_b32 s13, s13
; %bb.4173:                             ;   in Loop: Header=BB4_3808 Depth=3
	s_delay_alu instid0(VALU_DEP_1)
	v_bfe_u32 v176, v178, 23, 1
; %bb.4174:                             ;   in Loop: Header=BB4_3808 Depth=3
	s_or_b32 exec_lo, exec_lo, s13
	v_lshrrev_b32_e32 v178, 20, v178
	s_delay_alu instid0(VALU_DEP_2) | instskip(SKIP_2) | instid1(VALU_DEP_2)
	v_cmp_gt_i32_e32 vcc_lo, 16, v176
	v_min_i32_e32 v179, 15, v176
	v_lshrrev_b32_e32 v177, 24, v177
	v_dual_cndmask_b32 v178, 7, v178 :: v_dual_lshlrev_b32 v179, 3, v179
	s_delay_alu instid0(VALU_DEP_2) | instskip(NEXT) | instid1(VALU_DEP_2)
	v_and_b32_e32 v177, 0x80, v177
	v_or_b32_e32 v176, v176, v178
	v_and_b32_e32 v180, 7, v178
	s_delay_alu instid0(VALU_DEP_2) | instskip(SKIP_1) | instid1(VALU_DEP_1)
	v_cmp_ne_u32_e32 vcc_lo, 0, v176
	v_and_b32_e32 v179, 0xf8, v179
	v_or3_b32 v177, v179, v177, v180
	s_delay_alu instid0(VALU_DEP_1)
	v_cndmask_b32_e32 v176, 0, v177, vcc_lo
.LBB4_4175:                             ;   in Loop: Header=BB4_3808 Depth=3
	s_or_b32 exec_lo, exec_lo, s17
.LBB4_4176:                             ;   in Loop: Header=BB4_3808 Depth=3
	s_delay_alu instid0(SALU_CYCLE_1) | instskip(SKIP_3) | instid1(VALU_DEP_1)
	s_or_b32 exec_lo, exec_lo, s16
	v_lshrrev_b32_e32 v178, 24, v13
	s_mov_b32 s13, 0
	s_mov_b32 s17, exec_lo
                                        ; implicit-def: $sgpr16
	v_cmpx_lt_i16_e64 0x7f, v178
	s_xor_b32 s17, exec_lo, s17
	s_cbranch_execnz .LBB4_4502
; %bb.4177:                             ;   in Loop: Header=BB4_3808 Depth=3
	s_or_saveexec_b32 s17, s17
	v_mov_b32_e32 v177, s16
	s_xor_b32 exec_lo, exec_lo, s17
	s_cbranch_execnz .LBB4_4505
.LBB4_4178:                             ;   in Loop: Header=BB4_3808 Depth=3
	s_or_b32 exec_lo, exec_lo, s17
	s_and_saveexec_b32 s16, s13
	s_cbranch_execz .LBB4_4180
.LBB4_4179:                             ;   in Loop: Header=BB4_3808 Depth=3
	v_bfe_u32 v177, v13, 24, 3
	s_delay_alu instid0(VALU_DEP_1) | instskip(NEXT) | instid1(VALU_DEP_1)
	v_clz_i32_u32_e32 v179, v177
	v_min_u32_e32 v179, 32, v179
	s_delay_alu instid0(VALU_DEP_1) | instskip(SKIP_1) | instid1(VALU_DEP_2)
	v_subrev_nc_u32_e32 v180, 28, v179
	v_sub_nc_u32_e32 v179, 29, v179
	v_lshlrev_b32_e32 v178, v180, v178
	v_bfe_u32 v180, v13, 27, 4
	v_and_b32_e32 v13, 0x80000000, v13
	s_delay_alu instid0(VALU_DEP_2) | instskip(NEXT) | instid1(VALU_DEP_4)
	v_cmp_eq_u32_e32 vcc_lo, 0, v180
	v_dual_cndmask_b32 v179, v180, v179 :: v_dual_and_b32 v178, 7, v178
	s_delay_alu instid0(VALU_DEP_1) | instskip(NEXT) | instid1(VALU_DEP_2)
	v_cndmask_b32_e32 v177, v177, v178, vcc_lo
	v_lshl_add_u32 v178, v179, 23, 0x3b800000
	s_delay_alu instid0(VALU_DEP_2) | instskip(NEXT) | instid1(VALU_DEP_1)
	v_lshlrev_b32_e32 v177, 20, v177
	v_or3_b32 v177, v13, v178, v177
.LBB4_4180:                             ;   in Loop: Header=BB4_3808 Depth=3
	s_or_b32 exec_lo, exec_lo, s16
	v_lshrrev_b32_e32 v13, 24, v9
	s_mov_b32 s13, 0
	s_mov_b32 s17, exec_lo
                                        ; implicit-def: $sgpr16
	s_delay_alu instid0(VALU_DEP_1)
	v_cmpx_lt_i16_e32 0x7f, v13
	s_xor_b32 s17, exec_lo, s17
	s_cbranch_execnz .LBB4_4506
; %bb.4181:                             ;   in Loop: Header=BB4_3808 Depth=3
	s_or_saveexec_b32 s17, s17
	v_mov_b32_e32 v178, s16
	s_xor_b32 exec_lo, exec_lo, s17
	s_cbranch_execnz .LBB4_4509
.LBB4_4182:                             ;   in Loop: Header=BB4_3808 Depth=3
	s_or_b32 exec_lo, exec_lo, s17
	s_and_saveexec_b32 s16, s13
	s_cbranch_execz .LBB4_4184
.LBB4_4183:                             ;   in Loop: Header=BB4_3808 Depth=3
	v_bfe_u32 v178, v9, 24, 3
	s_delay_alu instid0(VALU_DEP_1) | instskip(NEXT) | instid1(VALU_DEP_1)
	v_clz_i32_u32_e32 v179, v178
	v_min_u32_e32 v179, 32, v179
	s_delay_alu instid0(VALU_DEP_1) | instskip(SKIP_1) | instid1(VALU_DEP_2)
	v_subrev_nc_u32_e32 v180, 28, v179
	v_sub_nc_u32_e32 v179, 29, v179
	v_lshlrev_b32_e32 v13, v180, v13
	v_bfe_u32 v180, v9, 27, 4
	v_and_b32_e32 v9, 0x80000000, v9
	s_delay_alu instid0(VALU_DEP_3) | instskip(NEXT) | instid1(VALU_DEP_3)
	v_and_b32_e32 v13, 7, v13
	v_cmp_eq_u32_e32 vcc_lo, 0, v180
	v_cndmask_b32_e32 v179, v180, v179, vcc_lo
	s_delay_alu instid0(VALU_DEP_3) | instskip(NEXT) | instid1(VALU_DEP_2)
	v_cndmask_b32_e32 v13, v178, v13, vcc_lo
	v_lshl_add_u32 v178, v179, 23, 0x3b800000
	s_delay_alu instid0(VALU_DEP_2) | instskip(NEXT) | instid1(VALU_DEP_1)
	v_lshlrev_b32_e32 v13, 20, v13
	v_or3_b32 v178, v9, v178, v13
.LBB4_4184:                             ;   in Loop: Header=BB4_3808 Depth=3
	s_or_b32 exec_lo, exec_lo, s16
	s_delay_alu instid0(VALU_DEP_1) | instskip(NEXT) | instid1(VALU_DEP_1)
	v_add_f32_e32 v13, v177, v178
	v_and_b32_e32 v9, 0x7f800000, v13
	s_delay_alu instid0(VALU_DEP_1)
	v_cmp_ne_u32_e32 vcc_lo, 0x7f800000, v9
	v_mov_b32_e32 v9, 0x8000
	s_and_saveexec_b32 s16, vcc_lo
	s_cbranch_execz .LBB4_4192
; %bb.4185:                             ;   in Loop: Header=BB4_3808 Depth=3
	v_mov_b32_e32 v9, 0
	s_mov_b32 s17, exec_lo
	v_cmpx_ne_u32_e32 0, v13
	s_cbranch_execz .LBB4_4191
; %bb.4186:                             ;   in Loop: Header=BB4_3808 Depth=3
	v_bfe_u32 v9, v13, 23, 8
	s_delay_alu instid0(VALU_DEP_1) | instskip(SKIP_1) | instid1(VALU_DEP_2)
	v_sub_nc_u32_e32 v178, 0x78, v9
	v_cmp_gt_u32_e32 vcc_lo, 0x79, v9
	v_dual_cndmask_b32 v178, 0, v178 :: v_dual_and_b32 v177, 0x7fffff, v13
	s_delay_alu instid0(VALU_DEP_1) | instskip(SKIP_2) | instid1(VALU_DEP_4)
	v_or_b32_e32 v179, 0x800000, v177
	v_cmp_eq_u32_e32 vcc_lo, 0, v9
	v_add_nc_u32_e32 v9, 0xffffff89, v9
	v_cndmask_b32_e64 v178, v178, 0x77, vcc_lo
	s_delay_alu instid0(VALU_DEP_4) | instskip(NEXT) | instid1(VALU_DEP_3)
	v_cndmask_b32_e32 v177, v179, v177, vcc_lo
	v_cndmask_b32_e64 v9, v9, 0xffffff8a, vcc_lo
	s_delay_alu instid0(VALU_DEP_3) | instskip(NEXT) | instid1(VALU_DEP_3)
	v_lshl_add_u32 v179, 0x100000, v178, -1
	v_lshrrev_b32_e32 v180, v178, v177
	v_lshlrev_b32_e64 v182, v178, 0x80000
	s_delay_alu instid0(VALU_DEP_4) | instskip(NEXT) | instid1(VALU_DEP_4)
	v_add_nc_u32_e32 v178, v178, v9
	v_and_b32_e32 v177, v179, v177
	s_delay_alu instid0(VALU_DEP_4) | instskip(NEXT) | instid1(VALU_DEP_2)
	v_bfe_u32 v181, v180, 20, 1
	v_cmp_eq_u32_e64 s13, v177, v182
	s_delay_alu instid0(VALU_DEP_2) | instskip(NEXT) | instid1(VALU_DEP_1)
	v_add_nc_u32_e32 v179, -1, v181
	v_cndmask_b32_e64 v177, 0, v179, s13
	v_lshrrev_b32_e32 v179, 23, v180
	s_mov_b32 s13, exec_lo
	s_delay_alu instid0(VALU_DEP_2) | instskip(NEXT) | instid1(VALU_DEP_2)
	v_add_nc_u32_e32 v177, v177, v180
	v_xor_b32_e32 v179, 1, v179
	s_delay_alu instid0(VALU_DEP_2) | instskip(NEXT) | instid1(VALU_DEP_1)
	v_and_b32_e32 v9, 0xfffff, v177
	v_add_nc_u32_e32 v177, v9, v180
                                        ; implicit-def: $vgpr9
	s_delay_alu instid0(VALU_DEP_3)
	v_cmpx_ne_u32_e64 v178, v179
	s_xor_b32 s13, exec_lo, s13
; %bb.4187:                             ;   in Loop: Header=BB4_3808 Depth=3
	s_delay_alu instid0(VALU_DEP_2) | instskip(SKIP_2) | instid1(VALU_DEP_2)
	v_cmp_lt_u32_e32 vcc_lo, 0xffffff, v177
	v_sub_nc_u32_e32 v9, v178, v179
	v_cndmask_b32_e64 v178, 0, 1, vcc_lo
	v_add_co_ci_u32_e32 v9, vcc_lo, 0, v9, vcc_lo
	s_delay_alu instid0(VALU_DEP_2)
	v_lshrrev_b32_e32 v177, v178, v177
; %bb.4188:                             ;   in Loop: Header=BB4_3808 Depth=3
	s_and_not1_saveexec_b32 s13, s13
; %bb.4189:                             ;   in Loop: Header=BB4_3808 Depth=3
	s_delay_alu instid0(VALU_DEP_1)
	v_bfe_u32 v9, v177, 23, 1
; %bb.4190:                             ;   in Loop: Header=BB4_3808 Depth=3
	s_or_b32 exec_lo, exec_lo, s13
	v_lshrrev_b32_e32 v177, 20, v177
	s_delay_alu instid0(VALU_DEP_2) | instskip(SKIP_2) | instid1(VALU_DEP_2)
	v_cmp_gt_i32_e32 vcc_lo, 16, v9
	v_min_i32_e32 v178, 15, v9
	v_lshrrev_b32_e32 v13, 24, v13
	v_dual_cndmask_b32 v177, 7, v177 :: v_dual_lshlrev_b32 v178, 3, v178
	s_delay_alu instid0(VALU_DEP_2) | instskip(NEXT) | instid1(VALU_DEP_2)
	v_and_b32_e32 v13, 0x80, v13
	v_or_b32_e32 v9, v9, v177
	v_and_b32_e32 v179, 7, v177
	s_delay_alu instid0(VALU_DEP_2) | instskip(SKIP_1) | instid1(VALU_DEP_1)
	v_cmp_ne_u32_e32 vcc_lo, 0, v9
	v_and_b32_e32 v178, 0xf8, v178
	v_or3_b32 v13, v13, v178, v179
	s_delay_alu instid0(VALU_DEP_1) | instskip(NEXT) | instid1(VALU_DEP_1)
	v_lshlrev_b32_e32 v13, 8, v13
	v_cndmask_b32_e32 v9, 0, v13, vcc_lo
.LBB4_4191:                             ;   in Loop: Header=BB4_3808 Depth=3
	s_or_b32 exec_lo, exec_lo, s17
.LBB4_4192:                             ;   in Loop: Header=BB4_3808 Depth=3
	s_delay_alu instid0(SALU_CYCLE_1) | instskip(SKIP_3) | instid1(VALU_DEP_1)
	s_or_b32 exec_lo, exec_lo, s16
	v_and_b32_e32 v177, 0xff, v14
	s_mov_b32 s13, 0
	s_mov_b32 s17, exec_lo
                                        ; implicit-def: $sgpr16
	v_cmpx_lt_i16_e64 0x7f, v177
	s_xor_b32 s17, exec_lo, s17
	s_cbranch_execnz .LBB4_4510
; %bb.4193:                             ;   in Loop: Header=BB4_3808 Depth=3
	s_or_saveexec_b32 s17, s17
	v_mov_b32_e32 v13, s16
	s_xor_b32 exec_lo, exec_lo, s17
	s_cbranch_execnz .LBB4_4513
.LBB4_4194:                             ;   in Loop: Header=BB4_3808 Depth=3
	s_or_b32 exec_lo, exec_lo, s17
	s_and_saveexec_b32 s16, s13
	s_cbranch_execz .LBB4_4196
.LBB4_4195:                             ;   in Loop: Header=BB4_3808 Depth=3
	v_and_b32_e32 v13, 7, v14
	v_bfe_u32 v179, v14, 3, 4
	v_lshlrev_b32_e32 v180, 24, v14
	s_delay_alu instid0(VALU_DEP_3) | instskip(NEXT) | instid1(VALU_DEP_3)
	v_clz_i32_u32_e32 v177, v13
	v_cmp_eq_u32_e32 vcc_lo, 0, v179
	s_delay_alu instid0(VALU_DEP_2) | instskip(NEXT) | instid1(VALU_DEP_1)
	v_min_u32_e32 v177, 32, v177
	v_subrev_nc_u32_e32 v178, 28, v177
	v_sub_nc_u32_e32 v177, 29, v177
	s_delay_alu instid0(VALU_DEP_1) | instskip(NEXT) | instid1(VALU_DEP_1)
	v_dual_cndmask_b32 v177, v179, v177 :: v_dual_lshlrev_b32 v178, v178, v14
	v_and_b32_e32 v178, 7, v178
	s_delay_alu instid0(VALU_DEP_2) | instskip(NEXT) | instid1(VALU_DEP_2)
	v_lshl_add_u32 v177, v177, 23, 0x3b800000
	v_dual_cndmask_b32 v13, v13, v178 :: v_dual_and_b32 v178, 0x80000000, v180
	s_delay_alu instid0(VALU_DEP_1) | instskip(NEXT) | instid1(VALU_DEP_1)
	v_lshlrev_b32_e32 v13, 20, v13
	v_or3_b32 v13, v178, v177, v13
.LBB4_4196:                             ;   in Loop: Header=BB4_3808 Depth=3
	s_or_b32 exec_lo, exec_lo, s16
	v_and_b32_e32 v178, 0xff, v10
	s_mov_b32 s13, 0
	s_mov_b32 s17, exec_lo
                                        ; implicit-def: $sgpr16
	s_delay_alu instid0(VALU_DEP_1)
	v_cmpx_lt_i16_e64 0x7f, v178
	s_xor_b32 s17, exec_lo, s17
	s_cbranch_execnz .LBB4_4514
; %bb.4197:                             ;   in Loop: Header=BB4_3808 Depth=3
	s_or_saveexec_b32 s17, s17
	v_mov_b32_e32 v177, s16
	s_xor_b32 exec_lo, exec_lo, s17
	s_cbranch_execnz .LBB4_4517
.LBB4_4198:                             ;   in Loop: Header=BB4_3808 Depth=3
	s_or_b32 exec_lo, exec_lo, s17
	s_and_saveexec_b32 s16, s13
	s_cbranch_execz .LBB4_4200
.LBB4_4199:                             ;   in Loop: Header=BB4_3808 Depth=3
	v_and_b32_e32 v177, 7, v10
	v_bfe_u32 v180, v10, 3, 4
	v_lshlrev_b32_e32 v181, 24, v10
	s_delay_alu instid0(VALU_DEP_3) | instskip(NEXT) | instid1(VALU_DEP_3)
	v_clz_i32_u32_e32 v178, v177
	v_cmp_eq_u32_e32 vcc_lo, 0, v180
	s_delay_alu instid0(VALU_DEP_2) | instskip(NEXT) | instid1(VALU_DEP_1)
	v_min_u32_e32 v178, 32, v178
	v_subrev_nc_u32_e32 v179, 28, v178
	v_sub_nc_u32_e32 v178, 29, v178
	s_delay_alu instid0(VALU_DEP_2) | instskip(NEXT) | instid1(VALU_DEP_1)
	v_lshlrev_b32_e32 v179, v179, v10
	v_dual_cndmask_b32 v178, v180, v178 :: v_dual_and_b32 v179, 7, v179
	s_delay_alu instid0(VALU_DEP_1) | instskip(NEXT) | instid1(VALU_DEP_2)
	v_lshl_add_u32 v178, v178, 23, 0x3b800000
	v_cndmask_b32_e32 v177, v177, v179, vcc_lo
	v_and_b32_e32 v179, 0x80000000, v181
	s_delay_alu instid0(VALU_DEP_2) | instskip(NEXT) | instid1(VALU_DEP_1)
	v_lshlrev_b32_e32 v177, 20, v177
	v_or3_b32 v177, v179, v178, v177
.LBB4_4200:                             ;   in Loop: Header=BB4_3808 Depth=3
	s_or_b32 exec_lo, exec_lo, s16
	s_delay_alu instid0(VALU_DEP_1) | instskip(NEXT) | instid1(VALU_DEP_1)
	v_add_f32_e32 v177, v13, v177
	v_and_b32_e32 v13, 0x7f800000, v177
	s_delay_alu instid0(VALU_DEP_1)
	v_cmp_ne_u32_e32 vcc_lo, 0x7f800000, v13
	v_mov_b32_e32 v13, 0x80
	s_and_saveexec_b32 s16, vcc_lo
	s_cbranch_execz .LBB4_4208
; %bb.4201:                             ;   in Loop: Header=BB4_3808 Depth=3
	v_mov_b32_e32 v13, 0
	s_mov_b32 s17, exec_lo
	v_cmpx_ne_u32_e32 0, v177
	s_cbranch_execz .LBB4_4207
; %bb.4202:                             ;   in Loop: Header=BB4_3808 Depth=3
	v_bfe_u32 v13, v177, 23, 8
	s_delay_alu instid0(VALU_DEP_1) | instskip(SKIP_1) | instid1(VALU_DEP_2)
	v_sub_nc_u32_e32 v179, 0x78, v13
	v_cmp_gt_u32_e32 vcc_lo, 0x79, v13
	v_dual_cndmask_b32 v179, 0, v179 :: v_dual_and_b32 v178, 0x7fffff, v177
	s_delay_alu instid0(VALU_DEP_1) | instskip(SKIP_2) | instid1(VALU_DEP_4)
	v_or_b32_e32 v180, 0x800000, v178
	v_cmp_eq_u32_e32 vcc_lo, 0, v13
	v_add_nc_u32_e32 v13, 0xffffff89, v13
	v_cndmask_b32_e64 v179, v179, 0x77, vcc_lo
	s_delay_alu instid0(VALU_DEP_4) | instskip(NEXT) | instid1(VALU_DEP_3)
	v_cndmask_b32_e32 v178, v180, v178, vcc_lo
	v_cndmask_b32_e64 v13, v13, 0xffffff8a, vcc_lo
	s_delay_alu instid0(VALU_DEP_3) | instskip(NEXT) | instid1(VALU_DEP_3)
	v_lshl_add_u32 v180, 0x100000, v179, -1
	v_lshrrev_b32_e32 v181, v179, v178
	v_lshlrev_b32_e64 v183, v179, 0x80000
	s_delay_alu instid0(VALU_DEP_4) | instskip(NEXT) | instid1(VALU_DEP_4)
	v_add_nc_u32_e32 v179, v179, v13
	v_and_b32_e32 v178, v180, v178
	s_delay_alu instid0(VALU_DEP_4) | instskip(NEXT) | instid1(VALU_DEP_2)
	v_bfe_u32 v182, v181, 20, 1
	v_cmp_eq_u32_e64 s13, v178, v183
	s_delay_alu instid0(VALU_DEP_2) | instskip(NEXT) | instid1(VALU_DEP_1)
	v_add_nc_u32_e32 v180, -1, v182
	v_cndmask_b32_e64 v178, 0, v180, s13
	v_lshrrev_b32_e32 v180, 23, v181
	s_mov_b32 s13, exec_lo
	s_delay_alu instid0(VALU_DEP_2) | instskip(NEXT) | instid1(VALU_DEP_2)
	v_add_nc_u32_e32 v178, v178, v181
	v_xor_b32_e32 v180, 1, v180
	s_delay_alu instid0(VALU_DEP_2) | instskip(NEXT) | instid1(VALU_DEP_1)
	v_and_b32_e32 v13, 0xfffff, v178
	v_add_nc_u32_e32 v178, v13, v181
                                        ; implicit-def: $vgpr13
	s_delay_alu instid0(VALU_DEP_3)
	v_cmpx_ne_u32_e64 v179, v180
	s_xor_b32 s13, exec_lo, s13
; %bb.4203:                             ;   in Loop: Header=BB4_3808 Depth=3
	s_delay_alu instid0(VALU_DEP_2) | instskip(SKIP_2) | instid1(VALU_DEP_2)
	v_cmp_lt_u32_e32 vcc_lo, 0xffffff, v178
	v_sub_nc_u32_e32 v13, v179, v180
	v_cndmask_b32_e64 v179, 0, 1, vcc_lo
	v_add_co_ci_u32_e32 v13, vcc_lo, 0, v13, vcc_lo
	s_delay_alu instid0(VALU_DEP_2)
	v_lshrrev_b32_e32 v178, v179, v178
; %bb.4204:                             ;   in Loop: Header=BB4_3808 Depth=3
	s_and_not1_saveexec_b32 s13, s13
; %bb.4205:                             ;   in Loop: Header=BB4_3808 Depth=3
	s_delay_alu instid0(VALU_DEP_1)
	v_bfe_u32 v13, v178, 23, 1
; %bb.4206:                             ;   in Loop: Header=BB4_3808 Depth=3
	s_or_b32 exec_lo, exec_lo, s13
	v_lshrrev_b32_e32 v178, 20, v178
	s_delay_alu instid0(VALU_DEP_2) | instskip(SKIP_2) | instid1(VALU_DEP_2)
	v_cmp_gt_i32_e32 vcc_lo, 16, v13
	v_lshrrev_b32_e32 v177, 24, v177
	v_min_i32_e32 v179, 15, v13
	v_dual_cndmask_b32 v178, 7, v178 :: v_dual_and_b32 v177, 0x80, v177
	s_delay_alu instid0(VALU_DEP_2) | instskip(NEXT) | instid1(VALU_DEP_2)
	v_lshlrev_b32_e32 v179, 3, v179
	v_or_b32_e32 v13, v13, v178
	s_delay_alu instid0(VALU_DEP_1) | instskip(SKIP_1) | instid1(VALU_DEP_1)
	v_cmp_ne_u32_e32 vcc_lo, 0, v13
	v_and_b32_e32 v180, 7, v178
	v_or3_b32 v177, v179, v177, v180
	s_delay_alu instid0(VALU_DEP_1)
	v_cndmask_b32_e32 v13, 0, v177, vcc_lo
.LBB4_4207:                             ;   in Loop: Header=BB4_3808 Depth=3
	s_or_b32 exec_lo, exec_lo, s17
.LBB4_4208:                             ;   in Loop: Header=BB4_3808 Depth=3
	s_delay_alu instid0(SALU_CYCLE_1) | instskip(SKIP_3) | instid1(VALU_DEP_1)
	s_or_b32 exec_lo, exec_lo, s16
	v_lshrrev_b16 v178, 8, v14
	s_mov_b32 s13, 0
	s_mov_b32 s17, exec_lo
                                        ; implicit-def: $sgpr16
	v_cmpx_lt_i16_e64 0x7f, v178
	s_xor_b32 s17, exec_lo, s17
	s_cbranch_execnz .LBB4_4518
; %bb.4209:                             ;   in Loop: Header=BB4_3808 Depth=3
	s_or_saveexec_b32 s17, s17
	v_mov_b32_e32 v177, s16
	s_xor_b32 exec_lo, exec_lo, s17
	s_cbranch_execnz .LBB4_4521
.LBB4_4210:                             ;   in Loop: Header=BB4_3808 Depth=3
	s_or_b32 exec_lo, exec_lo, s17
	s_and_saveexec_b32 s16, s13
	s_cbranch_execz .LBB4_4212
.LBB4_4211:                             ;   in Loop: Header=BB4_3808 Depth=3
	v_and_b32_e32 v177, 0xffff, v178
	s_delay_alu instid0(VALU_DEP_1) | instskip(NEXT) | instid1(VALU_DEP_1)
	v_and_b32_e32 v179, 7, v177
	v_clz_i32_u32_e32 v180, v179
	s_delay_alu instid0(VALU_DEP_1) | instskip(NEXT) | instid1(VALU_DEP_1)
	v_min_u32_e32 v180, 32, v180
	v_subrev_nc_u32_e32 v181, 28, v180
	v_sub_nc_u32_e32 v180, 29, v180
	s_delay_alu instid0(VALU_DEP_2) | instskip(SKIP_1) | instid1(VALU_DEP_2)
	v_lshlrev_b32_e32 v181, v181, v177
	v_bfe_u32 v177, v177, 3, 4
	v_and_b32_e32 v181, 7, v181
	s_delay_alu instid0(VALU_DEP_2) | instskip(SKIP_1) | instid1(VALU_DEP_1)
	v_cmp_eq_u32_e32 vcc_lo, 0, v177
	v_dual_cndmask_b32 v177, v177, v180 :: v_dual_lshlrev_b32 v178, 24, v178
	v_dual_cndmask_b32 v179, v179, v181 :: v_dual_and_b32 v178, 0x80000000, v178
	s_delay_alu instid0(VALU_DEP_2) | instskip(NEXT) | instid1(VALU_DEP_2)
	v_lshl_add_u32 v177, v177, 23, 0x3b800000
	v_lshlrev_b32_e32 v179, 20, v179
	s_delay_alu instid0(VALU_DEP_1)
	v_or3_b32 v177, v178, v177, v179
.LBB4_4212:                             ;   in Loop: Header=BB4_3808 Depth=3
	s_or_b32 exec_lo, exec_lo, s16
	v_lshrrev_b16 v178, 8, v10
	s_mov_b32 s13, 0
	s_mov_b32 s17, exec_lo
                                        ; implicit-def: $sgpr16
	s_delay_alu instid0(VALU_DEP_1)
	v_cmpx_lt_i16_e64 0x7f, v178
	s_xor_b32 s17, exec_lo, s17
	s_cbranch_execnz .LBB4_4522
; %bb.4213:                             ;   in Loop: Header=BB4_3808 Depth=3
	s_or_saveexec_b32 s17, s17
	v_mov_b32_e32 v179, s16
	s_xor_b32 exec_lo, exec_lo, s17
	s_cbranch_execnz .LBB4_4525
.LBB4_4214:                             ;   in Loop: Header=BB4_3808 Depth=3
	s_or_b32 exec_lo, exec_lo, s17
	s_and_saveexec_b32 s16, s13
	s_cbranch_execz .LBB4_4216
.LBB4_4215:                             ;   in Loop: Header=BB4_3808 Depth=3
	v_and_b32_e32 v179, 0xffff, v178
	v_lshlrev_b32_e32 v178, 24, v178
	s_delay_alu instid0(VALU_DEP_2) | instskip(NEXT) | instid1(VALU_DEP_2)
	v_and_b32_e32 v180, 7, v179
	v_and_b32_e32 v178, 0x80000000, v178
	s_delay_alu instid0(VALU_DEP_2) | instskip(NEXT) | instid1(VALU_DEP_1)
	v_clz_i32_u32_e32 v181, v180
	v_min_u32_e32 v181, 32, v181
	s_delay_alu instid0(VALU_DEP_1) | instskip(SKIP_1) | instid1(VALU_DEP_2)
	v_subrev_nc_u32_e32 v182, 28, v181
	v_sub_nc_u32_e32 v181, 29, v181
	v_lshlrev_b32_e32 v182, v182, v179
	v_bfe_u32 v179, v179, 3, 4
	s_delay_alu instid0(VALU_DEP_2) | instskip(NEXT) | instid1(VALU_DEP_2)
	v_and_b32_e32 v182, 7, v182
	v_cmp_eq_u32_e32 vcc_lo, 0, v179
	s_delay_alu instid0(VALU_DEP_2) | instskip(NEXT) | instid1(VALU_DEP_1)
	v_dual_cndmask_b32 v179, v179, v181 :: v_dual_cndmask_b32 v180, v180, v182
	v_lshl_add_u32 v179, v179, 23, 0x3b800000
	s_delay_alu instid0(VALU_DEP_2) | instskip(NEXT) | instid1(VALU_DEP_1)
	v_lshlrev_b32_e32 v180, 20, v180
	v_or3_b32 v179, v178, v179, v180
.LBB4_4216:                             ;   in Loop: Header=BB4_3808 Depth=3
	s_or_b32 exec_lo, exec_lo, s16
	s_delay_alu instid0(VALU_DEP_1) | instskip(NEXT) | instid1(VALU_DEP_1)
	v_add_f32_e32 v178, v177, v179
	v_and_b32_e32 v177, 0x7f800000, v178
	s_delay_alu instid0(VALU_DEP_1)
	v_cmp_ne_u32_e32 vcc_lo, 0x7f800000, v177
	v_mov_b32_e32 v177, 0x80
	s_and_saveexec_b32 s16, vcc_lo
	s_cbranch_execz .LBB4_4224
; %bb.4217:                             ;   in Loop: Header=BB4_3808 Depth=3
	v_mov_b32_e32 v177, 0
	s_mov_b32 s17, exec_lo
	v_cmpx_ne_u32_e32 0, v178
	s_cbranch_execz .LBB4_4223
; %bb.4218:                             ;   in Loop: Header=BB4_3808 Depth=3
	v_bfe_u32 v177, v178, 23, 8
	s_delay_alu instid0(VALU_DEP_1) | instskip(SKIP_1) | instid1(VALU_DEP_2)
	v_sub_nc_u32_e32 v180, 0x78, v177
	v_cmp_gt_u32_e32 vcc_lo, 0x79, v177
	v_dual_cndmask_b32 v180, 0, v180 :: v_dual_and_b32 v179, 0x7fffff, v178
	s_delay_alu instid0(VALU_DEP_1) | instskip(SKIP_2) | instid1(VALU_DEP_4)
	v_or_b32_e32 v181, 0x800000, v179
	v_cmp_eq_u32_e32 vcc_lo, 0, v177
	v_add_nc_u32_e32 v177, 0xffffff89, v177
	v_cndmask_b32_e64 v180, v180, 0x77, vcc_lo
	s_delay_alu instid0(VALU_DEP_2) | instskip(SKIP_1) | instid1(VALU_DEP_3)
	v_cndmask_b32_e64 v177, v177, 0xffffff8a, vcc_lo
	v_cndmask_b32_e32 v179, v181, v179, vcc_lo
	v_lshl_add_u32 v181, 0x100000, v180, -1
	v_lshlrev_b32_e64 v40, v180, 0x80000
	s_delay_alu instid0(VALU_DEP_3) | instskip(SKIP_1) | instid1(VALU_DEP_4)
	v_lshrrev_b32_e32 v182, v180, v179
	v_add_nc_u32_e32 v180, v180, v177
	v_and_b32_e32 v179, v181, v179
	s_delay_alu instid0(VALU_DEP_3) | instskip(NEXT) | instid1(VALU_DEP_2)
	v_bfe_u32 v183, v182, 20, 1
	v_cmp_eq_u32_e64 s13, v179, v40
	s_delay_alu instid0(VALU_DEP_2) | instskip(NEXT) | instid1(VALU_DEP_1)
	v_add_nc_u32_e32 v181, -1, v183
	v_cndmask_b32_e64 v179, 0, v181, s13
	v_lshrrev_b32_e32 v181, 23, v182
	s_mov_b32 s13, exec_lo
	s_delay_alu instid0(VALU_DEP_2) | instskip(NEXT) | instid1(VALU_DEP_2)
	v_add_nc_u32_e32 v179, v179, v182
	v_xor_b32_e32 v181, 1, v181
	s_delay_alu instid0(VALU_DEP_2) | instskip(NEXT) | instid1(VALU_DEP_1)
	v_and_b32_e32 v177, 0xfffff, v179
	v_add_nc_u32_e32 v179, v177, v182
                                        ; implicit-def: $vgpr177
	s_delay_alu instid0(VALU_DEP_3)
	v_cmpx_ne_u32_e64 v180, v181
	s_xor_b32 s13, exec_lo, s13
; %bb.4219:                             ;   in Loop: Header=BB4_3808 Depth=3
	s_delay_alu instid0(VALU_DEP_2) | instskip(SKIP_2) | instid1(VALU_DEP_2)
	v_cmp_lt_u32_e32 vcc_lo, 0xffffff, v179
	v_sub_nc_u32_e32 v177, v180, v181
	v_cndmask_b32_e64 v180, 0, 1, vcc_lo
	v_add_co_ci_u32_e32 v177, vcc_lo, 0, v177, vcc_lo
	s_delay_alu instid0(VALU_DEP_2)
	v_lshrrev_b32_e32 v179, v180, v179
; %bb.4220:                             ;   in Loop: Header=BB4_3808 Depth=3
	s_and_not1_saveexec_b32 s13, s13
; %bb.4221:                             ;   in Loop: Header=BB4_3808 Depth=3
	s_delay_alu instid0(VALU_DEP_1)
	v_bfe_u32 v177, v179, 23, 1
; %bb.4222:                             ;   in Loop: Header=BB4_3808 Depth=3
	s_or_b32 exec_lo, exec_lo, s13
	v_lshrrev_b32_e32 v179, 20, v179
	s_delay_alu instid0(VALU_DEP_2) | instskip(SKIP_2) | instid1(VALU_DEP_2)
	v_cmp_gt_i32_e32 vcc_lo, 16, v177
	v_lshrrev_b32_e32 v178, 24, v178
	v_min_i32_e32 v180, 15, v177
	v_dual_cndmask_b32 v179, 7, v179 :: v_dual_and_b32 v178, 0x80, v178
	s_delay_alu instid0(VALU_DEP_1) | instskip(SKIP_1) | instid1(VALU_DEP_2)
	v_or_b32_e32 v177, v177, v179
	v_and_b32_e32 v181, 7, v179
	v_cmp_ne_u32_e32 vcc_lo, 0, v177
	v_lshlrev_b32_e32 v180, 3, v180
	s_delay_alu instid0(VALU_DEP_1) | instskip(NEXT) | instid1(VALU_DEP_1)
	v_or3_b32 v178, v180, v178, v181
	v_cndmask_b32_e32 v177, 0, v178, vcc_lo
.LBB4_4223:                             ;   in Loop: Header=BB4_3808 Depth=3
	s_or_b32 exec_lo, exec_lo, s17
.LBB4_4224:                             ;   in Loop: Header=BB4_3808 Depth=3
	s_delay_alu instid0(SALU_CYCLE_1) | instskip(SKIP_3) | instid1(VALU_DEP_1)
	s_or_b32 exec_lo, exec_lo, s16
	v_lshrrev_b32_e32 v179, 16, v14
	s_mov_b32 s13, 0
	s_mov_b32 s17, exec_lo
                                        ; implicit-def: $sgpr16
	v_and_b32_e32 v180, 0xff, v179
	s_delay_alu instid0(VALU_DEP_1)
	v_cmpx_lt_i16_e64 0x7f, v180
	s_xor_b32 s17, exec_lo, s17
	s_cbranch_execnz .LBB4_4526
; %bb.4225:                             ;   in Loop: Header=BB4_3808 Depth=3
	s_or_saveexec_b32 s17, s17
	v_mov_b32_e32 v178, s16
	s_xor_b32 exec_lo, exec_lo, s17
	s_cbranch_execnz .LBB4_4529
.LBB4_4226:                             ;   in Loop: Header=BB4_3808 Depth=3
	s_or_b32 exec_lo, exec_lo, s17
	s_and_saveexec_b32 s16, s13
	s_cbranch_execz .LBB4_4228
.LBB4_4227:                             ;   in Loop: Header=BB4_3808 Depth=3
	v_bfe_u32 v178, v14, 16, 3
	v_lshlrev_b32_e32 v182, 8, v14
	s_delay_alu instid0(VALU_DEP_2) | instskip(NEXT) | instid1(VALU_DEP_1)
	v_clz_i32_u32_e32 v180, v178
	v_min_u32_e32 v180, 32, v180
	s_delay_alu instid0(VALU_DEP_1) | instskip(SKIP_1) | instid1(VALU_DEP_2)
	v_subrev_nc_u32_e32 v181, 28, v180
	v_sub_nc_u32_e32 v180, 29, v180
	v_lshlrev_b32_e32 v179, v181, v179
	v_bfe_u32 v181, v14, 19, 4
	s_delay_alu instid0(VALU_DEP_1) | instskip(NEXT) | instid1(VALU_DEP_3)
	v_cmp_eq_u32_e32 vcc_lo, 0, v181
	v_dual_cndmask_b32 v180, v181, v180 :: v_dual_and_b32 v179, 7, v179
	s_delay_alu instid0(VALU_DEP_1) | instskip(NEXT) | instid1(VALU_DEP_2)
	v_dual_cndmask_b32 v178, v178, v179 :: v_dual_and_b32 v179, 0x80000000, v182
	v_lshl_add_u32 v180, v180, 23, 0x3b800000
	s_delay_alu instid0(VALU_DEP_2) | instskip(NEXT) | instid1(VALU_DEP_1)
	v_lshlrev_b32_e32 v178, 20, v178
	v_or3_b32 v178, v179, v180, v178
.LBB4_4228:                             ;   in Loop: Header=BB4_3808 Depth=3
	s_or_b32 exec_lo, exec_lo, s16
	v_lshrrev_b32_e32 v179, 16, v10
	s_mov_b32 s13, 0
	s_mov_b32 s17, exec_lo
                                        ; implicit-def: $sgpr16
	s_delay_alu instid0(VALU_DEP_1) | instskip(NEXT) | instid1(VALU_DEP_1)
	v_and_b32_e32 v181, 0xff, v179
	v_cmpx_lt_i16_e64 0x7f, v181
	s_xor_b32 s17, exec_lo, s17
	s_cbranch_execnz .LBB4_4530
; %bb.4229:                             ;   in Loop: Header=BB4_3808 Depth=3
	s_or_saveexec_b32 s17, s17
	v_mov_b32_e32 v180, s16
	s_xor_b32 exec_lo, exec_lo, s17
	s_cbranch_execnz .LBB4_4533
.LBB4_4230:                             ;   in Loop: Header=BB4_3808 Depth=3
	s_or_b32 exec_lo, exec_lo, s17
	s_and_saveexec_b32 s16, s13
	s_cbranch_execz .LBB4_4232
.LBB4_4231:                             ;   in Loop: Header=BB4_3808 Depth=3
	v_bfe_u32 v180, v10, 16, 3
	v_lshlrev_b32_e32 v183, 8, v10
	s_delay_alu instid0(VALU_DEP_2) | instskip(NEXT) | instid1(VALU_DEP_1)
	v_clz_i32_u32_e32 v181, v180
	v_min_u32_e32 v181, 32, v181
	s_delay_alu instid0(VALU_DEP_1) | instskip(SKIP_1) | instid1(VALU_DEP_2)
	v_subrev_nc_u32_e32 v182, 28, v181
	v_sub_nc_u32_e32 v181, 29, v181
	v_lshlrev_b32_e32 v179, v182, v179
	v_bfe_u32 v182, v10, 19, 4
	s_delay_alu instid0(VALU_DEP_2) | instskip(NEXT) | instid1(VALU_DEP_2)
	v_and_b32_e32 v179, 7, v179
	v_cmp_eq_u32_e32 vcc_lo, 0, v182
	v_cndmask_b32_e32 v181, v182, v181, vcc_lo
	s_delay_alu instid0(VALU_DEP_3) | instskip(SKIP_1) | instid1(VALU_DEP_3)
	v_cndmask_b32_e32 v179, v180, v179, vcc_lo
	v_and_b32_e32 v180, 0x80000000, v183
	v_lshl_add_u32 v181, v181, 23, 0x3b800000
	s_delay_alu instid0(VALU_DEP_3) | instskip(NEXT) | instid1(VALU_DEP_1)
	v_lshlrev_b32_e32 v179, 20, v179
	v_or3_b32 v180, v180, v181, v179
.LBB4_4232:                             ;   in Loop: Header=BB4_3808 Depth=3
	s_or_b32 exec_lo, exec_lo, s16
	s_delay_alu instid0(VALU_DEP_1) | instskip(NEXT) | instid1(VALU_DEP_1)
	v_add_f32_e32 v179, v178, v180
	v_and_b32_e32 v178, 0x7f800000, v179
	s_delay_alu instid0(VALU_DEP_1)
	v_cmp_ne_u32_e32 vcc_lo, 0x7f800000, v178
	v_mov_b32_e32 v178, 0x80
	s_and_saveexec_b32 s16, vcc_lo
	s_cbranch_execz .LBB4_4240
; %bb.4233:                             ;   in Loop: Header=BB4_3808 Depth=3
	v_mov_b32_e32 v178, 0
	s_mov_b32 s17, exec_lo
	v_cmpx_ne_u32_e32 0, v179
	s_cbranch_execz .LBB4_4239
; %bb.4234:                             ;   in Loop: Header=BB4_3808 Depth=3
	v_bfe_u32 v178, v179, 23, 8
	s_delay_alu instid0(VALU_DEP_1) | instskip(SKIP_1) | instid1(VALU_DEP_2)
	v_sub_nc_u32_e32 v181, 0x78, v178
	v_cmp_gt_u32_e32 vcc_lo, 0x79, v178
	v_dual_cndmask_b32 v181, 0, v181 :: v_dual_and_b32 v180, 0x7fffff, v179
	s_delay_alu instid0(VALU_DEP_1) | instskip(SKIP_2) | instid1(VALU_DEP_4)
	v_or_b32_e32 v182, 0x800000, v180
	v_cmp_eq_u32_e32 vcc_lo, 0, v178
	v_add_nc_u32_e32 v178, 0xffffff89, v178
	v_cndmask_b32_e64 v181, v181, 0x77, vcc_lo
	s_delay_alu instid0(VALU_DEP_2) | instskip(SKIP_1) | instid1(VALU_DEP_3)
	v_cndmask_b32_e64 v178, v178, 0xffffff8a, vcc_lo
	v_cndmask_b32_e32 v180, v182, v180, vcc_lo
	v_lshl_add_u32 v182, 0x100000, v181, -1
	v_lshlrev_b32_e64 v41, v181, 0x80000
	s_delay_alu instid0(VALU_DEP_3) | instskip(SKIP_1) | instid1(VALU_DEP_4)
	v_lshrrev_b32_e32 v183, v181, v180
	v_add_nc_u32_e32 v181, v181, v178
	v_and_b32_e32 v180, v182, v180
	s_delay_alu instid0(VALU_DEP_3) | instskip(NEXT) | instid1(VALU_DEP_2)
	v_bfe_u32 v40, v183, 20, 1
	v_cmp_eq_u32_e64 s13, v180, v41
	s_delay_alu instid0(VALU_DEP_2) | instskip(NEXT) | instid1(VALU_DEP_1)
	v_add_nc_u32_e32 v182, -1, v40
	v_cndmask_b32_e64 v180, 0, v182, s13
	v_lshrrev_b32_e32 v182, 23, v183
	s_mov_b32 s13, exec_lo
	s_delay_alu instid0(VALU_DEP_2) | instskip(NEXT) | instid1(VALU_DEP_2)
	v_add_nc_u32_e32 v180, v180, v183
	v_xor_b32_e32 v182, 1, v182
	s_delay_alu instid0(VALU_DEP_2) | instskip(NEXT) | instid1(VALU_DEP_1)
	v_and_b32_e32 v178, 0xfffff, v180
	v_add_nc_u32_e32 v180, v178, v183
                                        ; implicit-def: $vgpr178
	s_delay_alu instid0(VALU_DEP_3)
	v_cmpx_ne_u32_e64 v181, v182
	s_xor_b32 s13, exec_lo, s13
; %bb.4235:                             ;   in Loop: Header=BB4_3808 Depth=3
	s_delay_alu instid0(VALU_DEP_2) | instskip(SKIP_2) | instid1(VALU_DEP_2)
	v_cmp_lt_u32_e32 vcc_lo, 0xffffff, v180
	v_sub_nc_u32_e32 v178, v181, v182
	v_cndmask_b32_e64 v181, 0, 1, vcc_lo
	v_add_co_ci_u32_e32 v178, vcc_lo, 0, v178, vcc_lo
	s_delay_alu instid0(VALU_DEP_2)
	v_lshrrev_b32_e32 v180, v181, v180
; %bb.4236:                             ;   in Loop: Header=BB4_3808 Depth=3
	s_and_not1_saveexec_b32 s13, s13
; %bb.4237:                             ;   in Loop: Header=BB4_3808 Depth=3
	s_delay_alu instid0(VALU_DEP_1)
	v_bfe_u32 v178, v180, 23, 1
; %bb.4238:                             ;   in Loop: Header=BB4_3808 Depth=3
	s_or_b32 exec_lo, exec_lo, s13
	v_lshrrev_b32_e32 v180, 20, v180
	s_delay_alu instid0(VALU_DEP_2) | instskip(SKIP_2) | instid1(VALU_DEP_2)
	v_cmp_gt_i32_e32 vcc_lo, 16, v178
	v_lshrrev_b32_e32 v179, 24, v179
	v_min_i32_e32 v181, 15, v178
	v_dual_cndmask_b32 v180, 7, v180 :: v_dual_and_b32 v179, 0x80, v179
	s_delay_alu instid0(VALU_DEP_1) | instskip(SKIP_1) | instid1(VALU_DEP_2)
	v_or_b32_e32 v178, v178, v180
	v_and_b32_e32 v182, 7, v180
	v_cmp_ne_u32_e32 vcc_lo, 0, v178
	v_lshlrev_b32_e32 v181, 3, v181
	s_delay_alu instid0(VALU_DEP_1) | instskip(NEXT) | instid1(VALU_DEP_1)
	v_or3_b32 v179, v181, v179, v182
	v_cndmask_b32_e32 v178, 0, v179, vcc_lo
.LBB4_4239:                             ;   in Loop: Header=BB4_3808 Depth=3
	s_or_b32 exec_lo, exec_lo, s17
.LBB4_4240:                             ;   in Loop: Header=BB4_3808 Depth=3
	s_delay_alu instid0(SALU_CYCLE_1) | instskip(SKIP_3) | instid1(VALU_DEP_1)
	s_or_b32 exec_lo, exec_lo, s16
	v_lshrrev_b32_e32 v180, 24, v14
	s_mov_b32 s13, 0
	s_mov_b32 s17, exec_lo
                                        ; implicit-def: $sgpr16
	v_cmpx_lt_i16_e64 0x7f, v180
	s_xor_b32 s17, exec_lo, s17
	s_cbranch_execnz .LBB4_4534
; %bb.4241:                             ;   in Loop: Header=BB4_3808 Depth=3
	s_or_saveexec_b32 s17, s17
	v_mov_b32_e32 v179, s16
	s_xor_b32 exec_lo, exec_lo, s17
	s_cbranch_execnz .LBB4_4537
.LBB4_4242:                             ;   in Loop: Header=BB4_3808 Depth=3
	s_or_b32 exec_lo, exec_lo, s17
	s_and_saveexec_b32 s16, s13
	s_cbranch_execz .LBB4_4244
.LBB4_4243:                             ;   in Loop: Header=BB4_3808 Depth=3
	v_bfe_u32 v179, v14, 24, 3
	s_delay_alu instid0(VALU_DEP_1) | instskip(NEXT) | instid1(VALU_DEP_1)
	v_clz_i32_u32_e32 v181, v179
	v_min_u32_e32 v181, 32, v181
	s_delay_alu instid0(VALU_DEP_1) | instskip(SKIP_1) | instid1(VALU_DEP_2)
	v_subrev_nc_u32_e32 v182, 28, v181
	v_sub_nc_u32_e32 v181, 29, v181
	v_lshlrev_b32_e32 v180, v182, v180
	v_bfe_u32 v182, v14, 27, 4
	v_and_b32_e32 v14, 0x80000000, v14
	s_delay_alu instid0(VALU_DEP_2) | instskip(NEXT) | instid1(VALU_DEP_4)
	v_cmp_eq_u32_e32 vcc_lo, 0, v182
	v_dual_cndmask_b32 v181, v182, v181 :: v_dual_and_b32 v180, 7, v180
	s_delay_alu instid0(VALU_DEP_1) | instskip(NEXT) | instid1(VALU_DEP_2)
	v_cndmask_b32_e32 v179, v179, v180, vcc_lo
	v_lshl_add_u32 v180, v181, 23, 0x3b800000
	s_delay_alu instid0(VALU_DEP_2) | instskip(NEXT) | instid1(VALU_DEP_1)
	v_lshlrev_b32_e32 v179, 20, v179
	v_or3_b32 v179, v14, v180, v179
.LBB4_4244:                             ;   in Loop: Header=BB4_3808 Depth=3
	s_or_b32 exec_lo, exec_lo, s16
	v_lshrrev_b32_e32 v14, 24, v10
	s_mov_b32 s13, 0
	s_mov_b32 s17, exec_lo
                                        ; implicit-def: $sgpr16
	s_delay_alu instid0(VALU_DEP_1)
	v_cmpx_lt_i16_e32 0x7f, v14
	s_xor_b32 s17, exec_lo, s17
	s_cbranch_execnz .LBB4_4538
; %bb.4245:                             ;   in Loop: Header=BB4_3808 Depth=3
	s_or_saveexec_b32 s17, s17
	v_mov_b32_e32 v180, s16
	s_xor_b32 exec_lo, exec_lo, s17
	s_cbranch_execnz .LBB4_4541
.LBB4_4246:                             ;   in Loop: Header=BB4_3808 Depth=3
	s_or_b32 exec_lo, exec_lo, s17
	s_and_saveexec_b32 s16, s13
	s_cbranch_execz .LBB4_4248
.LBB4_4247:                             ;   in Loop: Header=BB4_3808 Depth=3
	v_bfe_u32 v180, v10, 24, 3
	s_delay_alu instid0(VALU_DEP_1) | instskip(NEXT) | instid1(VALU_DEP_1)
	v_clz_i32_u32_e32 v181, v180
	v_min_u32_e32 v181, 32, v181
	s_delay_alu instid0(VALU_DEP_1) | instskip(SKIP_1) | instid1(VALU_DEP_2)
	v_subrev_nc_u32_e32 v182, 28, v181
	v_sub_nc_u32_e32 v181, 29, v181
	v_lshlrev_b32_e32 v14, v182, v14
	v_bfe_u32 v182, v10, 27, 4
	v_and_b32_e32 v10, 0x80000000, v10
	s_delay_alu instid0(VALU_DEP_2) | instskip(NEXT) | instid1(VALU_DEP_4)
	v_cmp_eq_u32_e32 vcc_lo, 0, v182
	v_dual_cndmask_b32 v181, v182, v181 :: v_dual_and_b32 v14, 7, v14
	s_delay_alu instid0(VALU_DEP_1) | instskip(NEXT) | instid1(VALU_DEP_2)
	v_cndmask_b32_e32 v14, v180, v14, vcc_lo
	v_lshl_add_u32 v180, v181, 23, 0x3b800000
	s_delay_alu instid0(VALU_DEP_2) | instskip(NEXT) | instid1(VALU_DEP_1)
	v_lshlrev_b32_e32 v14, 20, v14
	v_or3_b32 v180, v10, v180, v14
.LBB4_4248:                             ;   in Loop: Header=BB4_3808 Depth=3
	s_or_b32 exec_lo, exec_lo, s16
	s_delay_alu instid0(VALU_DEP_1) | instskip(NEXT) | instid1(VALU_DEP_1)
	v_add_f32_e32 v14, v179, v180
	v_and_b32_e32 v10, 0x7f800000, v14
	s_delay_alu instid0(VALU_DEP_1)
	v_cmp_ne_u32_e32 vcc_lo, 0x7f800000, v10
	v_mov_b32_e32 v10, 0x80
	s_and_saveexec_b32 s16, vcc_lo
	s_cbranch_execz .LBB4_4256
; %bb.4249:                             ;   in Loop: Header=BB4_3808 Depth=3
	v_mov_b32_e32 v10, 0
	s_mov_b32 s17, exec_lo
	v_cmpx_ne_u32_e32 0, v14
	s_cbranch_execz .LBB4_4255
; %bb.4250:                             ;   in Loop: Header=BB4_3808 Depth=3
	v_bfe_u32 v10, v14, 23, 8
	s_delay_alu instid0(VALU_DEP_1) | instskip(SKIP_1) | instid1(VALU_DEP_2)
	v_sub_nc_u32_e32 v180, 0x78, v10
	v_cmp_gt_u32_e32 vcc_lo, 0x79, v10
	v_dual_cndmask_b32 v180, 0, v180 :: v_dual_and_b32 v179, 0x7fffff, v14
	s_delay_alu instid0(VALU_DEP_1) | instskip(SKIP_2) | instid1(VALU_DEP_4)
	v_or_b32_e32 v181, 0x800000, v179
	v_cmp_eq_u32_e32 vcc_lo, 0, v10
	v_add_nc_u32_e32 v10, 0xffffff89, v10
	v_cndmask_b32_e64 v180, v180, 0x77, vcc_lo
	s_delay_alu instid0(VALU_DEP_4) | instskip(NEXT) | instid1(VALU_DEP_3)
	v_cndmask_b32_e32 v179, v181, v179, vcc_lo
	v_cndmask_b32_e64 v10, v10, 0xffffff8a, vcc_lo
	s_delay_alu instid0(VALU_DEP_3) | instskip(NEXT) | instid1(VALU_DEP_3)
	v_lshl_add_u32 v181, 0x100000, v180, -1
	v_lshrrev_b32_e32 v182, v180, v179
	v_lshlrev_b32_e64 v40, v180, 0x80000
	s_delay_alu instid0(VALU_DEP_4) | instskip(NEXT) | instid1(VALU_DEP_4)
	v_add_nc_u32_e32 v180, v180, v10
	v_and_b32_e32 v179, v181, v179
	s_delay_alu instid0(VALU_DEP_4) | instskip(NEXT) | instid1(VALU_DEP_2)
	v_bfe_u32 v183, v182, 20, 1
	v_cmp_eq_u32_e64 s13, v179, v40
	s_delay_alu instid0(VALU_DEP_2) | instskip(NEXT) | instid1(VALU_DEP_1)
	v_add_nc_u32_e32 v181, -1, v183
	v_cndmask_b32_e64 v179, 0, v181, s13
	v_lshrrev_b32_e32 v181, 23, v182
	s_mov_b32 s13, exec_lo
	s_delay_alu instid0(VALU_DEP_2) | instskip(NEXT) | instid1(VALU_DEP_2)
	v_add_nc_u32_e32 v179, v179, v182
	v_xor_b32_e32 v181, 1, v181
	s_delay_alu instid0(VALU_DEP_2) | instskip(NEXT) | instid1(VALU_DEP_1)
	v_and_b32_e32 v10, 0xfffff, v179
	v_add_nc_u32_e32 v179, v10, v182
                                        ; implicit-def: $vgpr10
	s_delay_alu instid0(VALU_DEP_3)
	v_cmpx_ne_u32_e64 v180, v181
	s_xor_b32 s13, exec_lo, s13
; %bb.4251:                             ;   in Loop: Header=BB4_3808 Depth=3
	s_delay_alu instid0(VALU_DEP_2) | instskip(SKIP_2) | instid1(VALU_DEP_2)
	v_cmp_lt_u32_e32 vcc_lo, 0xffffff, v179
	v_sub_nc_u32_e32 v10, v180, v181
	v_cndmask_b32_e64 v180, 0, 1, vcc_lo
	v_add_co_ci_u32_e32 v10, vcc_lo, 0, v10, vcc_lo
	s_delay_alu instid0(VALU_DEP_2)
	v_lshrrev_b32_e32 v179, v180, v179
; %bb.4252:                             ;   in Loop: Header=BB4_3808 Depth=3
	s_and_not1_saveexec_b32 s13, s13
; %bb.4253:                             ;   in Loop: Header=BB4_3808 Depth=3
	s_delay_alu instid0(VALU_DEP_1)
	v_bfe_u32 v10, v179, 23, 1
; %bb.4254:                             ;   in Loop: Header=BB4_3808 Depth=3
	s_or_b32 exec_lo, exec_lo, s13
	v_lshrrev_b32_e32 v179, 20, v179
	s_delay_alu instid0(VALU_DEP_2) | instskip(SKIP_2) | instid1(VALU_DEP_2)
	v_cmp_gt_i32_e32 vcc_lo, 16, v10
	v_lshrrev_b32_e32 v14, 24, v14
	v_min_i32_e32 v180, 15, v10
	v_dual_cndmask_b32 v179, 7, v179 :: v_dual_and_b32 v14, 0x80, v14
	s_delay_alu instid0(VALU_DEP_2) | instskip(NEXT) | instid1(VALU_DEP_2)
	v_lshlrev_b32_e32 v180, 3, v180
	v_or_b32_e32 v10, v10, v179
	s_delay_alu instid0(VALU_DEP_1) | instskip(SKIP_1) | instid1(VALU_DEP_1)
	v_cmp_ne_u32_e32 vcc_lo, 0, v10
	v_and_b32_e32 v181, 7, v179
	v_or3_b32 v14, v180, v14, v181
	s_delay_alu instid0(VALU_DEP_1)
	v_cndmask_b32_e32 v10, 0, v14, vcc_lo
.LBB4_4255:                             ;   in Loop: Header=BB4_3808 Depth=3
	s_or_b32 exec_lo, exec_lo, s17
.LBB4_4256:                             ;   in Loop: Header=BB4_3808 Depth=3
	s_delay_alu instid0(SALU_CYCLE_1) | instskip(SKIP_3) | instid1(VALU_DEP_1)
	s_or_b32 exec_lo, exec_lo, s16
	v_and_b32_e32 v179, 0xff, v15
	s_mov_b32 s13, 0
	s_mov_b32 s17, exec_lo
                                        ; implicit-def: $sgpr16
	v_cmpx_lt_i16_e64 0x7f, v179
	s_xor_b32 s17, exec_lo, s17
	s_cbranch_execnz .LBB4_4542
; %bb.4257:                             ;   in Loop: Header=BB4_3808 Depth=3
	s_or_saveexec_b32 s17, s17
	v_mov_b32_e32 v14, s16
	s_xor_b32 exec_lo, exec_lo, s17
	s_cbranch_execnz .LBB4_4545
.LBB4_4258:                             ;   in Loop: Header=BB4_3808 Depth=3
	s_or_b32 exec_lo, exec_lo, s17
	s_and_saveexec_b32 s16, s13
	s_cbranch_execz .LBB4_4260
.LBB4_4259:                             ;   in Loop: Header=BB4_3808 Depth=3
	v_and_b32_e32 v14, 7, v15
	v_bfe_u32 v181, v15, 3, 4
	v_lshlrev_b32_e32 v182, 24, v15
	s_delay_alu instid0(VALU_DEP_3) | instskip(NEXT) | instid1(VALU_DEP_3)
	v_clz_i32_u32_e32 v179, v14
	v_cmp_eq_u32_e32 vcc_lo, 0, v181
	s_delay_alu instid0(VALU_DEP_2) | instskip(NEXT) | instid1(VALU_DEP_1)
	v_min_u32_e32 v179, 32, v179
	v_subrev_nc_u32_e32 v180, 28, v179
	v_sub_nc_u32_e32 v179, 29, v179
	s_delay_alu instid0(VALU_DEP_2) | instskip(NEXT) | instid1(VALU_DEP_1)
	v_lshlrev_b32_e32 v180, v180, v15
	v_dual_cndmask_b32 v179, v181, v179 :: v_dual_and_b32 v180, 7, v180
	s_delay_alu instid0(VALU_DEP_1) | instskip(NEXT) | instid1(VALU_DEP_2)
	v_lshl_add_u32 v179, v179, 23, 0x3b800000
	v_cndmask_b32_e32 v14, v14, v180, vcc_lo
	v_and_b32_e32 v180, 0x80000000, v182
	s_delay_alu instid0(VALU_DEP_2) | instskip(NEXT) | instid1(VALU_DEP_1)
	v_lshlrev_b32_e32 v14, 20, v14
	v_or3_b32 v14, v180, v179, v14
.LBB4_4260:                             ;   in Loop: Header=BB4_3808 Depth=3
	s_or_b32 exec_lo, exec_lo, s16
	v_and_b32_e32 v180, 0xff, v11
	s_mov_b32 s13, 0
	s_mov_b32 s17, exec_lo
                                        ; implicit-def: $sgpr16
	s_delay_alu instid0(VALU_DEP_1)
	v_cmpx_lt_i16_e64 0x7f, v180
	s_xor_b32 s17, exec_lo, s17
	s_cbranch_execnz .LBB4_4546
; %bb.4261:                             ;   in Loop: Header=BB4_3808 Depth=3
	s_or_saveexec_b32 s17, s17
	v_mov_b32_e32 v179, s16
	s_xor_b32 exec_lo, exec_lo, s17
	s_cbranch_execnz .LBB4_4549
.LBB4_4262:                             ;   in Loop: Header=BB4_3808 Depth=3
	s_or_b32 exec_lo, exec_lo, s17
	s_and_saveexec_b32 s16, s13
	s_cbranch_execz .LBB4_4264
.LBB4_4263:                             ;   in Loop: Header=BB4_3808 Depth=3
	v_bfe_u32 v182, v11, 3, 4
	v_lshlrev_b32_e32 v183, 24, v11
	s_delay_alu instid0(VALU_DEP_2) | instskip(SKIP_1) | instid1(VALU_DEP_1)
	v_cmp_eq_u32_e32 vcc_lo, 0, v182
	v_and_b32_e32 v179, 7, v11
	v_clz_i32_u32_e32 v180, v179
	s_delay_alu instid0(VALU_DEP_1) | instskip(NEXT) | instid1(VALU_DEP_1)
	v_min_u32_e32 v180, 32, v180
	v_subrev_nc_u32_e32 v181, 28, v180
	v_sub_nc_u32_e32 v180, 29, v180
	s_delay_alu instid0(VALU_DEP_1) | instskip(NEXT) | instid1(VALU_DEP_1)
	v_dual_cndmask_b32 v180, v182, v180 :: v_dual_lshlrev_b32 v181, v181, v11
	v_and_b32_e32 v181, 7, v181
	s_delay_alu instid0(VALU_DEP_2) | instskip(NEXT) | instid1(VALU_DEP_2)
	v_lshl_add_u32 v180, v180, 23, 0x3b800000
	v_cndmask_b32_e32 v179, v179, v181, vcc_lo
	v_and_b32_e32 v181, 0x80000000, v183
	s_delay_alu instid0(VALU_DEP_2) | instskip(NEXT) | instid1(VALU_DEP_1)
	v_lshlrev_b32_e32 v179, 20, v179
	v_or3_b32 v179, v181, v180, v179
.LBB4_4264:                             ;   in Loop: Header=BB4_3808 Depth=3
	s_or_b32 exec_lo, exec_lo, s16
	s_delay_alu instid0(VALU_DEP_1) | instskip(NEXT) | instid1(VALU_DEP_1)
	v_add_f32_e32 v179, v14, v179
	v_and_b32_e32 v14, 0x7f800000, v179
	s_delay_alu instid0(VALU_DEP_1)
	v_cmp_ne_u32_e32 vcc_lo, 0x7f800000, v14
	v_mov_b32_e32 v14, 0x80
	s_and_saveexec_b32 s16, vcc_lo
	s_cbranch_execz .LBB4_4272
; %bb.4265:                             ;   in Loop: Header=BB4_3808 Depth=3
	v_mov_b32_e32 v14, 0
	s_mov_b32 s17, exec_lo
	v_cmpx_ne_u32_e32 0, v179
	s_cbranch_execz .LBB4_4271
; %bb.4266:                             ;   in Loop: Header=BB4_3808 Depth=3
	v_bfe_u32 v14, v179, 23, 8
	s_delay_alu instid0(VALU_DEP_1) | instskip(SKIP_1) | instid1(VALU_DEP_2)
	v_sub_nc_u32_e32 v181, 0x78, v14
	v_cmp_gt_u32_e32 vcc_lo, 0x79, v14
	v_dual_cndmask_b32 v181, 0, v181 :: v_dual_and_b32 v180, 0x7fffff, v179
	s_delay_alu instid0(VALU_DEP_1) | instskip(SKIP_2) | instid1(VALU_DEP_4)
	v_or_b32_e32 v182, 0x800000, v180
	v_cmp_eq_u32_e32 vcc_lo, 0, v14
	v_add_nc_u32_e32 v14, 0xffffff89, v14
	v_cndmask_b32_e64 v181, v181, 0x77, vcc_lo
	s_delay_alu instid0(VALU_DEP_2) | instskip(SKIP_1) | instid1(VALU_DEP_3)
	v_cndmask_b32_e64 v14, v14, 0xffffff8a, vcc_lo
	v_cndmask_b32_e32 v180, v182, v180, vcc_lo
	v_lshl_add_u32 v182, 0x100000, v181, -1
	v_lshlrev_b32_e64 v41, v181, 0x80000
	s_delay_alu instid0(VALU_DEP_3) | instskip(SKIP_1) | instid1(VALU_DEP_4)
	v_lshrrev_b32_e32 v183, v181, v180
	v_add_nc_u32_e32 v181, v181, v14
	v_and_b32_e32 v180, v182, v180
	s_delay_alu instid0(VALU_DEP_3) | instskip(NEXT) | instid1(VALU_DEP_2)
	v_bfe_u32 v40, v183, 20, 1
	v_cmp_eq_u32_e64 s13, v180, v41
	s_delay_alu instid0(VALU_DEP_2) | instskip(NEXT) | instid1(VALU_DEP_1)
	v_add_nc_u32_e32 v182, -1, v40
	v_cndmask_b32_e64 v180, 0, v182, s13
	v_lshrrev_b32_e32 v182, 23, v183
	s_mov_b32 s13, exec_lo
	s_delay_alu instid0(VALU_DEP_2) | instskip(NEXT) | instid1(VALU_DEP_2)
	v_add_nc_u32_e32 v180, v180, v183
	v_xor_b32_e32 v182, 1, v182
	s_delay_alu instid0(VALU_DEP_2) | instskip(NEXT) | instid1(VALU_DEP_1)
	v_and_b32_e32 v14, 0xfffff, v180
	v_add_nc_u32_e32 v180, v14, v183
                                        ; implicit-def: $vgpr14
	s_delay_alu instid0(VALU_DEP_3)
	v_cmpx_ne_u32_e64 v181, v182
	s_xor_b32 s13, exec_lo, s13
; %bb.4267:                             ;   in Loop: Header=BB4_3808 Depth=3
	s_delay_alu instid0(VALU_DEP_2) | instskip(SKIP_2) | instid1(VALU_DEP_2)
	v_cmp_lt_u32_e32 vcc_lo, 0xffffff, v180
	v_sub_nc_u32_e32 v14, v181, v182
	v_cndmask_b32_e64 v181, 0, 1, vcc_lo
	v_add_co_ci_u32_e32 v14, vcc_lo, 0, v14, vcc_lo
	s_delay_alu instid0(VALU_DEP_2)
	v_lshrrev_b32_e32 v180, v181, v180
; %bb.4268:                             ;   in Loop: Header=BB4_3808 Depth=3
	s_and_not1_saveexec_b32 s13, s13
; %bb.4269:                             ;   in Loop: Header=BB4_3808 Depth=3
	s_delay_alu instid0(VALU_DEP_1)
	v_bfe_u32 v14, v180, 23, 1
; %bb.4270:                             ;   in Loop: Header=BB4_3808 Depth=3
	s_or_b32 exec_lo, exec_lo, s13
	v_lshrrev_b32_e32 v180, 20, v180
	s_delay_alu instid0(VALU_DEP_2) | instskip(SKIP_2) | instid1(VALU_DEP_2)
	v_cmp_gt_i32_e32 vcc_lo, 16, v14
	v_lshrrev_b32_e32 v179, 24, v179
	v_min_i32_e32 v181, 15, v14
	v_dual_cndmask_b32 v180, 7, v180 :: v_dual_and_b32 v179, 0x80, v179
	s_delay_alu instid0(VALU_DEP_1) | instskip(SKIP_1) | instid1(VALU_DEP_2)
	v_or_b32_e32 v14, v14, v180
	v_and_b32_e32 v182, 7, v180
	v_cmp_ne_u32_e32 vcc_lo, 0, v14
	v_lshlrev_b32_e32 v181, 3, v181
	s_delay_alu instid0(VALU_DEP_1) | instskip(NEXT) | instid1(VALU_DEP_1)
	v_or3_b32 v179, v181, v179, v182
	v_cndmask_b32_e32 v14, 0, v179, vcc_lo
.LBB4_4271:                             ;   in Loop: Header=BB4_3808 Depth=3
	s_or_b32 exec_lo, exec_lo, s17
.LBB4_4272:                             ;   in Loop: Header=BB4_3808 Depth=3
	s_delay_alu instid0(SALU_CYCLE_1) | instskip(SKIP_3) | instid1(VALU_DEP_1)
	s_or_b32 exec_lo, exec_lo, s16
	v_lshrrev_b16 v180, 8, v15
	s_mov_b32 s13, 0
	s_mov_b32 s17, exec_lo
                                        ; implicit-def: $sgpr16
	v_cmpx_lt_i16_e64 0x7f, v180
	s_xor_b32 s17, exec_lo, s17
	s_cbranch_execnz .LBB4_4550
; %bb.4273:                             ;   in Loop: Header=BB4_3808 Depth=3
	s_or_saveexec_b32 s17, s17
	v_mov_b32_e32 v179, s16
	s_xor_b32 exec_lo, exec_lo, s17
	s_cbranch_execnz .LBB4_4553
.LBB4_4274:                             ;   in Loop: Header=BB4_3808 Depth=3
	s_or_b32 exec_lo, exec_lo, s17
	s_and_saveexec_b32 s16, s13
	s_cbranch_execz .LBB4_4276
.LBB4_4275:                             ;   in Loop: Header=BB4_3808 Depth=3
	v_and_b32_e32 v179, 0xffff, v180
	s_delay_alu instid0(VALU_DEP_1) | instskip(NEXT) | instid1(VALU_DEP_1)
	v_and_b32_e32 v181, 7, v179
	v_clz_i32_u32_e32 v182, v181
	s_delay_alu instid0(VALU_DEP_1) | instskip(NEXT) | instid1(VALU_DEP_1)
	v_min_u32_e32 v182, 32, v182
	v_subrev_nc_u32_e32 v183, 28, v182
	v_sub_nc_u32_e32 v182, 29, v182
	s_delay_alu instid0(VALU_DEP_2) | instskip(SKIP_1) | instid1(VALU_DEP_2)
	v_lshlrev_b32_e32 v183, v183, v179
	v_bfe_u32 v179, v179, 3, 4
	v_and_b32_e32 v183, 7, v183
	s_delay_alu instid0(VALU_DEP_2) | instskip(SKIP_1) | instid1(VALU_DEP_1)
	v_cmp_eq_u32_e32 vcc_lo, 0, v179
	v_dual_cndmask_b32 v179, v179, v182 :: v_dual_lshlrev_b32 v180, 24, v180
	v_dual_cndmask_b32 v181, v181, v183 :: v_dual_and_b32 v180, 0x80000000, v180
	s_delay_alu instid0(VALU_DEP_2) | instskip(NEXT) | instid1(VALU_DEP_2)
	v_lshl_add_u32 v179, v179, 23, 0x3b800000
	v_lshlrev_b32_e32 v181, 20, v181
	s_delay_alu instid0(VALU_DEP_1)
	v_or3_b32 v179, v180, v179, v181
.LBB4_4276:                             ;   in Loop: Header=BB4_3808 Depth=3
	s_or_b32 exec_lo, exec_lo, s16
	v_lshrrev_b16 v180, 8, v11
	s_mov_b32 s13, 0
	s_mov_b32 s17, exec_lo
                                        ; implicit-def: $sgpr16
	s_delay_alu instid0(VALU_DEP_1)
	v_cmpx_lt_i16_e64 0x7f, v180
	s_xor_b32 s17, exec_lo, s17
	s_cbranch_execnz .LBB4_4554
; %bb.4277:                             ;   in Loop: Header=BB4_3808 Depth=3
	s_or_saveexec_b32 s17, s17
	v_mov_b32_e32 v181, s16
	s_xor_b32 exec_lo, exec_lo, s17
	s_cbranch_execnz .LBB4_4557
.LBB4_4278:                             ;   in Loop: Header=BB4_3808 Depth=3
	s_or_b32 exec_lo, exec_lo, s17
	s_and_saveexec_b32 s16, s13
	s_cbranch_execz .LBB4_4280
.LBB4_4279:                             ;   in Loop: Header=BB4_3808 Depth=3
	v_and_b32_e32 v181, 0xffff, v180
	v_lshlrev_b32_e32 v180, 24, v180
	s_delay_alu instid0(VALU_DEP_2) | instskip(NEXT) | instid1(VALU_DEP_2)
	v_and_b32_e32 v182, 7, v181
	v_and_b32_e32 v180, 0x80000000, v180
	s_delay_alu instid0(VALU_DEP_2) | instskip(NEXT) | instid1(VALU_DEP_1)
	v_clz_i32_u32_e32 v183, v182
	v_min_u32_e32 v183, 32, v183
	s_delay_alu instid0(VALU_DEP_1) | instskip(SKIP_1) | instid1(VALU_DEP_2)
	v_subrev_nc_u32_e32 v40, 28, v183
	v_sub_nc_u32_e32 v183, 29, v183
	v_lshlrev_b32_e32 v40, v40, v181
	v_bfe_u32 v181, v181, 3, 4
	s_delay_alu instid0(VALU_DEP_2) | instskip(NEXT) | instid1(VALU_DEP_2)
	v_and_b32_e32 v40, 7, v40
	v_cmp_eq_u32_e32 vcc_lo, 0, v181
	s_delay_alu instid0(VALU_DEP_2) | instskip(NEXT) | instid1(VALU_DEP_1)
	v_dual_cndmask_b32 v181, v181, v183 :: v_dual_cndmask_b32 v182, v182, v40
	v_lshl_add_u32 v181, v181, 23, 0x3b800000
	s_delay_alu instid0(VALU_DEP_2) | instskip(NEXT) | instid1(VALU_DEP_1)
	v_lshlrev_b32_e32 v182, 20, v182
	v_or3_b32 v181, v180, v181, v182
.LBB4_4280:                             ;   in Loop: Header=BB4_3808 Depth=3
	s_or_b32 exec_lo, exec_lo, s16
	s_delay_alu instid0(VALU_DEP_1) | instskip(NEXT) | instid1(VALU_DEP_1)
	v_add_f32_e32 v180, v179, v181
	v_and_b32_e32 v179, 0x7f800000, v180
	s_delay_alu instid0(VALU_DEP_1)
	v_cmp_ne_u32_e32 vcc_lo, 0x7f800000, v179
	v_mov_b32_e32 v179, 0x8000
	s_and_saveexec_b32 s16, vcc_lo
	s_cbranch_execz .LBB4_4288
; %bb.4281:                             ;   in Loop: Header=BB4_3808 Depth=3
	v_mov_b32_e32 v179, 0
	s_mov_b32 s17, exec_lo
	v_cmpx_ne_u32_e32 0, v180
	s_cbranch_execz .LBB4_4287
; %bb.4282:                             ;   in Loop: Header=BB4_3808 Depth=3
	v_bfe_u32 v179, v180, 23, 8
	s_delay_alu instid0(VALU_DEP_1) | instskip(SKIP_1) | instid1(VALU_DEP_2)
	v_sub_nc_u32_e32 v182, 0x78, v179
	v_cmp_gt_u32_e32 vcc_lo, 0x79, v179
	v_dual_cndmask_b32 v182, 0, v182 :: v_dual_and_b32 v181, 0x7fffff, v180
	s_delay_alu instid0(VALU_DEP_1) | instskip(SKIP_2) | instid1(VALU_DEP_4)
	v_or_b32_e32 v183, 0x800000, v181
	v_cmp_eq_u32_e32 vcc_lo, 0, v179
	v_add_nc_u32_e32 v179, 0xffffff89, v179
	v_cndmask_b32_e64 v182, v182, 0x77, vcc_lo
	s_delay_alu instid0(VALU_DEP_2) | instskip(SKIP_1) | instid1(VALU_DEP_3)
	v_cndmask_b32_e64 v179, v179, 0xffffff8a, vcc_lo
	v_cndmask_b32_e32 v181, v183, v181, vcc_lo
	v_lshl_add_u32 v183, 0x100000, v182, -1
	v_lshlrev_b32_e64 v42, v182, 0x80000
	s_delay_alu instid0(VALU_DEP_3) | instskip(SKIP_1) | instid1(VALU_DEP_4)
	v_lshrrev_b32_e32 v40, v182, v181
	v_add_nc_u32_e32 v182, v182, v179
	v_and_b32_e32 v181, v183, v181
	s_delay_alu instid0(VALU_DEP_3) | instskip(NEXT) | instid1(VALU_DEP_2)
	v_bfe_u32 v41, v40, 20, 1
	v_cmp_eq_u32_e64 s13, v181, v42
	s_delay_alu instid0(VALU_DEP_2) | instskip(NEXT) | instid1(VALU_DEP_1)
	v_add_nc_u32_e32 v183, -1, v41
	v_cndmask_b32_e64 v181, 0, v183, s13
	v_lshrrev_b32_e32 v183, 23, v40
	s_mov_b32 s13, exec_lo
	s_delay_alu instid0(VALU_DEP_2) | instskip(NEXT) | instid1(VALU_DEP_2)
	v_add_nc_u32_e32 v181, v181, v40
	v_xor_b32_e32 v183, 1, v183
	s_delay_alu instid0(VALU_DEP_2) | instskip(NEXT) | instid1(VALU_DEP_1)
	v_and_b32_e32 v179, 0xfffff, v181
	v_add_nc_u32_e32 v181, v179, v40
                                        ; implicit-def: $vgpr179
	s_delay_alu instid0(VALU_DEP_3)
	v_cmpx_ne_u32_e64 v182, v183
	s_xor_b32 s13, exec_lo, s13
; %bb.4283:                             ;   in Loop: Header=BB4_3808 Depth=3
	s_delay_alu instid0(VALU_DEP_2) | instskip(SKIP_2) | instid1(VALU_DEP_2)
	v_cmp_lt_u32_e32 vcc_lo, 0xffffff, v181
	v_sub_nc_u32_e32 v179, v182, v183
	v_cndmask_b32_e64 v182, 0, 1, vcc_lo
	v_add_co_ci_u32_e32 v179, vcc_lo, 0, v179, vcc_lo
	s_delay_alu instid0(VALU_DEP_2)
	v_lshrrev_b32_e32 v181, v182, v181
; %bb.4284:                             ;   in Loop: Header=BB4_3808 Depth=3
	s_and_not1_saveexec_b32 s13, s13
; %bb.4285:                             ;   in Loop: Header=BB4_3808 Depth=3
	s_delay_alu instid0(VALU_DEP_1)
	v_bfe_u32 v179, v181, 23, 1
; %bb.4286:                             ;   in Loop: Header=BB4_3808 Depth=3
	s_or_b32 exec_lo, exec_lo, s13
	v_lshrrev_b32_e32 v181, 20, v181
	s_delay_alu instid0(VALU_DEP_2) | instskip(SKIP_2) | instid1(VALU_DEP_2)
	v_cmp_gt_i32_e32 vcc_lo, 16, v179
	v_min_i32_e32 v182, 15, v179
	v_lshrrev_b32_e32 v180, 24, v180
	v_dual_cndmask_b32 v181, 7, v181 :: v_dual_lshlrev_b32 v182, 3, v182
	s_delay_alu instid0(VALU_DEP_2) | instskip(NEXT) | instid1(VALU_DEP_2)
	v_and_b32_e32 v180, 0x80, v180
	v_or_b32_e32 v179, v179, v181
	v_and_b32_e32 v183, 7, v181
	s_delay_alu instid0(VALU_DEP_2) | instskip(SKIP_1) | instid1(VALU_DEP_1)
	v_cmp_ne_u32_e32 vcc_lo, 0, v179
	v_and_b32_e32 v182, 0xf8, v182
	v_or3_b32 v180, v180, v182, v183
	s_delay_alu instid0(VALU_DEP_1) | instskip(NEXT) | instid1(VALU_DEP_1)
	v_lshlrev_b32_e32 v180, 8, v180
	v_cndmask_b32_e32 v179, 0, v180, vcc_lo
.LBB4_4287:                             ;   in Loop: Header=BB4_3808 Depth=3
	s_or_b32 exec_lo, exec_lo, s17
.LBB4_4288:                             ;   in Loop: Header=BB4_3808 Depth=3
	s_delay_alu instid0(SALU_CYCLE_1) | instskip(SKIP_3) | instid1(VALU_DEP_1)
	s_or_b32 exec_lo, exec_lo, s16
	v_lshrrev_b32_e32 v181, 16, v15
	s_mov_b32 s13, 0
	s_mov_b32 s17, exec_lo
                                        ; implicit-def: $sgpr16
	v_and_b32_e32 v182, 0xff, v181
	s_delay_alu instid0(VALU_DEP_1)
	v_cmpx_lt_i16_e64 0x7f, v182
	s_xor_b32 s17, exec_lo, s17
	s_cbranch_execnz .LBB4_4558
; %bb.4289:                             ;   in Loop: Header=BB4_3808 Depth=3
	s_or_saveexec_b32 s17, s17
	v_mov_b32_e32 v180, s16
	s_xor_b32 exec_lo, exec_lo, s17
	s_cbranch_execnz .LBB4_4561
.LBB4_4290:                             ;   in Loop: Header=BB4_3808 Depth=3
	s_or_b32 exec_lo, exec_lo, s17
	s_and_saveexec_b32 s16, s13
	s_cbranch_execz .LBB4_4292
.LBB4_4291:                             ;   in Loop: Header=BB4_3808 Depth=3
	v_bfe_u32 v180, v15, 16, 3
	v_lshlrev_b32_e32 v40, 8, v15
	s_delay_alu instid0(VALU_DEP_2) | instskip(NEXT) | instid1(VALU_DEP_1)
	v_clz_i32_u32_e32 v182, v180
	v_min_u32_e32 v182, 32, v182
	s_delay_alu instid0(VALU_DEP_1) | instskip(SKIP_1) | instid1(VALU_DEP_2)
	v_subrev_nc_u32_e32 v183, 28, v182
	v_sub_nc_u32_e32 v182, 29, v182
	v_lshlrev_b32_e32 v181, v183, v181
	v_bfe_u32 v183, v15, 19, 4
	s_delay_alu instid0(VALU_DEP_1) | instskip(NEXT) | instid1(VALU_DEP_3)
	v_cmp_eq_u32_e32 vcc_lo, 0, v183
	v_dual_cndmask_b32 v182, v183, v182 :: v_dual_and_b32 v181, 7, v181
	s_delay_alu instid0(VALU_DEP_1) | instskip(NEXT) | instid1(VALU_DEP_2)
	v_dual_cndmask_b32 v180, v180, v181 :: v_dual_and_b32 v181, 0x80000000, v40
	v_lshl_add_u32 v182, v182, 23, 0x3b800000
	s_delay_alu instid0(VALU_DEP_2) | instskip(NEXT) | instid1(VALU_DEP_1)
	v_lshlrev_b32_e32 v180, 20, v180
	v_or3_b32 v180, v181, v182, v180
.LBB4_4292:                             ;   in Loop: Header=BB4_3808 Depth=3
	s_or_b32 exec_lo, exec_lo, s16
	v_lshrrev_b32_e32 v181, 16, v11
	s_mov_b32 s13, 0
	s_mov_b32 s17, exec_lo
                                        ; implicit-def: $sgpr16
	s_delay_alu instid0(VALU_DEP_1) | instskip(NEXT) | instid1(VALU_DEP_1)
	v_and_b32_e32 v183, 0xff, v181
	v_cmpx_lt_i16_e64 0x7f, v183
	s_xor_b32 s17, exec_lo, s17
	s_cbranch_execnz .LBB4_4562
; %bb.4293:                             ;   in Loop: Header=BB4_3808 Depth=3
	s_or_saveexec_b32 s17, s17
	v_mov_b32_e32 v182, s16
	s_xor_b32 exec_lo, exec_lo, s17
	s_cbranch_execnz .LBB4_4565
.LBB4_4294:                             ;   in Loop: Header=BB4_3808 Depth=3
	s_or_b32 exec_lo, exec_lo, s17
	s_and_saveexec_b32 s16, s13
	s_cbranch_execz .LBB4_4296
.LBB4_4295:                             ;   in Loop: Header=BB4_3808 Depth=3
	v_bfe_u32 v182, v11, 16, 3
	v_lshlrev_b32_e32 v41, 8, v11
	s_delay_alu instid0(VALU_DEP_2) | instskip(NEXT) | instid1(VALU_DEP_1)
	v_clz_i32_u32_e32 v183, v182
	v_min_u32_e32 v183, 32, v183
	s_delay_alu instid0(VALU_DEP_1) | instskip(SKIP_1) | instid1(VALU_DEP_2)
	v_subrev_nc_u32_e32 v40, 28, v183
	v_sub_nc_u32_e32 v183, 29, v183
	v_lshlrev_b32_e32 v181, v40, v181
	v_bfe_u32 v40, v11, 19, 4
	s_delay_alu instid0(VALU_DEP_2) | instskip(NEXT) | instid1(VALU_DEP_2)
	v_and_b32_e32 v181, 7, v181
	v_cmp_eq_u32_e32 vcc_lo, 0, v40
	v_cndmask_b32_e32 v183, v40, v183, vcc_lo
	s_delay_alu instid0(VALU_DEP_3) | instskip(SKIP_1) | instid1(VALU_DEP_3)
	v_cndmask_b32_e32 v181, v182, v181, vcc_lo
	v_and_b32_e32 v182, 0x80000000, v41
	v_lshl_add_u32 v183, v183, 23, 0x3b800000
	s_delay_alu instid0(VALU_DEP_3) | instskip(NEXT) | instid1(VALU_DEP_1)
	v_lshlrev_b32_e32 v181, 20, v181
	v_or3_b32 v182, v182, v183, v181
.LBB4_4296:                             ;   in Loop: Header=BB4_3808 Depth=3
	s_or_b32 exec_lo, exec_lo, s16
	s_delay_alu instid0(VALU_DEP_1) | instskip(NEXT) | instid1(VALU_DEP_1)
	v_add_f32_e32 v181, v180, v182
	v_and_b32_e32 v180, 0x7f800000, v181
	s_delay_alu instid0(VALU_DEP_1)
	v_cmp_ne_u32_e32 vcc_lo, 0x7f800000, v180
	v_mov_b32_e32 v180, 0x80
	s_and_saveexec_b32 s16, vcc_lo
	s_cbranch_execz .LBB4_4304
; %bb.4297:                             ;   in Loop: Header=BB4_3808 Depth=3
	v_mov_b32_e32 v180, 0
	s_mov_b32 s17, exec_lo
	v_cmpx_ne_u32_e32 0, v181
	s_cbranch_execz .LBB4_4303
; %bb.4298:                             ;   in Loop: Header=BB4_3808 Depth=3
	v_bfe_u32 v180, v181, 23, 8
	s_delay_alu instid0(VALU_DEP_1) | instskip(SKIP_1) | instid1(VALU_DEP_2)
	v_sub_nc_u32_e32 v183, 0x78, v180
	v_cmp_gt_u32_e32 vcc_lo, 0x79, v180
	v_dual_cndmask_b32 v183, 0, v183 :: v_dual_and_b32 v182, 0x7fffff, v181
	s_delay_alu instid0(VALU_DEP_1) | instskip(SKIP_2) | instid1(VALU_DEP_4)
	v_or_b32_e32 v40, 0x800000, v182
	v_cmp_eq_u32_e32 vcc_lo, 0, v180
	v_add_nc_u32_e32 v180, 0xffffff89, v180
	v_cndmask_b32_e64 v183, v183, 0x77, vcc_lo
	s_delay_alu instid0(VALU_DEP_2) | instskip(SKIP_1) | instid1(VALU_DEP_3)
	v_cndmask_b32_e64 v180, v180, 0xffffff8a, vcc_lo
	v_cndmask_b32_e32 v182, v40, v182, vcc_lo
	v_lshl_add_u32 v40, 0x100000, v183, -1
	v_lshlrev_b32_e64 v43, v183, 0x80000
	s_delay_alu instid0(VALU_DEP_3) | instskip(SKIP_1) | instid1(VALU_DEP_4)
	v_lshrrev_b32_e32 v41, v183, v182
	v_add_nc_u32_e32 v183, v183, v180
	v_and_b32_e32 v182, v40, v182
	s_delay_alu instid0(VALU_DEP_3) | instskip(NEXT) | instid1(VALU_DEP_2)
	v_bfe_u32 v42, v41, 20, 1
	v_cmp_eq_u32_e64 s13, v182, v43
	s_delay_alu instid0(VALU_DEP_2) | instskip(NEXT) | instid1(VALU_DEP_1)
	v_add_nc_u32_e32 v40, -1, v42
	v_cndmask_b32_e64 v182, 0, v40, s13
	v_lshrrev_b32_e32 v40, 23, v41
	s_mov_b32 s13, exec_lo
	s_delay_alu instid0(VALU_DEP_2) | instskip(NEXT) | instid1(VALU_DEP_2)
	v_add_nc_u32_e32 v182, v182, v41
	v_xor_b32_e32 v40, 1, v40
	s_delay_alu instid0(VALU_DEP_2) | instskip(NEXT) | instid1(VALU_DEP_1)
	v_and_b32_e32 v180, 0xfffff, v182
	v_add_nc_u32_e32 v182, v180, v41
                                        ; implicit-def: $vgpr180
	s_delay_alu instid0(VALU_DEP_3)
	v_cmpx_ne_u32_e64 v183, v40
	s_xor_b32 s13, exec_lo, s13
; %bb.4299:                             ;   in Loop: Header=BB4_3808 Depth=3
	s_delay_alu instid0(VALU_DEP_2) | instskip(SKIP_2) | instid1(VALU_DEP_2)
	v_cmp_lt_u32_e32 vcc_lo, 0xffffff, v182
	v_sub_nc_u32_e32 v180, v183, v40
	v_cndmask_b32_e64 v183, 0, 1, vcc_lo
	v_add_co_ci_u32_e32 v180, vcc_lo, 0, v180, vcc_lo
	s_delay_alu instid0(VALU_DEP_2)
	v_lshrrev_b32_e32 v182, v183, v182
; %bb.4300:                             ;   in Loop: Header=BB4_3808 Depth=3
	s_and_not1_saveexec_b32 s13, s13
; %bb.4301:                             ;   in Loop: Header=BB4_3808 Depth=3
	s_delay_alu instid0(VALU_DEP_1)
	v_bfe_u32 v180, v182, 23, 1
; %bb.4302:                             ;   in Loop: Header=BB4_3808 Depth=3
	s_or_b32 exec_lo, exec_lo, s13
	v_lshrrev_b32_e32 v182, 20, v182
	s_delay_alu instid0(VALU_DEP_2) | instskip(SKIP_2) | instid1(VALU_DEP_2)
	v_cmp_gt_i32_e32 vcc_lo, 16, v180
	v_min_i32_e32 v183, 15, v180
	v_lshrrev_b32_e32 v181, 24, v181
	v_dual_cndmask_b32 v182, 7, v182 :: v_dual_lshlrev_b32 v183, 3, v183
	s_delay_alu instid0(VALU_DEP_2) | instskip(NEXT) | instid1(VALU_DEP_2)
	v_and_b32_e32 v181, 0x80, v181
	v_or_b32_e32 v180, v180, v182
	v_and_b32_e32 v40, 7, v182
	s_delay_alu instid0(VALU_DEP_2) | instskip(SKIP_1) | instid1(VALU_DEP_1)
	v_cmp_ne_u32_e32 vcc_lo, 0, v180
	v_and_b32_e32 v183, 0xf8, v183
	v_or3_b32 v181, v183, v181, v40
	s_delay_alu instid0(VALU_DEP_1)
	v_cndmask_b32_e32 v180, 0, v181, vcc_lo
.LBB4_4303:                             ;   in Loop: Header=BB4_3808 Depth=3
	s_or_b32 exec_lo, exec_lo, s17
.LBB4_4304:                             ;   in Loop: Header=BB4_3808 Depth=3
	s_delay_alu instid0(SALU_CYCLE_1) | instskip(SKIP_3) | instid1(VALU_DEP_1)
	s_or_b32 exec_lo, exec_lo, s16
	v_lshrrev_b32_e32 v182, 24, v15
	s_mov_b32 s13, 0
	s_mov_b32 s17, exec_lo
                                        ; implicit-def: $sgpr16
	v_cmpx_lt_i16_e64 0x7f, v182
	s_xor_b32 s17, exec_lo, s17
	s_cbranch_execnz .LBB4_4566
; %bb.4305:                             ;   in Loop: Header=BB4_3808 Depth=3
	s_or_saveexec_b32 s17, s17
	v_mov_b32_e32 v181, s16
	s_xor_b32 exec_lo, exec_lo, s17
	s_cbranch_execnz .LBB4_4569
.LBB4_4306:                             ;   in Loop: Header=BB4_3808 Depth=3
	s_or_b32 exec_lo, exec_lo, s17
	s_and_saveexec_b32 s16, s13
	s_cbranch_execz .LBB4_4308
.LBB4_4307:                             ;   in Loop: Header=BB4_3808 Depth=3
	v_bfe_u32 v181, v15, 24, 3
	s_delay_alu instid0(VALU_DEP_1) | instskip(NEXT) | instid1(VALU_DEP_1)
	v_clz_i32_u32_e32 v183, v181
	v_min_u32_e32 v183, 32, v183
	s_delay_alu instid0(VALU_DEP_1) | instskip(SKIP_1) | instid1(VALU_DEP_2)
	v_subrev_nc_u32_e32 v40, 28, v183
	v_sub_nc_u32_e32 v183, 29, v183
	v_lshlrev_b32_e32 v182, v40, v182
	v_bfe_u32 v40, v15, 27, 4
	v_and_b32_e32 v15, 0x80000000, v15
	s_delay_alu instid0(VALU_DEP_2) | instskip(NEXT) | instid1(VALU_DEP_4)
	v_cmp_eq_u32_e32 vcc_lo, 0, v40
	v_dual_cndmask_b32 v183, v40, v183 :: v_dual_and_b32 v182, 7, v182
	s_delay_alu instid0(VALU_DEP_1) | instskip(NEXT) | instid1(VALU_DEP_2)
	v_cndmask_b32_e32 v181, v181, v182, vcc_lo
	v_lshl_add_u32 v182, v183, 23, 0x3b800000
	s_delay_alu instid0(VALU_DEP_2) | instskip(NEXT) | instid1(VALU_DEP_1)
	v_lshlrev_b32_e32 v181, 20, v181
	v_or3_b32 v181, v15, v182, v181
.LBB4_4308:                             ;   in Loop: Header=BB4_3808 Depth=3
	s_or_b32 exec_lo, exec_lo, s16
	v_lshrrev_b32_e32 v15, 24, v11
	s_mov_b32 s13, 0
	s_mov_b32 s17, exec_lo
                                        ; implicit-def: $sgpr16
	s_delay_alu instid0(VALU_DEP_1)
	v_cmpx_lt_i16_e32 0x7f, v15
	s_xor_b32 s17, exec_lo, s17
	s_cbranch_execnz .LBB4_4570
; %bb.4309:                             ;   in Loop: Header=BB4_3808 Depth=3
	s_or_saveexec_b32 s17, s17
	v_mov_b32_e32 v182, s16
	s_xor_b32 exec_lo, exec_lo, s17
	s_cbranch_execnz .LBB4_4573
.LBB4_4310:                             ;   in Loop: Header=BB4_3808 Depth=3
	s_or_b32 exec_lo, exec_lo, s17
	s_and_saveexec_b32 s16, s13
	s_cbranch_execz .LBB4_4312
.LBB4_4311:                             ;   in Loop: Header=BB4_3808 Depth=3
	v_bfe_u32 v182, v11, 24, 3
	s_delay_alu instid0(VALU_DEP_1) | instskip(NEXT) | instid1(VALU_DEP_1)
	v_clz_i32_u32_e32 v183, v182
	v_min_u32_e32 v183, 32, v183
	s_delay_alu instid0(VALU_DEP_1) | instskip(SKIP_1) | instid1(VALU_DEP_2)
	v_subrev_nc_u32_e32 v40, 28, v183
	v_sub_nc_u32_e32 v183, 29, v183
	v_lshlrev_b32_e32 v15, v40, v15
	v_bfe_u32 v40, v11, 27, 4
	v_and_b32_e32 v11, 0x80000000, v11
	s_delay_alu instid0(VALU_DEP_3) | instskip(NEXT) | instid1(VALU_DEP_3)
	v_and_b32_e32 v15, 7, v15
	v_cmp_eq_u32_e32 vcc_lo, 0, v40
	v_cndmask_b32_e32 v183, v40, v183, vcc_lo
	s_delay_alu instid0(VALU_DEP_3) | instskip(NEXT) | instid1(VALU_DEP_2)
	v_cndmask_b32_e32 v15, v182, v15, vcc_lo
	v_lshl_add_u32 v182, v183, 23, 0x3b800000
	s_delay_alu instid0(VALU_DEP_2) | instskip(NEXT) | instid1(VALU_DEP_1)
	v_lshlrev_b32_e32 v15, 20, v15
	v_or3_b32 v182, v11, v182, v15
.LBB4_4312:                             ;   in Loop: Header=BB4_3808 Depth=3
	s_or_b32 exec_lo, exec_lo, s16
	s_delay_alu instid0(VALU_DEP_1) | instskip(NEXT) | instid1(VALU_DEP_1)
	v_add_f32_e32 v11, v181, v182
	v_and_b32_e32 v15, 0x7f800000, v11
	s_delay_alu instid0(VALU_DEP_1)
	v_cmp_ne_u32_e32 vcc_lo, 0x7f800000, v15
	v_mov_b32_e32 v15, 0x8000
	s_and_saveexec_b32 s16, vcc_lo
	s_cbranch_execz .LBB4_3807
; %bb.4313:                             ;   in Loop: Header=BB4_3808 Depth=3
	v_mov_b32_e32 v15, 0
	s_mov_b32 s17, exec_lo
	v_cmpx_ne_u32_e32 0, v11
	s_cbranch_execz .LBB4_3806
; %bb.4314:                             ;   in Loop: Header=BB4_3808 Depth=3
	v_bfe_u32 v15, v11, 23, 8
	s_delay_alu instid0(VALU_DEP_1) | instskip(SKIP_1) | instid1(VALU_DEP_2)
	v_sub_nc_u32_e32 v182, 0x78, v15
	v_cmp_gt_u32_e32 vcc_lo, 0x79, v15
	v_dual_cndmask_b32 v182, 0, v182 :: v_dual_and_b32 v181, 0x7fffff, v11
	s_delay_alu instid0(VALU_DEP_1) | instskip(SKIP_2) | instid1(VALU_DEP_4)
	v_or_b32_e32 v183, 0x800000, v181
	v_cmp_eq_u32_e32 vcc_lo, 0, v15
	v_add_nc_u32_e32 v15, 0xffffff89, v15
	v_cndmask_b32_e64 v182, v182, 0x77, vcc_lo
	s_delay_alu instid0(VALU_DEP_2) | instskip(SKIP_1) | instid1(VALU_DEP_3)
	v_cndmask_b32_e64 v15, v15, 0xffffff8a, vcc_lo
	v_cndmask_b32_e32 v181, v183, v181, vcc_lo
	v_lshl_add_u32 v183, 0x100000, v182, -1
	v_lshlrev_b32_e64 v42, v182, 0x80000
	s_delay_alu instid0(VALU_DEP_3) | instskip(SKIP_1) | instid1(VALU_DEP_4)
	v_lshrrev_b32_e32 v40, v182, v181
	v_add_nc_u32_e32 v182, v182, v15
	v_and_b32_e32 v181, v183, v181
	s_delay_alu instid0(VALU_DEP_3) | instskip(NEXT) | instid1(VALU_DEP_2)
	v_bfe_u32 v41, v40, 20, 1
	v_cmp_eq_u32_e64 s13, v181, v42
	s_delay_alu instid0(VALU_DEP_2) | instskip(NEXT) | instid1(VALU_DEP_1)
	v_add_nc_u32_e32 v183, -1, v41
	v_cndmask_b32_e64 v181, 0, v183, s13
	v_lshrrev_b32_e32 v183, 23, v40
	s_mov_b32 s13, exec_lo
	s_delay_alu instid0(VALU_DEP_2) | instskip(NEXT) | instid1(VALU_DEP_2)
	v_add_nc_u32_e32 v181, v181, v40
	v_xor_b32_e32 v183, 1, v183
	s_delay_alu instid0(VALU_DEP_2) | instskip(NEXT) | instid1(VALU_DEP_1)
	v_and_b32_e32 v15, 0xfffff, v181
	v_add_nc_u32_e32 v181, v15, v40
                                        ; implicit-def: $vgpr15
	s_delay_alu instid0(VALU_DEP_3)
	v_cmpx_ne_u32_e64 v182, v183
	s_xor_b32 s13, exec_lo, s13
; %bb.4315:                             ;   in Loop: Header=BB4_3808 Depth=3
	s_delay_alu instid0(VALU_DEP_2) | instskip(SKIP_2) | instid1(VALU_DEP_2)
	v_cmp_lt_u32_e32 vcc_lo, 0xffffff, v181
	v_sub_nc_u32_e32 v15, v182, v183
	v_cndmask_b32_e64 v182, 0, 1, vcc_lo
	v_add_co_ci_u32_e32 v15, vcc_lo, 0, v15, vcc_lo
	s_delay_alu instid0(VALU_DEP_2)
	v_lshrrev_b32_e32 v181, v182, v181
; %bb.4316:                             ;   in Loop: Header=BB4_3808 Depth=3
	s_and_not1_saveexec_b32 s13, s13
	s_cbranch_execz .LBB4_3805
; %bb.4317:                             ;   in Loop: Header=BB4_3808 Depth=3
	s_delay_alu instid0(VALU_DEP_1)
	v_bfe_u32 v15, v181, 23, 1
	s_branch .LBB4_3805
.LBB4_4318:                             ;   in Loop: Header=BB4_3808 Depth=3
	s_mov_b32 s13, -1
	s_mov_b32 s29, exec_lo
                                        ; implicit-def: $sgpr16
	v_cmpx_eq_u16_e64 0x80, v149
; %bb.4319:                             ;   in Loop: Header=BB4_3808 Depth=3
	s_mov_b32 s16, 0x7f800001
	s_xor_b32 s13, exec_lo, -1
; %bb.4320:                             ;   in Loop: Header=BB4_3808 Depth=3
	s_or_b32 exec_lo, exec_lo, s29
	s_delay_alu instid0(SALU_CYCLE_1)
	s_and_b32 s13, s13, exec_lo
                                        ; implicit-def: $vgpr149
	s_or_saveexec_b32 s17, s17
	v_mov_b32_e32 v85, s16
	s_xor_b32 exec_lo, exec_lo, s17
	s_cbranch_execz .LBB4_3810
.LBB4_4321:                             ;   in Loop: Header=BB4_3808 Depth=3
	v_cmp_ne_u16_e64 vcc_lo, 0, v149
	v_mov_b32_e32 v85, 0
	s_and_not1_b32 s13, s13, exec_lo
	s_delay_alu instid0(VALU_DEP_2) | instskip(NEXT) | instid1(SALU_CYCLE_1)
	s_and_b32 s16, vcc_lo, exec_lo
	s_or_b32 s13, s13, s16
	s_or_b32 exec_lo, exec_lo, s17
	s_and_saveexec_b32 s16, s13
	s_cbranch_execnz .LBB4_3811
	s_branch .LBB4_3812
.LBB4_4322:                             ;   in Loop: Header=BB4_3808 Depth=3
	s_mov_b32 s13, -1
	s_mov_b32 s29, exec_lo
                                        ; implicit-def: $sgpr16
	v_cmpx_eq_u16_e64 0x80, v150
; %bb.4323:                             ;   in Loop: Header=BB4_3808 Depth=3
	s_mov_b32 s16, 0x7f800001
	s_xor_b32 s13, exec_lo, -1
; %bb.4324:                             ;   in Loop: Header=BB4_3808 Depth=3
	s_or_b32 exec_lo, exec_lo, s29
	s_delay_alu instid0(SALU_CYCLE_1)
	s_and_b32 s13, s13, exec_lo
                                        ; implicit-def: $vgpr150
	s_or_saveexec_b32 s17, s17
	v_mov_b32_e32 v149, s16
	s_xor_b32 exec_lo, exec_lo, s17
	s_cbranch_execz .LBB4_3814
.LBB4_4325:                             ;   in Loop: Header=BB4_3808 Depth=3
	v_cmp_ne_u16_e64 vcc_lo, 0, v150
	v_mov_b32_e32 v149, 0
	s_and_not1_b32 s13, s13, exec_lo
	s_delay_alu instid0(VALU_DEP_2) | instskip(NEXT) | instid1(SALU_CYCLE_1)
	s_and_b32 s16, vcc_lo, exec_lo
	s_or_b32 s13, s13, s16
	s_or_b32 exec_lo, exec_lo, s17
	s_and_saveexec_b32 s16, s13
	s_cbranch_execnz .LBB4_3815
	s_branch .LBB4_3816
.LBB4_4326:                             ;   in Loop: Header=BB4_3808 Depth=3
	s_mov_b32 s13, -1
	s_mov_b32 s29, exec_lo
                                        ; implicit-def: $sgpr16
	v_cmpx_eq_u16_e64 0x80, v150
; %bb.4327:                             ;   in Loop: Header=BB4_3808 Depth=3
	s_mov_b32 s16, 0x7f800001
	s_xor_b32 s13, exec_lo, -1
; %bb.4328:                             ;   in Loop: Header=BB4_3808 Depth=3
	s_or_b32 exec_lo, exec_lo, s29
	s_delay_alu instid0(SALU_CYCLE_1)
	s_and_b32 s13, s13, exec_lo
	s_or_saveexec_b32 s17, s17
	v_mov_b32_e32 v149, s16
	s_xor_b32 exec_lo, exec_lo, s17
	s_cbranch_execz .LBB4_3826
.LBB4_4329:                             ;   in Loop: Header=BB4_3808 Depth=3
	v_cmp_ne_u16_e64 vcc_lo, 0, v150
	v_mov_b32_e32 v149, 0
	s_and_not1_b32 s13, s13, exec_lo
	s_delay_alu instid0(VALU_DEP_2) | instskip(NEXT) | instid1(SALU_CYCLE_1)
	s_and_b32 s16, vcc_lo, exec_lo
	s_or_b32 s13, s13, s16
	s_or_b32 exec_lo, exec_lo, s17
	s_and_saveexec_b32 s16, s13
	s_cbranch_execnz .LBB4_3827
	s_branch .LBB4_3828
.LBB4_4330:                             ;   in Loop: Header=BB4_3808 Depth=3
	s_mov_b32 s13, -1
	s_mov_b32 s29, exec_lo
                                        ; implicit-def: $sgpr16
	v_cmpx_eq_u16_e64 0x80, v150
; %bb.4331:                             ;   in Loop: Header=BB4_3808 Depth=3
	s_mov_b32 s16, 0x7f800001
	s_xor_b32 s13, exec_lo, -1
; %bb.4332:                             ;   in Loop: Header=BB4_3808 Depth=3
	s_or_b32 exec_lo, exec_lo, s29
	s_delay_alu instid0(SALU_CYCLE_1)
	s_and_b32 s13, s13, exec_lo
	s_or_saveexec_b32 s17, s17
	v_mov_b32_e32 v151, s16
	s_xor_b32 exec_lo, exec_lo, s17
	s_cbranch_execz .LBB4_3830
.LBB4_4333:                             ;   in Loop: Header=BB4_3808 Depth=3
	v_cmp_ne_u16_e64 vcc_lo, 0, v150
	v_mov_b32_e32 v151, 0
	s_and_not1_b32 s13, s13, exec_lo
	s_delay_alu instid0(VALU_DEP_2) | instskip(NEXT) | instid1(SALU_CYCLE_1)
	s_and_b32 s16, vcc_lo, exec_lo
	s_or_b32 s13, s13, s16
	s_or_b32 exec_lo, exec_lo, s17
	s_and_saveexec_b32 s16, s13
	s_cbranch_execnz .LBB4_3831
	s_branch .LBB4_3832
.LBB4_4334:                             ;   in Loop: Header=BB4_3808 Depth=3
	s_mov_b32 s13, -1
	s_mov_b32 s29, exec_lo
                                        ; implicit-def: $sgpr16
	v_cmpx_eq_u16_e64 0x80, v160
; %bb.4335:                             ;   in Loop: Header=BB4_3808 Depth=3
	s_mov_b32 s16, 0x7f800001
	s_xor_b32 s13, exec_lo, -1
; %bb.4336:                             ;   in Loop: Header=BB4_3808 Depth=3
	s_or_b32 exec_lo, exec_lo, s29
	s_delay_alu instid0(SALU_CYCLE_1)
	s_and_b32 s13, s13, exec_lo
                                        ; implicit-def: $vgpr160
	s_or_saveexec_b32 s17, s17
	v_mov_b32_e32 v150, s16
	s_xor_b32 exec_lo, exec_lo, s17
	s_cbranch_execz .LBB4_3842
.LBB4_4337:                             ;   in Loop: Header=BB4_3808 Depth=3
	v_cmp_ne_u16_e64 vcc_lo, 0, v160
	v_mov_b32_e32 v150, 0
	s_and_not1_b32 s13, s13, exec_lo
	s_delay_alu instid0(VALU_DEP_2) | instskip(NEXT) | instid1(SALU_CYCLE_1)
	s_and_b32 s16, vcc_lo, exec_lo
	s_or_b32 s13, s13, s16
	s_or_b32 exec_lo, exec_lo, s17
	s_and_saveexec_b32 s16, s13
	s_cbranch_execnz .LBB4_3843
	s_branch .LBB4_3844
.LBB4_4338:                             ;   in Loop: Header=BB4_3808 Depth=3
	s_mov_b32 s13, -1
	s_mov_b32 s29, exec_lo
                                        ; implicit-def: $sgpr16
	v_cmpx_eq_u16_e64 0x80, v161
; %bb.4339:                             ;   in Loop: Header=BB4_3808 Depth=3
	s_mov_b32 s16, 0x7f800001
	s_xor_b32 s13, exec_lo, -1
; %bb.4340:                             ;   in Loop: Header=BB4_3808 Depth=3
	s_or_b32 exec_lo, exec_lo, s29
	s_delay_alu instid0(SALU_CYCLE_1)
	s_and_b32 s13, s13, exec_lo
                                        ; implicit-def: $vgpr161
	s_or_saveexec_b32 s17, s17
	v_mov_b32_e32 v160, s16
	s_xor_b32 exec_lo, exec_lo, s17
	s_cbranch_execz .LBB4_3846
.LBB4_4341:                             ;   in Loop: Header=BB4_3808 Depth=3
	v_cmp_ne_u16_e64 vcc_lo, 0, v161
	v_mov_b32_e32 v160, 0
	s_and_not1_b32 s13, s13, exec_lo
	s_delay_alu instid0(VALU_DEP_2) | instskip(NEXT) | instid1(SALU_CYCLE_1)
	s_and_b32 s16, vcc_lo, exec_lo
	s_or_b32 s13, s13, s16
	s_or_b32 exec_lo, exec_lo, s17
	s_and_saveexec_b32 s16, s13
	s_cbranch_execnz .LBB4_3847
	s_branch .LBB4_3848
.LBB4_4342:                             ;   in Loop: Header=BB4_3808 Depth=3
	s_mov_b32 s13, -1
	s_mov_b32 s29, exec_lo
                                        ; implicit-def: $sgpr16
	v_cmpx_eq_u16_e64 0x80, v160
; %bb.4343:                             ;   in Loop: Header=BB4_3808 Depth=3
	s_mov_b32 s16, 0x7f800001
	s_xor_b32 s13, exec_lo, -1
; %bb.4344:                             ;   in Loop: Header=BB4_3808 Depth=3
	s_or_b32 exec_lo, exec_lo, s29
	s_delay_alu instid0(SALU_CYCLE_1)
	s_and_b32 s13, s13, exec_lo
	s_or_saveexec_b32 s17, s17
	v_mov_b32_e32 v151, s16
	s_xor_b32 exec_lo, exec_lo, s17
	s_cbranch_execz .LBB4_3858
.LBB4_4345:                             ;   in Loop: Header=BB4_3808 Depth=3
	v_cmp_ne_u16_e64 vcc_lo, 0, v160
	v_mov_b32_e32 v151, 0
	s_and_not1_b32 s13, s13, exec_lo
	s_delay_alu instid0(VALU_DEP_2) | instskip(NEXT) | instid1(SALU_CYCLE_1)
	s_and_b32 s16, vcc_lo, exec_lo
	s_or_b32 s13, s13, s16
	s_or_b32 exec_lo, exec_lo, s17
	s_and_saveexec_b32 s16, s13
	s_cbranch_execnz .LBB4_3859
	s_branch .LBB4_3860
.LBB4_4346:                             ;   in Loop: Header=BB4_3808 Depth=3
	s_mov_b32 s13, -1
	s_mov_b32 s29, exec_lo
                                        ; implicit-def: $sgpr16
	v_cmpx_eq_u16_e32 0x80, v20
; %bb.4347:                             ;   in Loop: Header=BB4_3808 Depth=3
	s_mov_b32 s16, 0x7f800001
	s_xor_b32 s13, exec_lo, -1
; %bb.4348:                             ;   in Loop: Header=BB4_3808 Depth=3
	s_or_b32 exec_lo, exec_lo, s29
	s_delay_alu instid0(SALU_CYCLE_1)
	s_and_b32 s13, s13, exec_lo
	s_or_saveexec_b32 s17, s17
	v_mov_b32_e32 v160, s16
	s_xor_b32 exec_lo, exec_lo, s17
	s_cbranch_execz .LBB4_3862
.LBB4_4349:                             ;   in Loop: Header=BB4_3808 Depth=3
	v_cmp_ne_u16_e32 vcc_lo, 0, v20
	v_mov_b32_e32 v160, 0
	s_and_not1_b32 s13, s13, exec_lo
	s_and_b32 s16, vcc_lo, exec_lo
	s_delay_alu instid0(SALU_CYCLE_1)
	s_or_b32 s13, s13, s16
	s_or_b32 exec_lo, exec_lo, s17
	s_and_saveexec_b32 s16, s13
	s_cbranch_execnz .LBB4_3863
	s_branch .LBB4_3864
.LBB4_4350:                             ;   in Loop: Header=BB4_3808 Depth=3
	s_mov_b32 s13, -1
	s_mov_b32 s29, exec_lo
                                        ; implicit-def: $sgpr16
	v_cmpx_eq_u16_e64 0x80, v151
; %bb.4351:                             ;   in Loop: Header=BB4_3808 Depth=3
	s_mov_b32 s16, 0x7f800001
	s_xor_b32 s13, exec_lo, -1
; %bb.4352:                             ;   in Loop: Header=BB4_3808 Depth=3
	s_or_b32 exec_lo, exec_lo, s29
	s_delay_alu instid0(SALU_CYCLE_1)
	s_and_b32 s13, s13, exec_lo
                                        ; implicit-def: $vgpr151
	s_or_saveexec_b32 s17, s17
	v_mov_b32_e32 v20, s16
	s_xor_b32 exec_lo, exec_lo, s17
	s_cbranch_execz .LBB4_3874
.LBB4_4353:                             ;   in Loop: Header=BB4_3808 Depth=3
	v_cmp_ne_u16_e64 vcc_lo, 0, v151
	v_mov_b32_e32 v20, 0
	s_and_not1_b32 s13, s13, exec_lo
	s_delay_alu instid0(VALU_DEP_2) | instskip(NEXT) | instid1(SALU_CYCLE_1)
	s_and_b32 s16, vcc_lo, exec_lo
	s_or_b32 s13, s13, s16
	s_or_b32 exec_lo, exec_lo, s17
	s_and_saveexec_b32 s16, s13
	s_cbranch_execnz .LBB4_3875
	s_branch .LBB4_3876
.LBB4_4354:                             ;   in Loop: Header=BB4_3808 Depth=3
	s_mov_b32 s13, -1
	s_mov_b32 s29, exec_lo
                                        ; implicit-def: $sgpr16
	v_cmpx_eq_u16_e64 0x80, v160
; %bb.4355:                             ;   in Loop: Header=BB4_3808 Depth=3
	s_mov_b32 s16, 0x7f800001
	s_xor_b32 s13, exec_lo, -1
; %bb.4356:                             ;   in Loop: Header=BB4_3808 Depth=3
	s_or_b32 exec_lo, exec_lo, s29
	s_delay_alu instid0(SALU_CYCLE_1)
	s_and_b32 s13, s13, exec_lo
                                        ; implicit-def: $vgpr160
	s_or_saveexec_b32 s17, s17
	v_mov_b32_e32 v151, s16
	s_xor_b32 exec_lo, exec_lo, s17
	s_cbranch_execz .LBB4_3878
.LBB4_4357:                             ;   in Loop: Header=BB4_3808 Depth=3
	v_cmp_ne_u16_e64 vcc_lo, 0, v160
	v_mov_b32_e32 v151, 0
	s_and_not1_b32 s13, s13, exec_lo
	s_delay_alu instid0(VALU_DEP_2) | instskip(NEXT) | instid1(SALU_CYCLE_1)
	s_and_b32 s16, vcc_lo, exec_lo
	s_or_b32 s13, s13, s16
	s_or_b32 exec_lo, exec_lo, s17
	s_and_saveexec_b32 s16, s13
	s_cbranch_execnz .LBB4_3879
	s_branch .LBB4_3880
.LBB4_4358:                             ;   in Loop: Header=BB4_3808 Depth=3
	s_mov_b32 s13, -1
	s_mov_b32 s29, exec_lo
                                        ; implicit-def: $sgpr16
	v_cmpx_eq_u16_e64 0x80, v160
; %bb.4359:                             ;   in Loop: Header=BB4_3808 Depth=3
	s_mov_b32 s16, 0x7f800001
	s_xor_b32 s13, exec_lo, -1
; %bb.4360:                             ;   in Loop: Header=BB4_3808 Depth=3
	s_or_b32 exec_lo, exec_lo, s29
	s_delay_alu instid0(SALU_CYCLE_1)
	s_and_b32 s13, s13, exec_lo
	s_or_saveexec_b32 s17, s17
	v_mov_b32_e32 v151, s16
	s_xor_b32 exec_lo, exec_lo, s17
	s_cbranch_execz .LBB4_3890
.LBB4_4361:                             ;   in Loop: Header=BB4_3808 Depth=3
	v_cmp_ne_u16_e64 vcc_lo, 0, v160
	v_mov_b32_e32 v151, 0
	s_and_not1_b32 s13, s13, exec_lo
	s_delay_alu instid0(VALU_DEP_2) | instskip(NEXT) | instid1(SALU_CYCLE_1)
	s_and_b32 s16, vcc_lo, exec_lo
	s_or_b32 s13, s13, s16
	s_or_b32 exec_lo, exec_lo, s17
	s_and_saveexec_b32 s16, s13
	s_cbranch_execnz .LBB4_3891
	s_branch .LBB4_3892
.LBB4_4362:                             ;   in Loop: Header=BB4_3808 Depth=3
	s_mov_b32 s13, -1
	s_mov_b32 s29, exec_lo
                                        ; implicit-def: $sgpr16
	v_cmpx_eq_u16_e64 0x80, v160
; %bb.4363:                             ;   in Loop: Header=BB4_3808 Depth=3
	s_mov_b32 s16, 0x7f800001
	s_xor_b32 s13, exec_lo, -1
; %bb.4364:                             ;   in Loop: Header=BB4_3808 Depth=3
	s_or_b32 exec_lo, exec_lo, s29
	s_delay_alu instid0(SALU_CYCLE_1)
	s_and_b32 s13, s13, exec_lo
	s_or_saveexec_b32 s17, s17
	v_mov_b32_e32 v161, s16
	s_xor_b32 exec_lo, exec_lo, s17
	s_cbranch_execz .LBB4_3894
.LBB4_4365:                             ;   in Loop: Header=BB4_3808 Depth=3
	v_cmp_ne_u16_e64 vcc_lo, 0, v160
	v_mov_b32_e32 v161, 0
	s_and_not1_b32 s13, s13, exec_lo
	s_delay_alu instid0(VALU_DEP_2) | instskip(NEXT) | instid1(SALU_CYCLE_1)
	s_and_b32 s16, vcc_lo, exec_lo
	s_or_b32 s13, s13, s16
	s_or_b32 exec_lo, exec_lo, s17
	s_and_saveexec_b32 s16, s13
	s_cbranch_execnz .LBB4_3895
	s_branch .LBB4_3896
.LBB4_4366:                             ;   in Loop: Header=BB4_3808 Depth=3
	s_mov_b32 s13, -1
	s_mov_b32 s29, exec_lo
                                        ; implicit-def: $sgpr16
	v_cmpx_eq_u16_e64 0x80, v162
; %bb.4367:                             ;   in Loop: Header=BB4_3808 Depth=3
	s_mov_b32 s16, 0x7f800001
	s_xor_b32 s13, exec_lo, -1
; %bb.4368:                             ;   in Loop: Header=BB4_3808 Depth=3
	s_or_b32 exec_lo, exec_lo, s29
	s_delay_alu instid0(SALU_CYCLE_1)
	s_and_b32 s13, s13, exec_lo
                                        ; implicit-def: $vgpr162
	s_or_saveexec_b32 s17, s17
	v_mov_b32_e32 v160, s16
	s_xor_b32 exec_lo, exec_lo, s17
	s_cbranch_execz .LBB4_3906
.LBB4_4369:                             ;   in Loop: Header=BB4_3808 Depth=3
	v_cmp_ne_u16_e64 vcc_lo, 0, v162
	v_mov_b32_e32 v160, 0
	s_and_not1_b32 s13, s13, exec_lo
	s_delay_alu instid0(VALU_DEP_2) | instskip(NEXT) | instid1(SALU_CYCLE_1)
	s_and_b32 s16, vcc_lo, exec_lo
	s_or_b32 s13, s13, s16
	s_or_b32 exec_lo, exec_lo, s17
	s_and_saveexec_b32 s16, s13
	s_cbranch_execnz .LBB4_3907
	s_branch .LBB4_3908
.LBB4_4370:                             ;   in Loop: Header=BB4_3808 Depth=3
	s_mov_b32 s13, -1
	s_mov_b32 s29, exec_lo
                                        ; implicit-def: $sgpr16
	v_cmpx_eq_u16_e64 0x80, v163
; %bb.4371:                             ;   in Loop: Header=BB4_3808 Depth=3
	s_mov_b32 s16, 0x7f800001
	s_xor_b32 s13, exec_lo, -1
; %bb.4372:                             ;   in Loop: Header=BB4_3808 Depth=3
	s_or_b32 exec_lo, exec_lo, s29
	s_delay_alu instid0(SALU_CYCLE_1)
	s_and_b32 s13, s13, exec_lo
                                        ; implicit-def: $vgpr163
	s_or_saveexec_b32 s17, s17
	v_mov_b32_e32 v162, s16
	s_xor_b32 exec_lo, exec_lo, s17
	s_cbranch_execz .LBB4_3910
.LBB4_4373:                             ;   in Loop: Header=BB4_3808 Depth=3
	v_cmp_ne_u16_e64 vcc_lo, 0, v163
	v_mov_b32_e32 v162, 0
	s_and_not1_b32 s13, s13, exec_lo
	s_delay_alu instid0(VALU_DEP_2) | instskip(NEXT) | instid1(SALU_CYCLE_1)
	s_and_b32 s16, vcc_lo, exec_lo
	s_or_b32 s13, s13, s16
	s_or_b32 exec_lo, exec_lo, s17
	s_and_saveexec_b32 s16, s13
	s_cbranch_execnz .LBB4_3911
	s_branch .LBB4_3912
.LBB4_4374:                             ;   in Loop: Header=BB4_3808 Depth=3
	s_mov_b32 s13, -1
	s_mov_b32 s29, exec_lo
                                        ; implicit-def: $sgpr16
	v_cmpx_eq_u16_e64 0x80, v162
; %bb.4375:                             ;   in Loop: Header=BB4_3808 Depth=3
	s_mov_b32 s16, 0x7f800001
	s_xor_b32 s13, exec_lo, -1
; %bb.4376:                             ;   in Loop: Header=BB4_3808 Depth=3
	s_or_b32 exec_lo, exec_lo, s29
	s_delay_alu instid0(SALU_CYCLE_1)
	s_and_b32 s13, s13, exec_lo
	s_or_saveexec_b32 s17, s17
	v_mov_b32_e32 v161, s16
	s_xor_b32 exec_lo, exec_lo, s17
	s_cbranch_execz .LBB4_3922
.LBB4_4377:                             ;   in Loop: Header=BB4_3808 Depth=3
	v_cmp_ne_u16_e64 vcc_lo, 0, v162
	v_mov_b32_e32 v161, 0
	s_and_not1_b32 s13, s13, exec_lo
	s_delay_alu instid0(VALU_DEP_2) | instskip(NEXT) | instid1(SALU_CYCLE_1)
	s_and_b32 s16, vcc_lo, exec_lo
	s_or_b32 s13, s13, s16
	s_or_b32 exec_lo, exec_lo, s17
	s_and_saveexec_b32 s16, s13
	s_cbranch_execnz .LBB4_3923
	s_branch .LBB4_3924
.LBB4_4378:                             ;   in Loop: Header=BB4_3808 Depth=3
	s_mov_b32 s13, -1
	s_mov_b32 s29, exec_lo
                                        ; implicit-def: $sgpr16
	v_cmpx_eq_u16_e32 0x80, v21
; %bb.4379:                             ;   in Loop: Header=BB4_3808 Depth=3
	s_mov_b32 s16, 0x7f800001
	s_xor_b32 s13, exec_lo, -1
; %bb.4380:                             ;   in Loop: Header=BB4_3808 Depth=3
	s_or_b32 exec_lo, exec_lo, s29
	s_delay_alu instid0(SALU_CYCLE_1)
	s_and_b32 s13, s13, exec_lo
	s_or_saveexec_b32 s17, s17
	v_mov_b32_e32 v162, s16
	s_xor_b32 exec_lo, exec_lo, s17
	s_cbranch_execz .LBB4_3926
.LBB4_4381:                             ;   in Loop: Header=BB4_3808 Depth=3
	v_cmp_ne_u16_e32 vcc_lo, 0, v21
	v_mov_b32_e32 v162, 0
	s_and_not1_b32 s13, s13, exec_lo
	s_and_b32 s16, vcc_lo, exec_lo
	s_delay_alu instid0(SALU_CYCLE_1)
	s_or_b32 s13, s13, s16
	s_or_b32 exec_lo, exec_lo, s17
	s_and_saveexec_b32 s16, s13
	s_cbranch_execnz .LBB4_3927
	s_branch .LBB4_3928
.LBB4_4382:                             ;   in Loop: Header=BB4_3808 Depth=3
	s_mov_b32 s13, -1
	s_mov_b32 s29, exec_lo
                                        ; implicit-def: $sgpr16
	v_cmpx_eq_u16_e64 0x80, v161
; %bb.4383:                             ;   in Loop: Header=BB4_3808 Depth=3
	s_mov_b32 s16, 0x7f800001
	s_xor_b32 s13, exec_lo, -1
; %bb.4384:                             ;   in Loop: Header=BB4_3808 Depth=3
	s_or_b32 exec_lo, exec_lo, s29
	s_delay_alu instid0(SALU_CYCLE_1)
	s_and_b32 s13, s13, exec_lo
                                        ; implicit-def: $vgpr161
	s_or_saveexec_b32 s17, s17
	v_mov_b32_e32 v21, s16
	s_xor_b32 exec_lo, exec_lo, s17
	s_cbranch_execz .LBB4_3938
.LBB4_4385:                             ;   in Loop: Header=BB4_3808 Depth=3
	v_cmp_ne_u16_e64 vcc_lo, 0, v161
	v_mov_b32_e32 v21, 0
	s_and_not1_b32 s13, s13, exec_lo
	s_delay_alu instid0(VALU_DEP_2) | instskip(NEXT) | instid1(SALU_CYCLE_1)
	s_and_b32 s16, vcc_lo, exec_lo
	s_or_b32 s13, s13, s16
	s_or_b32 exec_lo, exec_lo, s17
	s_and_saveexec_b32 s16, s13
	s_cbranch_execnz .LBB4_3939
	s_branch .LBB4_3940
.LBB4_4386:                             ;   in Loop: Header=BB4_3808 Depth=3
	s_mov_b32 s13, -1
	s_mov_b32 s29, exec_lo
                                        ; implicit-def: $sgpr16
	v_cmpx_eq_u16_e64 0x80, v162
; %bb.4387:                             ;   in Loop: Header=BB4_3808 Depth=3
	s_mov_b32 s16, 0x7f800001
	s_xor_b32 s13, exec_lo, -1
; %bb.4388:                             ;   in Loop: Header=BB4_3808 Depth=3
	s_or_b32 exec_lo, exec_lo, s29
	s_delay_alu instid0(SALU_CYCLE_1)
	s_and_b32 s13, s13, exec_lo
                                        ; implicit-def: $vgpr162
	s_or_saveexec_b32 s17, s17
	v_mov_b32_e32 v161, s16
	s_xor_b32 exec_lo, exec_lo, s17
	s_cbranch_execz .LBB4_3942
.LBB4_4389:                             ;   in Loop: Header=BB4_3808 Depth=3
	v_cmp_ne_u16_e64 vcc_lo, 0, v162
	v_mov_b32_e32 v161, 0
	s_and_not1_b32 s13, s13, exec_lo
	s_delay_alu instid0(VALU_DEP_2) | instskip(NEXT) | instid1(SALU_CYCLE_1)
	s_and_b32 s16, vcc_lo, exec_lo
	s_or_b32 s13, s13, s16
	s_or_b32 exec_lo, exec_lo, s17
	s_and_saveexec_b32 s16, s13
	s_cbranch_execnz .LBB4_3943
	s_branch .LBB4_3944
.LBB4_4390:                             ;   in Loop: Header=BB4_3808 Depth=3
	s_mov_b32 s13, -1
	s_mov_b32 s29, exec_lo
                                        ; implicit-def: $sgpr16
	v_cmpx_eq_u16_e64 0x80, v162
; %bb.4391:                             ;   in Loop: Header=BB4_3808 Depth=3
	s_mov_b32 s16, 0x7f800001
	s_xor_b32 s13, exec_lo, -1
; %bb.4392:                             ;   in Loop: Header=BB4_3808 Depth=3
	s_or_b32 exec_lo, exec_lo, s29
	s_delay_alu instid0(SALU_CYCLE_1)
	s_and_b32 s13, s13, exec_lo
	s_or_saveexec_b32 s17, s17
	v_mov_b32_e32 v161, s16
	s_xor_b32 exec_lo, exec_lo, s17
	s_cbranch_execz .LBB4_3954
.LBB4_4393:                             ;   in Loop: Header=BB4_3808 Depth=3
	v_cmp_ne_u16_e64 vcc_lo, 0, v162
	v_mov_b32_e32 v161, 0
	s_and_not1_b32 s13, s13, exec_lo
	s_delay_alu instid0(VALU_DEP_2) | instskip(NEXT) | instid1(SALU_CYCLE_1)
	s_and_b32 s16, vcc_lo, exec_lo
	s_or_b32 s13, s13, s16
	s_or_b32 exec_lo, exec_lo, s17
	s_and_saveexec_b32 s16, s13
	s_cbranch_execnz .LBB4_3955
	s_branch .LBB4_3956
.LBB4_4394:                             ;   in Loop: Header=BB4_3808 Depth=3
	s_mov_b32 s13, -1
	s_mov_b32 s29, exec_lo
                                        ; implicit-def: $sgpr16
	v_cmpx_eq_u16_e64 0x80, v162
; %bb.4395:                             ;   in Loop: Header=BB4_3808 Depth=3
	s_mov_b32 s16, 0x7f800001
	s_xor_b32 s13, exec_lo, -1
; %bb.4396:                             ;   in Loop: Header=BB4_3808 Depth=3
	s_or_b32 exec_lo, exec_lo, s29
	s_delay_alu instid0(SALU_CYCLE_1)
	s_and_b32 s13, s13, exec_lo
	s_or_saveexec_b32 s17, s17
	v_mov_b32_e32 v163, s16
	s_xor_b32 exec_lo, exec_lo, s17
	s_cbranch_execz .LBB4_3958
.LBB4_4397:                             ;   in Loop: Header=BB4_3808 Depth=3
	v_cmp_ne_u16_e64 vcc_lo, 0, v162
	v_mov_b32_e32 v163, 0
	s_and_not1_b32 s13, s13, exec_lo
	s_delay_alu instid0(VALU_DEP_2) | instskip(NEXT) | instid1(SALU_CYCLE_1)
	s_and_b32 s16, vcc_lo, exec_lo
	s_or_b32 s13, s13, s16
	s_or_b32 exec_lo, exec_lo, s17
	s_and_saveexec_b32 s16, s13
	s_cbranch_execnz .LBB4_3959
	s_branch .LBB4_3960
.LBB4_4398:                             ;   in Loop: Header=BB4_3808 Depth=3
	s_mov_b32 s13, -1
	s_mov_b32 s29, exec_lo
                                        ; implicit-def: $sgpr16
	v_cmpx_eq_u16_e64 0x80, v164
; %bb.4399:                             ;   in Loop: Header=BB4_3808 Depth=3
	s_mov_b32 s16, 0x7f800001
	s_xor_b32 s13, exec_lo, -1
; %bb.4400:                             ;   in Loop: Header=BB4_3808 Depth=3
	s_or_b32 exec_lo, exec_lo, s29
	s_delay_alu instid0(SALU_CYCLE_1)
	s_and_b32 s13, s13, exec_lo
                                        ; implicit-def: $vgpr164
	s_or_saveexec_b32 s17, s17
	v_mov_b32_e32 v162, s16
	s_xor_b32 exec_lo, exec_lo, s17
	s_cbranch_execz .LBB4_3970
.LBB4_4401:                             ;   in Loop: Header=BB4_3808 Depth=3
	v_cmp_ne_u16_e64 vcc_lo, 0, v164
	v_mov_b32_e32 v162, 0
	s_and_not1_b32 s13, s13, exec_lo
	s_delay_alu instid0(VALU_DEP_2) | instskip(NEXT) | instid1(SALU_CYCLE_1)
	s_and_b32 s16, vcc_lo, exec_lo
	s_or_b32 s13, s13, s16
	s_or_b32 exec_lo, exec_lo, s17
	s_and_saveexec_b32 s16, s13
	s_cbranch_execnz .LBB4_3971
	s_branch .LBB4_3972
.LBB4_4402:                             ;   in Loop: Header=BB4_3808 Depth=3
	s_mov_b32 s13, -1
	s_mov_b32 s29, exec_lo
                                        ; implicit-def: $sgpr16
	v_cmpx_eq_u16_e64 0x80, v165
; %bb.4403:                             ;   in Loop: Header=BB4_3808 Depth=3
	s_mov_b32 s16, 0x7f800001
	s_xor_b32 s13, exec_lo, -1
; %bb.4404:                             ;   in Loop: Header=BB4_3808 Depth=3
	s_or_b32 exec_lo, exec_lo, s29
	s_delay_alu instid0(SALU_CYCLE_1)
	s_and_b32 s13, s13, exec_lo
                                        ; implicit-def: $vgpr165
	s_or_saveexec_b32 s17, s17
	v_mov_b32_e32 v164, s16
	s_xor_b32 exec_lo, exec_lo, s17
	s_cbranch_execz .LBB4_3974
.LBB4_4405:                             ;   in Loop: Header=BB4_3808 Depth=3
	v_cmp_ne_u16_e64 vcc_lo, 0, v165
	v_mov_b32_e32 v164, 0
	s_and_not1_b32 s13, s13, exec_lo
	s_delay_alu instid0(VALU_DEP_2) | instskip(NEXT) | instid1(SALU_CYCLE_1)
	s_and_b32 s16, vcc_lo, exec_lo
	s_or_b32 s13, s13, s16
	s_or_b32 exec_lo, exec_lo, s17
	s_and_saveexec_b32 s16, s13
	s_cbranch_execnz .LBB4_3975
	s_branch .LBB4_3976
.LBB4_4406:                             ;   in Loop: Header=BB4_3808 Depth=3
	s_mov_b32 s13, -1
	s_mov_b32 s29, exec_lo
                                        ; implicit-def: $sgpr16
	v_cmpx_eq_u16_e64 0x80, v164
; %bb.4407:                             ;   in Loop: Header=BB4_3808 Depth=3
	s_mov_b32 s16, 0x7f800001
	s_xor_b32 s13, exec_lo, -1
; %bb.4408:                             ;   in Loop: Header=BB4_3808 Depth=3
	s_or_b32 exec_lo, exec_lo, s29
	s_delay_alu instid0(SALU_CYCLE_1)
	s_and_b32 s13, s13, exec_lo
	s_or_saveexec_b32 s17, s17
	v_mov_b32_e32 v163, s16
	s_xor_b32 exec_lo, exec_lo, s17
	s_cbranch_execz .LBB4_3986
.LBB4_4409:                             ;   in Loop: Header=BB4_3808 Depth=3
	v_cmp_ne_u16_e64 vcc_lo, 0, v164
	v_mov_b32_e32 v163, 0
	s_and_not1_b32 s13, s13, exec_lo
	s_delay_alu instid0(VALU_DEP_2) | instskip(NEXT) | instid1(SALU_CYCLE_1)
	s_and_b32 s16, vcc_lo, exec_lo
	s_or_b32 s13, s13, s16
	s_or_b32 exec_lo, exec_lo, s17
	s_and_saveexec_b32 s16, s13
	s_cbranch_execnz .LBB4_3987
	s_branch .LBB4_3988
.LBB4_4410:                             ;   in Loop: Header=BB4_3808 Depth=3
	s_mov_b32 s13, -1
	s_mov_b32 s29, exec_lo
                                        ; implicit-def: $sgpr16
	v_cmpx_eq_u16_e32 0x80, v22
; %bb.4411:                             ;   in Loop: Header=BB4_3808 Depth=3
	s_mov_b32 s16, 0x7f800001
	s_xor_b32 s13, exec_lo, -1
; %bb.4412:                             ;   in Loop: Header=BB4_3808 Depth=3
	s_or_b32 exec_lo, exec_lo, s29
	s_delay_alu instid0(SALU_CYCLE_1)
	s_and_b32 s13, s13, exec_lo
	s_or_saveexec_b32 s17, s17
	v_mov_b32_e32 v164, s16
	s_xor_b32 exec_lo, exec_lo, s17
	s_cbranch_execz .LBB4_3990
.LBB4_4413:                             ;   in Loop: Header=BB4_3808 Depth=3
	v_cmp_ne_u16_e32 vcc_lo, 0, v22
	v_mov_b32_e32 v164, 0
	s_and_not1_b32 s13, s13, exec_lo
	s_and_b32 s16, vcc_lo, exec_lo
	s_delay_alu instid0(SALU_CYCLE_1)
	s_or_b32 s13, s13, s16
	s_or_b32 exec_lo, exec_lo, s17
	s_and_saveexec_b32 s16, s13
	s_cbranch_execnz .LBB4_3991
	s_branch .LBB4_3992
.LBB4_4414:                             ;   in Loop: Header=BB4_3808 Depth=3
	s_mov_b32 s13, -1
	s_mov_b32 s29, exec_lo
                                        ; implicit-def: $sgpr16
	v_cmpx_eq_u16_e64 0x80, v163
; %bb.4415:                             ;   in Loop: Header=BB4_3808 Depth=3
	s_mov_b32 s16, 0x7f800001
	s_xor_b32 s13, exec_lo, -1
; %bb.4416:                             ;   in Loop: Header=BB4_3808 Depth=3
	s_or_b32 exec_lo, exec_lo, s29
	s_delay_alu instid0(SALU_CYCLE_1)
	s_and_b32 s13, s13, exec_lo
                                        ; implicit-def: $vgpr163
	s_or_saveexec_b32 s17, s17
	v_mov_b32_e32 v22, s16
	s_xor_b32 exec_lo, exec_lo, s17
	s_cbranch_execz .LBB4_4002
.LBB4_4417:                             ;   in Loop: Header=BB4_3808 Depth=3
	v_cmp_ne_u16_e64 vcc_lo, 0, v163
	v_mov_b32_e32 v22, 0
	s_and_not1_b32 s13, s13, exec_lo
	s_delay_alu instid0(VALU_DEP_2) | instskip(NEXT) | instid1(SALU_CYCLE_1)
	s_and_b32 s16, vcc_lo, exec_lo
	s_or_b32 s13, s13, s16
	s_or_b32 exec_lo, exec_lo, s17
	s_and_saveexec_b32 s16, s13
	s_cbranch_execnz .LBB4_4003
	s_branch .LBB4_4004
.LBB4_4418:                             ;   in Loop: Header=BB4_3808 Depth=3
	s_mov_b32 s13, -1
	s_mov_b32 s29, exec_lo
                                        ; implicit-def: $sgpr16
	v_cmpx_eq_u16_e64 0x80, v164
; %bb.4419:                             ;   in Loop: Header=BB4_3808 Depth=3
	s_mov_b32 s16, 0x7f800001
	s_xor_b32 s13, exec_lo, -1
; %bb.4420:                             ;   in Loop: Header=BB4_3808 Depth=3
	s_or_b32 exec_lo, exec_lo, s29
	s_delay_alu instid0(SALU_CYCLE_1)
	s_and_b32 s13, s13, exec_lo
                                        ; implicit-def: $vgpr164
	s_or_saveexec_b32 s17, s17
	v_mov_b32_e32 v163, s16
	s_xor_b32 exec_lo, exec_lo, s17
	s_cbranch_execz .LBB4_4006
.LBB4_4421:                             ;   in Loop: Header=BB4_3808 Depth=3
	v_cmp_ne_u16_e64 vcc_lo, 0, v164
	v_mov_b32_e32 v163, 0
	s_and_not1_b32 s13, s13, exec_lo
	s_delay_alu instid0(VALU_DEP_2) | instskip(NEXT) | instid1(SALU_CYCLE_1)
	s_and_b32 s16, vcc_lo, exec_lo
	s_or_b32 s13, s13, s16
	s_or_b32 exec_lo, exec_lo, s17
	s_and_saveexec_b32 s16, s13
	s_cbranch_execnz .LBB4_4007
	s_branch .LBB4_4008
.LBB4_4422:                             ;   in Loop: Header=BB4_3808 Depth=3
	s_mov_b32 s13, -1
	s_mov_b32 s29, exec_lo
                                        ; implicit-def: $sgpr16
	v_cmpx_eq_u16_e64 0x80, v164
; %bb.4423:                             ;   in Loop: Header=BB4_3808 Depth=3
	s_mov_b32 s16, 0x7f800001
	s_xor_b32 s13, exec_lo, -1
; %bb.4424:                             ;   in Loop: Header=BB4_3808 Depth=3
	s_or_b32 exec_lo, exec_lo, s29
	s_delay_alu instid0(SALU_CYCLE_1)
	s_and_b32 s13, s13, exec_lo
	s_or_saveexec_b32 s17, s17
	v_mov_b32_e32 v163, s16
	s_xor_b32 exec_lo, exec_lo, s17
	s_cbranch_execz .LBB4_4018
.LBB4_4425:                             ;   in Loop: Header=BB4_3808 Depth=3
	v_cmp_ne_u16_e64 vcc_lo, 0, v164
	v_mov_b32_e32 v163, 0
	s_and_not1_b32 s13, s13, exec_lo
	s_delay_alu instid0(VALU_DEP_2) | instskip(NEXT) | instid1(SALU_CYCLE_1)
	s_and_b32 s16, vcc_lo, exec_lo
	s_or_b32 s13, s13, s16
	s_or_b32 exec_lo, exec_lo, s17
	s_and_saveexec_b32 s16, s13
	s_cbranch_execnz .LBB4_4019
	s_branch .LBB4_4020
.LBB4_4426:                             ;   in Loop: Header=BB4_3808 Depth=3
	s_mov_b32 s13, -1
	s_mov_b32 s29, exec_lo
                                        ; implicit-def: $sgpr16
	v_cmpx_eq_u16_e64 0x80, v164
; %bb.4427:                             ;   in Loop: Header=BB4_3808 Depth=3
	s_mov_b32 s16, 0x7f800001
	s_xor_b32 s13, exec_lo, -1
; %bb.4428:                             ;   in Loop: Header=BB4_3808 Depth=3
	s_or_b32 exec_lo, exec_lo, s29
	s_delay_alu instid0(SALU_CYCLE_1)
	s_and_b32 s13, s13, exec_lo
	s_or_saveexec_b32 s17, s17
	v_mov_b32_e32 v165, s16
	s_xor_b32 exec_lo, exec_lo, s17
	s_cbranch_execz .LBB4_4022
.LBB4_4429:                             ;   in Loop: Header=BB4_3808 Depth=3
	v_cmp_ne_u16_e64 vcc_lo, 0, v164
	v_mov_b32_e32 v165, 0
	s_and_not1_b32 s13, s13, exec_lo
	s_delay_alu instid0(VALU_DEP_2) | instskip(NEXT) | instid1(SALU_CYCLE_1)
	s_and_b32 s16, vcc_lo, exec_lo
	s_or_b32 s13, s13, s16
	s_or_b32 exec_lo, exec_lo, s17
	s_and_saveexec_b32 s16, s13
	s_cbranch_execnz .LBB4_4023
	s_branch .LBB4_4024
.LBB4_4430:                             ;   in Loop: Header=BB4_3808 Depth=3
	s_mov_b32 s13, -1
	s_mov_b32 s29, exec_lo
                                        ; implicit-def: $sgpr16
	v_cmpx_eq_u16_e64 0x80, v166
; %bb.4431:                             ;   in Loop: Header=BB4_3808 Depth=3
	s_mov_b32 s16, 0x7f800001
	s_xor_b32 s13, exec_lo, -1
; %bb.4432:                             ;   in Loop: Header=BB4_3808 Depth=3
	s_or_b32 exec_lo, exec_lo, s29
	s_delay_alu instid0(SALU_CYCLE_1)
	s_and_b32 s13, s13, exec_lo
                                        ; implicit-def: $vgpr166
	s_or_saveexec_b32 s17, s17
	v_mov_b32_e32 v164, s16
	s_xor_b32 exec_lo, exec_lo, s17
	s_cbranch_execz .LBB4_4034
.LBB4_4433:                             ;   in Loop: Header=BB4_3808 Depth=3
	v_cmp_ne_u16_e64 vcc_lo, 0, v166
	v_mov_b32_e32 v164, 0
	s_and_not1_b32 s13, s13, exec_lo
	s_delay_alu instid0(VALU_DEP_2) | instskip(NEXT) | instid1(SALU_CYCLE_1)
	s_and_b32 s16, vcc_lo, exec_lo
	s_or_b32 s13, s13, s16
	s_or_b32 exec_lo, exec_lo, s17
	s_and_saveexec_b32 s16, s13
	s_cbranch_execnz .LBB4_4035
	s_branch .LBB4_4036
.LBB4_4434:                             ;   in Loop: Header=BB4_3808 Depth=3
	s_mov_b32 s13, -1
	s_mov_b32 s29, exec_lo
                                        ; implicit-def: $sgpr16
	v_cmpx_eq_u16_e64 0x80, v167
; %bb.4435:                             ;   in Loop: Header=BB4_3808 Depth=3
	s_mov_b32 s16, 0x7f800001
	s_xor_b32 s13, exec_lo, -1
; %bb.4436:                             ;   in Loop: Header=BB4_3808 Depth=3
	s_or_b32 exec_lo, exec_lo, s29
	s_delay_alu instid0(SALU_CYCLE_1)
	s_and_b32 s13, s13, exec_lo
                                        ; implicit-def: $vgpr167
	s_or_saveexec_b32 s17, s17
	v_mov_b32_e32 v166, s16
	s_xor_b32 exec_lo, exec_lo, s17
	s_cbranch_execz .LBB4_4038
.LBB4_4437:                             ;   in Loop: Header=BB4_3808 Depth=3
	v_cmp_ne_u16_e64 vcc_lo, 0, v167
	v_mov_b32_e32 v166, 0
	s_and_not1_b32 s13, s13, exec_lo
	s_delay_alu instid0(VALU_DEP_2) | instskip(NEXT) | instid1(SALU_CYCLE_1)
	s_and_b32 s16, vcc_lo, exec_lo
	s_or_b32 s13, s13, s16
	s_or_b32 exec_lo, exec_lo, s17
	s_and_saveexec_b32 s16, s13
	s_cbranch_execnz .LBB4_4039
	s_branch .LBB4_4040
.LBB4_4438:                             ;   in Loop: Header=BB4_3808 Depth=3
	s_mov_b32 s13, -1
	s_mov_b32 s29, exec_lo
                                        ; implicit-def: $sgpr16
	v_cmpx_eq_u16_e64 0x80, v166
; %bb.4439:                             ;   in Loop: Header=BB4_3808 Depth=3
	s_mov_b32 s16, 0x7f800001
	s_xor_b32 s13, exec_lo, -1
; %bb.4440:                             ;   in Loop: Header=BB4_3808 Depth=3
	s_or_b32 exec_lo, exec_lo, s29
	s_delay_alu instid0(SALU_CYCLE_1)
	s_and_b32 s13, s13, exec_lo
	s_or_saveexec_b32 s17, s17
	v_mov_b32_e32 v165, s16
	s_xor_b32 exec_lo, exec_lo, s17
	s_cbranch_execz .LBB4_4050
.LBB4_4441:                             ;   in Loop: Header=BB4_3808 Depth=3
	v_cmp_ne_u16_e64 vcc_lo, 0, v166
	v_mov_b32_e32 v165, 0
	s_and_not1_b32 s13, s13, exec_lo
	s_delay_alu instid0(VALU_DEP_2) | instskip(NEXT) | instid1(SALU_CYCLE_1)
	s_and_b32 s16, vcc_lo, exec_lo
	s_or_b32 s13, s13, s16
	s_or_b32 exec_lo, exec_lo, s17
	s_and_saveexec_b32 s16, s13
	s_cbranch_execnz .LBB4_4051
	s_branch .LBB4_4052
.LBB4_4442:                             ;   in Loop: Header=BB4_3808 Depth=3
	s_mov_b32 s13, -1
	s_mov_b32 s29, exec_lo
                                        ; implicit-def: $sgpr16
	v_cmpx_eq_u16_e32 0x80, v23
; %bb.4443:                             ;   in Loop: Header=BB4_3808 Depth=3
	s_mov_b32 s16, 0x7f800001
	s_xor_b32 s13, exec_lo, -1
; %bb.4444:                             ;   in Loop: Header=BB4_3808 Depth=3
	s_or_b32 exec_lo, exec_lo, s29
	s_delay_alu instid0(SALU_CYCLE_1)
	s_and_b32 s13, s13, exec_lo
	s_or_saveexec_b32 s17, s17
	v_mov_b32_e32 v166, s16
	s_xor_b32 exec_lo, exec_lo, s17
	s_cbranch_execz .LBB4_4054
.LBB4_4445:                             ;   in Loop: Header=BB4_3808 Depth=3
	v_cmp_ne_u16_e32 vcc_lo, 0, v23
	v_mov_b32_e32 v166, 0
	s_and_not1_b32 s13, s13, exec_lo
	s_and_b32 s16, vcc_lo, exec_lo
	s_delay_alu instid0(SALU_CYCLE_1)
	s_or_b32 s13, s13, s16
	s_or_b32 exec_lo, exec_lo, s17
	s_and_saveexec_b32 s16, s13
	s_cbranch_execnz .LBB4_4055
	s_branch .LBB4_4056
.LBB4_4446:                             ;   in Loop: Header=BB4_3808 Depth=3
	s_mov_b32 s13, -1
	s_mov_b32 s29, exec_lo
                                        ; implicit-def: $sgpr16
	v_cmpx_eq_u16_e64 0x80, v165
; %bb.4447:                             ;   in Loop: Header=BB4_3808 Depth=3
	s_mov_b32 s16, 0x7f800001
	s_xor_b32 s13, exec_lo, -1
; %bb.4448:                             ;   in Loop: Header=BB4_3808 Depth=3
	s_or_b32 exec_lo, exec_lo, s29
	s_delay_alu instid0(SALU_CYCLE_1)
	s_and_b32 s13, s13, exec_lo
                                        ; implicit-def: $vgpr165
	s_or_saveexec_b32 s17, s17
	v_mov_b32_e32 v23, s16
	s_xor_b32 exec_lo, exec_lo, s17
	s_cbranch_execz .LBB4_4066
.LBB4_4449:                             ;   in Loop: Header=BB4_3808 Depth=3
	v_cmp_ne_u16_e64 vcc_lo, 0, v165
	v_mov_b32_e32 v23, 0
	s_and_not1_b32 s13, s13, exec_lo
	s_delay_alu instid0(VALU_DEP_2) | instskip(NEXT) | instid1(SALU_CYCLE_1)
	s_and_b32 s16, vcc_lo, exec_lo
	s_or_b32 s13, s13, s16
	s_or_b32 exec_lo, exec_lo, s17
	s_and_saveexec_b32 s16, s13
	s_cbranch_execnz .LBB4_4067
	s_branch .LBB4_4068
.LBB4_4450:                             ;   in Loop: Header=BB4_3808 Depth=3
	s_mov_b32 s13, -1
	s_mov_b32 s29, exec_lo
                                        ; implicit-def: $sgpr16
	v_cmpx_eq_u16_e64 0x80, v166
; %bb.4451:                             ;   in Loop: Header=BB4_3808 Depth=3
	s_mov_b32 s16, 0x7f800001
	s_xor_b32 s13, exec_lo, -1
; %bb.4452:                             ;   in Loop: Header=BB4_3808 Depth=3
	s_or_b32 exec_lo, exec_lo, s29
	s_delay_alu instid0(SALU_CYCLE_1)
	s_and_b32 s13, s13, exec_lo
                                        ; implicit-def: $vgpr166
	s_or_saveexec_b32 s17, s17
	v_mov_b32_e32 v165, s16
	s_xor_b32 exec_lo, exec_lo, s17
	s_cbranch_execz .LBB4_4070
.LBB4_4453:                             ;   in Loop: Header=BB4_3808 Depth=3
	v_cmp_ne_u16_e64 vcc_lo, 0, v166
	v_mov_b32_e32 v165, 0
	s_and_not1_b32 s13, s13, exec_lo
	s_delay_alu instid0(VALU_DEP_2) | instskip(NEXT) | instid1(SALU_CYCLE_1)
	s_and_b32 s16, vcc_lo, exec_lo
	s_or_b32 s13, s13, s16
	s_or_b32 exec_lo, exec_lo, s17
	s_and_saveexec_b32 s16, s13
	s_cbranch_execnz .LBB4_4071
	s_branch .LBB4_4072
.LBB4_4454:                             ;   in Loop: Header=BB4_3808 Depth=3
	s_mov_b32 s13, -1
	s_mov_b32 s29, exec_lo
                                        ; implicit-def: $sgpr16
	v_cmpx_eq_u16_e64 0x80, v166
; %bb.4455:                             ;   in Loop: Header=BB4_3808 Depth=3
	s_mov_b32 s16, 0x7f800001
	s_xor_b32 s13, exec_lo, -1
; %bb.4456:                             ;   in Loop: Header=BB4_3808 Depth=3
	s_or_b32 exec_lo, exec_lo, s29
	s_delay_alu instid0(SALU_CYCLE_1)
	s_and_b32 s13, s13, exec_lo
	s_or_saveexec_b32 s17, s17
	v_mov_b32_e32 v165, s16
	s_xor_b32 exec_lo, exec_lo, s17
	s_cbranch_execz .LBB4_4082
.LBB4_4457:                             ;   in Loop: Header=BB4_3808 Depth=3
	v_cmp_ne_u16_e64 vcc_lo, 0, v166
	v_mov_b32_e32 v165, 0
	s_and_not1_b32 s13, s13, exec_lo
	s_delay_alu instid0(VALU_DEP_2) | instskip(NEXT) | instid1(SALU_CYCLE_1)
	s_and_b32 s16, vcc_lo, exec_lo
	s_or_b32 s13, s13, s16
	s_or_b32 exec_lo, exec_lo, s17
	s_and_saveexec_b32 s16, s13
	s_cbranch_execnz .LBB4_4083
	s_branch .LBB4_4084
.LBB4_4458:                             ;   in Loop: Header=BB4_3808 Depth=3
	s_mov_b32 s13, -1
	s_mov_b32 s29, exec_lo
                                        ; implicit-def: $sgpr16
	v_cmpx_eq_u16_e64 0x80, v166
; %bb.4459:                             ;   in Loop: Header=BB4_3808 Depth=3
	s_mov_b32 s16, 0x7f800001
	s_xor_b32 s13, exec_lo, -1
; %bb.4460:                             ;   in Loop: Header=BB4_3808 Depth=3
	s_or_b32 exec_lo, exec_lo, s29
	s_delay_alu instid0(SALU_CYCLE_1)
	s_and_b32 s13, s13, exec_lo
	s_or_saveexec_b32 s17, s17
	v_mov_b32_e32 v167, s16
	s_xor_b32 exec_lo, exec_lo, s17
	s_cbranch_execz .LBB4_4086
.LBB4_4461:                             ;   in Loop: Header=BB4_3808 Depth=3
	v_cmp_ne_u16_e64 vcc_lo, 0, v166
	v_mov_b32_e32 v167, 0
	s_and_not1_b32 s13, s13, exec_lo
	s_delay_alu instid0(VALU_DEP_2) | instskip(NEXT) | instid1(SALU_CYCLE_1)
	s_and_b32 s16, vcc_lo, exec_lo
	s_or_b32 s13, s13, s16
	s_or_b32 exec_lo, exec_lo, s17
	s_and_saveexec_b32 s16, s13
	s_cbranch_execnz .LBB4_4087
	s_branch .LBB4_4088
.LBB4_4462:                             ;   in Loop: Header=BB4_3808 Depth=3
	s_mov_b32 s13, -1
	s_mov_b32 s29, exec_lo
                                        ; implicit-def: $sgpr16
	v_cmpx_eq_u16_e64 0x80, v176
; %bb.4463:                             ;   in Loop: Header=BB4_3808 Depth=3
	s_mov_b32 s16, 0x7f800001
	s_xor_b32 s13, exec_lo, -1
; %bb.4464:                             ;   in Loop: Header=BB4_3808 Depth=3
	s_or_b32 exec_lo, exec_lo, s29
	s_delay_alu instid0(SALU_CYCLE_1)
	s_and_b32 s13, s13, exec_lo
                                        ; implicit-def: $vgpr176
	s_or_saveexec_b32 s17, s17
	v_mov_b32_e32 v166, s16
	s_xor_b32 exec_lo, exec_lo, s17
	s_cbranch_execz .LBB4_4098
.LBB4_4465:                             ;   in Loop: Header=BB4_3808 Depth=3
	v_cmp_ne_u16_e64 vcc_lo, 0, v176
	v_mov_b32_e32 v166, 0
	s_and_not1_b32 s13, s13, exec_lo
	s_delay_alu instid0(VALU_DEP_2) | instskip(NEXT) | instid1(SALU_CYCLE_1)
	s_and_b32 s16, vcc_lo, exec_lo
	s_or_b32 s13, s13, s16
	s_or_b32 exec_lo, exec_lo, s17
	s_and_saveexec_b32 s16, s13
	s_cbranch_execnz .LBB4_4099
	s_branch .LBB4_4100
.LBB4_4466:                             ;   in Loop: Header=BB4_3808 Depth=3
	s_mov_b32 s13, -1
	s_mov_b32 s29, exec_lo
                                        ; implicit-def: $sgpr16
	v_cmpx_eq_u16_e64 0x80, v177
; %bb.4467:                             ;   in Loop: Header=BB4_3808 Depth=3
	s_mov_b32 s16, 0x7f800001
	s_xor_b32 s13, exec_lo, -1
; %bb.4468:                             ;   in Loop: Header=BB4_3808 Depth=3
	s_or_b32 exec_lo, exec_lo, s29
	s_delay_alu instid0(SALU_CYCLE_1)
	s_and_b32 s13, s13, exec_lo
                                        ; implicit-def: $vgpr177
	s_or_saveexec_b32 s17, s17
	v_mov_b32_e32 v176, s16
	s_xor_b32 exec_lo, exec_lo, s17
	s_cbranch_execz .LBB4_4102
.LBB4_4469:                             ;   in Loop: Header=BB4_3808 Depth=3
	v_cmp_ne_u16_e64 vcc_lo, 0, v177
	v_mov_b32_e32 v176, 0
	s_and_not1_b32 s13, s13, exec_lo
	s_delay_alu instid0(VALU_DEP_2) | instskip(NEXT) | instid1(SALU_CYCLE_1)
	s_and_b32 s16, vcc_lo, exec_lo
	s_or_b32 s13, s13, s16
	s_or_b32 exec_lo, exec_lo, s17
	s_and_saveexec_b32 s16, s13
	s_cbranch_execnz .LBB4_4103
	s_branch .LBB4_4104
.LBB4_4470:                             ;   in Loop: Header=BB4_3808 Depth=3
	s_mov_b32 s13, -1
	s_mov_b32 s29, exec_lo
                                        ; implicit-def: $sgpr16
	v_cmpx_eq_u16_e64 0x80, v176
; %bb.4471:                             ;   in Loop: Header=BB4_3808 Depth=3
	s_mov_b32 s16, 0x7f800001
	s_xor_b32 s13, exec_lo, -1
; %bb.4472:                             ;   in Loop: Header=BB4_3808 Depth=3
	s_or_b32 exec_lo, exec_lo, s29
	s_delay_alu instid0(SALU_CYCLE_1)
	s_and_b32 s13, s13, exec_lo
	s_or_saveexec_b32 s17, s17
	v_mov_b32_e32 v167, s16
	s_xor_b32 exec_lo, exec_lo, s17
	s_cbranch_execz .LBB4_4114
.LBB4_4473:                             ;   in Loop: Header=BB4_3808 Depth=3
	v_cmp_ne_u16_e64 vcc_lo, 0, v176
	v_mov_b32_e32 v167, 0
	s_and_not1_b32 s13, s13, exec_lo
	s_delay_alu instid0(VALU_DEP_2) | instskip(NEXT) | instid1(SALU_CYCLE_1)
	s_and_b32 s16, vcc_lo, exec_lo
	s_or_b32 s13, s13, s16
	s_or_b32 exec_lo, exec_lo, s17
	s_and_saveexec_b32 s16, s13
	s_cbranch_execnz .LBB4_4115
	s_branch .LBB4_4116
.LBB4_4474:                             ;   in Loop: Header=BB4_3808 Depth=3
	s_mov_b32 s13, -1
	s_mov_b32 s29, exec_lo
                                        ; implicit-def: $sgpr16
	v_cmpx_eq_u16_e32 0x80, v12
; %bb.4475:                             ;   in Loop: Header=BB4_3808 Depth=3
	s_mov_b32 s16, 0x7f800001
	s_xor_b32 s13, exec_lo, -1
; %bb.4476:                             ;   in Loop: Header=BB4_3808 Depth=3
	s_or_b32 exec_lo, exec_lo, s29
	s_delay_alu instid0(SALU_CYCLE_1)
	s_and_b32 s13, s13, exec_lo
	s_or_saveexec_b32 s17, s17
	v_mov_b32_e32 v176, s16
	s_xor_b32 exec_lo, exec_lo, s17
	s_cbranch_execz .LBB4_4118
.LBB4_4477:                             ;   in Loop: Header=BB4_3808 Depth=3
	v_cmp_ne_u16_e32 vcc_lo, 0, v12
	v_mov_b32_e32 v176, 0
	s_and_not1_b32 s13, s13, exec_lo
	s_and_b32 s16, vcc_lo, exec_lo
	s_delay_alu instid0(SALU_CYCLE_1)
	s_or_b32 s13, s13, s16
	s_or_b32 exec_lo, exec_lo, s17
	s_and_saveexec_b32 s16, s13
	s_cbranch_execnz .LBB4_4119
	s_branch .LBB4_4120
.LBB4_4478:                             ;   in Loop: Header=BB4_3808 Depth=3
	s_mov_b32 s13, -1
	s_mov_b32 s29, exec_lo
                                        ; implicit-def: $sgpr16
	v_cmpx_eq_u16_e64 0x80, v167
; %bb.4479:                             ;   in Loop: Header=BB4_3808 Depth=3
	s_mov_b32 s16, 0x7f800001
	s_xor_b32 s13, exec_lo, -1
; %bb.4480:                             ;   in Loop: Header=BB4_3808 Depth=3
	s_or_b32 exec_lo, exec_lo, s29
	s_delay_alu instid0(SALU_CYCLE_1)
	s_and_b32 s13, s13, exec_lo
                                        ; implicit-def: $vgpr167
	s_or_saveexec_b32 s17, s17
	v_mov_b32_e32 v12, s16
	s_xor_b32 exec_lo, exec_lo, s17
	s_cbranch_execz .LBB4_4130
.LBB4_4481:                             ;   in Loop: Header=BB4_3808 Depth=3
	v_cmp_ne_u16_e64 vcc_lo, 0, v167
	v_mov_b32_e32 v12, 0
	s_and_not1_b32 s13, s13, exec_lo
	s_delay_alu instid0(VALU_DEP_2) | instskip(NEXT) | instid1(SALU_CYCLE_1)
	s_and_b32 s16, vcc_lo, exec_lo
	s_or_b32 s13, s13, s16
	s_or_b32 exec_lo, exec_lo, s17
	s_and_saveexec_b32 s16, s13
	s_cbranch_execnz .LBB4_4131
	s_branch .LBB4_4132
.LBB4_4482:                             ;   in Loop: Header=BB4_3808 Depth=3
	s_mov_b32 s13, -1
	s_mov_b32 s29, exec_lo
                                        ; implicit-def: $sgpr16
	v_cmpx_eq_u16_e64 0x80, v176
; %bb.4483:                             ;   in Loop: Header=BB4_3808 Depth=3
	s_mov_b32 s16, 0x7f800001
	s_xor_b32 s13, exec_lo, -1
; %bb.4484:                             ;   in Loop: Header=BB4_3808 Depth=3
	s_or_b32 exec_lo, exec_lo, s29
	s_delay_alu instid0(SALU_CYCLE_1)
	s_and_b32 s13, s13, exec_lo
                                        ; implicit-def: $vgpr176
	s_or_saveexec_b32 s17, s17
	v_mov_b32_e32 v167, s16
	s_xor_b32 exec_lo, exec_lo, s17
	s_cbranch_execz .LBB4_4134
.LBB4_4485:                             ;   in Loop: Header=BB4_3808 Depth=3
	v_cmp_ne_u16_e64 vcc_lo, 0, v176
	v_mov_b32_e32 v167, 0
	s_and_not1_b32 s13, s13, exec_lo
	s_delay_alu instid0(VALU_DEP_2) | instskip(NEXT) | instid1(SALU_CYCLE_1)
	s_and_b32 s16, vcc_lo, exec_lo
	s_or_b32 s13, s13, s16
	s_or_b32 exec_lo, exec_lo, s17
	s_and_saveexec_b32 s16, s13
	s_cbranch_execnz .LBB4_4135
	s_branch .LBB4_4136
.LBB4_4486:                             ;   in Loop: Header=BB4_3808 Depth=3
	s_mov_b32 s13, -1
	s_mov_b32 s29, exec_lo
                                        ; implicit-def: $sgpr16
	v_cmpx_eq_u16_e64 0x80, v176
; %bb.4487:                             ;   in Loop: Header=BB4_3808 Depth=3
	s_mov_b32 s16, 0x7f800001
	s_xor_b32 s13, exec_lo, -1
; %bb.4488:                             ;   in Loop: Header=BB4_3808 Depth=3
	s_or_b32 exec_lo, exec_lo, s29
	s_delay_alu instid0(SALU_CYCLE_1)
	s_and_b32 s13, s13, exec_lo
	s_or_saveexec_b32 s17, s17
	v_mov_b32_e32 v167, s16
	s_xor_b32 exec_lo, exec_lo, s17
	s_cbranch_execz .LBB4_4146
.LBB4_4489:                             ;   in Loop: Header=BB4_3808 Depth=3
	v_cmp_ne_u16_e64 vcc_lo, 0, v176
	v_mov_b32_e32 v167, 0
	s_and_not1_b32 s13, s13, exec_lo
	s_delay_alu instid0(VALU_DEP_2) | instskip(NEXT) | instid1(SALU_CYCLE_1)
	s_and_b32 s16, vcc_lo, exec_lo
	s_or_b32 s13, s13, s16
	s_or_b32 exec_lo, exec_lo, s17
	s_and_saveexec_b32 s16, s13
	s_cbranch_execnz .LBB4_4147
	s_branch .LBB4_4148
.LBB4_4490:                             ;   in Loop: Header=BB4_3808 Depth=3
	s_mov_b32 s13, -1
	s_mov_b32 s29, exec_lo
                                        ; implicit-def: $sgpr16
	v_cmpx_eq_u16_e64 0x80, v176
; %bb.4491:                             ;   in Loop: Header=BB4_3808 Depth=3
	s_mov_b32 s16, 0x7f800001
	s_xor_b32 s13, exec_lo, -1
; %bb.4492:                             ;   in Loop: Header=BB4_3808 Depth=3
	s_or_b32 exec_lo, exec_lo, s29
	s_delay_alu instid0(SALU_CYCLE_1)
	s_and_b32 s13, s13, exec_lo
	s_or_saveexec_b32 s17, s17
	v_mov_b32_e32 v177, s16
	s_xor_b32 exec_lo, exec_lo, s17
	s_cbranch_execz .LBB4_4150
.LBB4_4493:                             ;   in Loop: Header=BB4_3808 Depth=3
	v_cmp_ne_u16_e64 vcc_lo, 0, v176
	v_mov_b32_e32 v177, 0
	s_and_not1_b32 s13, s13, exec_lo
	s_delay_alu instid0(VALU_DEP_2) | instskip(NEXT) | instid1(SALU_CYCLE_1)
	s_and_b32 s16, vcc_lo, exec_lo
	s_or_b32 s13, s13, s16
	s_or_b32 exec_lo, exec_lo, s17
	s_and_saveexec_b32 s16, s13
	s_cbranch_execnz .LBB4_4151
	s_branch .LBB4_4152
.LBB4_4494:                             ;   in Loop: Header=BB4_3808 Depth=3
	s_mov_b32 s13, -1
	s_mov_b32 s29, exec_lo
                                        ; implicit-def: $sgpr16
	v_cmpx_eq_u16_e64 0x80, v178
; %bb.4495:                             ;   in Loop: Header=BB4_3808 Depth=3
	s_mov_b32 s16, 0x7f800001
	s_xor_b32 s13, exec_lo, -1
; %bb.4496:                             ;   in Loop: Header=BB4_3808 Depth=3
	s_or_b32 exec_lo, exec_lo, s29
	s_delay_alu instid0(SALU_CYCLE_1)
	s_and_b32 s13, s13, exec_lo
                                        ; implicit-def: $vgpr178
	s_or_saveexec_b32 s17, s17
	v_mov_b32_e32 v176, s16
	s_xor_b32 exec_lo, exec_lo, s17
	s_cbranch_execz .LBB4_4162
.LBB4_4497:                             ;   in Loop: Header=BB4_3808 Depth=3
	v_cmp_ne_u16_e64 vcc_lo, 0, v178
	v_mov_b32_e32 v176, 0
	s_and_not1_b32 s13, s13, exec_lo
	s_delay_alu instid0(VALU_DEP_2) | instskip(NEXT) | instid1(SALU_CYCLE_1)
	s_and_b32 s16, vcc_lo, exec_lo
	s_or_b32 s13, s13, s16
	s_or_b32 exec_lo, exec_lo, s17
	s_and_saveexec_b32 s16, s13
	s_cbranch_execnz .LBB4_4163
	s_branch .LBB4_4164
.LBB4_4498:                             ;   in Loop: Header=BB4_3808 Depth=3
	s_mov_b32 s13, -1
	s_mov_b32 s29, exec_lo
                                        ; implicit-def: $sgpr16
	v_cmpx_eq_u16_e64 0x80, v179
; %bb.4499:                             ;   in Loop: Header=BB4_3808 Depth=3
	s_mov_b32 s16, 0x7f800001
	s_xor_b32 s13, exec_lo, -1
; %bb.4500:                             ;   in Loop: Header=BB4_3808 Depth=3
	s_or_b32 exec_lo, exec_lo, s29
	s_delay_alu instid0(SALU_CYCLE_1)
	s_and_b32 s13, s13, exec_lo
                                        ; implicit-def: $vgpr179
	s_or_saveexec_b32 s17, s17
	v_mov_b32_e32 v178, s16
	s_xor_b32 exec_lo, exec_lo, s17
	s_cbranch_execz .LBB4_4166
.LBB4_4501:                             ;   in Loop: Header=BB4_3808 Depth=3
	v_cmp_ne_u16_e64 vcc_lo, 0, v179
	v_mov_b32_e32 v178, 0
	s_and_not1_b32 s13, s13, exec_lo
	s_delay_alu instid0(VALU_DEP_2) | instskip(NEXT) | instid1(SALU_CYCLE_1)
	s_and_b32 s16, vcc_lo, exec_lo
	s_or_b32 s13, s13, s16
	s_or_b32 exec_lo, exec_lo, s17
	s_and_saveexec_b32 s16, s13
	s_cbranch_execnz .LBB4_4167
	s_branch .LBB4_4168
.LBB4_4502:                             ;   in Loop: Header=BB4_3808 Depth=3
	s_mov_b32 s13, -1
	s_mov_b32 s29, exec_lo
                                        ; implicit-def: $sgpr16
	v_cmpx_eq_u16_e64 0x80, v178
; %bb.4503:                             ;   in Loop: Header=BB4_3808 Depth=3
	s_mov_b32 s16, 0x7f800001
	s_xor_b32 s13, exec_lo, -1
; %bb.4504:                             ;   in Loop: Header=BB4_3808 Depth=3
	s_or_b32 exec_lo, exec_lo, s29
	s_delay_alu instid0(SALU_CYCLE_1)
	s_and_b32 s13, s13, exec_lo
	s_or_saveexec_b32 s17, s17
	v_mov_b32_e32 v177, s16
	s_xor_b32 exec_lo, exec_lo, s17
	s_cbranch_execz .LBB4_4178
.LBB4_4505:                             ;   in Loop: Header=BB4_3808 Depth=3
	v_cmp_ne_u16_e64 vcc_lo, 0, v178
	v_mov_b32_e32 v177, 0
	s_and_not1_b32 s13, s13, exec_lo
	s_delay_alu instid0(VALU_DEP_2) | instskip(NEXT) | instid1(SALU_CYCLE_1)
	s_and_b32 s16, vcc_lo, exec_lo
	s_or_b32 s13, s13, s16
	s_or_b32 exec_lo, exec_lo, s17
	s_and_saveexec_b32 s16, s13
	s_cbranch_execnz .LBB4_4179
	s_branch .LBB4_4180
.LBB4_4506:                             ;   in Loop: Header=BB4_3808 Depth=3
	s_mov_b32 s13, -1
	s_mov_b32 s29, exec_lo
                                        ; implicit-def: $sgpr16
	v_cmpx_eq_u16_e32 0x80, v13
; %bb.4507:                             ;   in Loop: Header=BB4_3808 Depth=3
	s_mov_b32 s16, 0x7f800001
	s_xor_b32 s13, exec_lo, -1
; %bb.4508:                             ;   in Loop: Header=BB4_3808 Depth=3
	s_or_b32 exec_lo, exec_lo, s29
	s_delay_alu instid0(SALU_CYCLE_1)
	s_and_b32 s13, s13, exec_lo
	s_or_saveexec_b32 s17, s17
	v_mov_b32_e32 v178, s16
	s_xor_b32 exec_lo, exec_lo, s17
	s_cbranch_execz .LBB4_4182
.LBB4_4509:                             ;   in Loop: Header=BB4_3808 Depth=3
	v_cmp_ne_u16_e32 vcc_lo, 0, v13
	v_mov_b32_e32 v178, 0
	s_and_not1_b32 s13, s13, exec_lo
	s_and_b32 s16, vcc_lo, exec_lo
	s_delay_alu instid0(SALU_CYCLE_1)
	s_or_b32 s13, s13, s16
	s_or_b32 exec_lo, exec_lo, s17
	s_and_saveexec_b32 s16, s13
	s_cbranch_execnz .LBB4_4183
	s_branch .LBB4_4184
.LBB4_4510:                             ;   in Loop: Header=BB4_3808 Depth=3
	s_mov_b32 s13, -1
	s_mov_b32 s29, exec_lo
                                        ; implicit-def: $sgpr16
	v_cmpx_eq_u16_e64 0x80, v177
; %bb.4511:                             ;   in Loop: Header=BB4_3808 Depth=3
	s_mov_b32 s16, 0x7f800001
	s_xor_b32 s13, exec_lo, -1
; %bb.4512:                             ;   in Loop: Header=BB4_3808 Depth=3
	s_or_b32 exec_lo, exec_lo, s29
	s_delay_alu instid0(SALU_CYCLE_1)
	s_and_b32 s13, s13, exec_lo
                                        ; implicit-def: $vgpr177
	s_or_saveexec_b32 s17, s17
	v_mov_b32_e32 v13, s16
	s_xor_b32 exec_lo, exec_lo, s17
	s_cbranch_execz .LBB4_4194
.LBB4_4513:                             ;   in Loop: Header=BB4_3808 Depth=3
	v_cmp_ne_u16_e64 vcc_lo, 0, v177
	v_mov_b32_e32 v13, 0
	s_and_not1_b32 s13, s13, exec_lo
	s_delay_alu instid0(VALU_DEP_2) | instskip(NEXT) | instid1(SALU_CYCLE_1)
	s_and_b32 s16, vcc_lo, exec_lo
	s_or_b32 s13, s13, s16
	s_or_b32 exec_lo, exec_lo, s17
	s_and_saveexec_b32 s16, s13
	s_cbranch_execnz .LBB4_4195
	s_branch .LBB4_4196
.LBB4_4514:                             ;   in Loop: Header=BB4_3808 Depth=3
	s_mov_b32 s13, -1
	s_mov_b32 s29, exec_lo
                                        ; implicit-def: $sgpr16
	v_cmpx_eq_u16_e64 0x80, v178
; %bb.4515:                             ;   in Loop: Header=BB4_3808 Depth=3
	s_mov_b32 s16, 0x7f800001
	s_xor_b32 s13, exec_lo, -1
; %bb.4516:                             ;   in Loop: Header=BB4_3808 Depth=3
	s_or_b32 exec_lo, exec_lo, s29
	s_delay_alu instid0(SALU_CYCLE_1)
	s_and_b32 s13, s13, exec_lo
                                        ; implicit-def: $vgpr178
	s_or_saveexec_b32 s17, s17
	v_mov_b32_e32 v177, s16
	s_xor_b32 exec_lo, exec_lo, s17
	s_cbranch_execz .LBB4_4198
.LBB4_4517:                             ;   in Loop: Header=BB4_3808 Depth=3
	v_cmp_ne_u16_e64 vcc_lo, 0, v178
	v_mov_b32_e32 v177, 0
	s_and_not1_b32 s13, s13, exec_lo
	s_delay_alu instid0(VALU_DEP_2) | instskip(NEXT) | instid1(SALU_CYCLE_1)
	s_and_b32 s16, vcc_lo, exec_lo
	s_or_b32 s13, s13, s16
	s_or_b32 exec_lo, exec_lo, s17
	s_and_saveexec_b32 s16, s13
	s_cbranch_execnz .LBB4_4199
	s_branch .LBB4_4200
.LBB4_4518:                             ;   in Loop: Header=BB4_3808 Depth=3
	s_mov_b32 s13, -1
	s_mov_b32 s29, exec_lo
                                        ; implicit-def: $sgpr16
	v_cmpx_eq_u16_e64 0x80, v178
; %bb.4519:                             ;   in Loop: Header=BB4_3808 Depth=3
	s_mov_b32 s16, 0x7f800001
	s_xor_b32 s13, exec_lo, -1
; %bb.4520:                             ;   in Loop: Header=BB4_3808 Depth=3
	s_or_b32 exec_lo, exec_lo, s29
	s_delay_alu instid0(SALU_CYCLE_1)
	s_and_b32 s13, s13, exec_lo
	s_or_saveexec_b32 s17, s17
	v_mov_b32_e32 v177, s16
	s_xor_b32 exec_lo, exec_lo, s17
	s_cbranch_execz .LBB4_4210
.LBB4_4521:                             ;   in Loop: Header=BB4_3808 Depth=3
	v_cmp_ne_u16_e64 vcc_lo, 0, v178
	v_mov_b32_e32 v177, 0
	s_and_not1_b32 s13, s13, exec_lo
	s_delay_alu instid0(VALU_DEP_2) | instskip(NEXT) | instid1(SALU_CYCLE_1)
	s_and_b32 s16, vcc_lo, exec_lo
	s_or_b32 s13, s13, s16
	s_or_b32 exec_lo, exec_lo, s17
	s_and_saveexec_b32 s16, s13
	s_cbranch_execnz .LBB4_4211
	s_branch .LBB4_4212
.LBB4_4522:                             ;   in Loop: Header=BB4_3808 Depth=3
	s_mov_b32 s13, -1
	s_mov_b32 s29, exec_lo
                                        ; implicit-def: $sgpr16
	v_cmpx_eq_u16_e64 0x80, v178
; %bb.4523:                             ;   in Loop: Header=BB4_3808 Depth=3
	s_mov_b32 s16, 0x7f800001
	s_xor_b32 s13, exec_lo, -1
; %bb.4524:                             ;   in Loop: Header=BB4_3808 Depth=3
	s_or_b32 exec_lo, exec_lo, s29
	s_delay_alu instid0(SALU_CYCLE_1)
	s_and_b32 s13, s13, exec_lo
	s_or_saveexec_b32 s17, s17
	v_mov_b32_e32 v179, s16
	s_xor_b32 exec_lo, exec_lo, s17
	s_cbranch_execz .LBB4_4214
.LBB4_4525:                             ;   in Loop: Header=BB4_3808 Depth=3
	v_cmp_ne_u16_e64 vcc_lo, 0, v178
	v_mov_b32_e32 v179, 0
	s_and_not1_b32 s13, s13, exec_lo
	s_delay_alu instid0(VALU_DEP_2) | instskip(NEXT) | instid1(SALU_CYCLE_1)
	s_and_b32 s16, vcc_lo, exec_lo
	s_or_b32 s13, s13, s16
	s_or_b32 exec_lo, exec_lo, s17
	s_and_saveexec_b32 s16, s13
	s_cbranch_execnz .LBB4_4215
	s_branch .LBB4_4216
.LBB4_4526:                             ;   in Loop: Header=BB4_3808 Depth=3
	s_mov_b32 s13, -1
	s_mov_b32 s29, exec_lo
                                        ; implicit-def: $sgpr16
	v_cmpx_eq_u16_e64 0x80, v180
; %bb.4527:                             ;   in Loop: Header=BB4_3808 Depth=3
	s_mov_b32 s16, 0x7f800001
	s_xor_b32 s13, exec_lo, -1
; %bb.4528:                             ;   in Loop: Header=BB4_3808 Depth=3
	s_or_b32 exec_lo, exec_lo, s29
	s_delay_alu instid0(SALU_CYCLE_1)
	s_and_b32 s13, s13, exec_lo
                                        ; implicit-def: $vgpr180
	s_or_saveexec_b32 s17, s17
	v_mov_b32_e32 v178, s16
	s_xor_b32 exec_lo, exec_lo, s17
	s_cbranch_execz .LBB4_4226
.LBB4_4529:                             ;   in Loop: Header=BB4_3808 Depth=3
	v_cmp_ne_u16_e64 vcc_lo, 0, v180
	v_mov_b32_e32 v178, 0
	s_and_not1_b32 s13, s13, exec_lo
	s_delay_alu instid0(VALU_DEP_2) | instskip(NEXT) | instid1(SALU_CYCLE_1)
	s_and_b32 s16, vcc_lo, exec_lo
	s_or_b32 s13, s13, s16
	s_or_b32 exec_lo, exec_lo, s17
	s_and_saveexec_b32 s16, s13
	s_cbranch_execnz .LBB4_4227
	s_branch .LBB4_4228
.LBB4_4530:                             ;   in Loop: Header=BB4_3808 Depth=3
	s_mov_b32 s13, -1
	s_mov_b32 s29, exec_lo
                                        ; implicit-def: $sgpr16
	v_cmpx_eq_u16_e64 0x80, v181
; %bb.4531:                             ;   in Loop: Header=BB4_3808 Depth=3
	s_mov_b32 s16, 0x7f800001
	s_xor_b32 s13, exec_lo, -1
; %bb.4532:                             ;   in Loop: Header=BB4_3808 Depth=3
	s_or_b32 exec_lo, exec_lo, s29
	s_delay_alu instid0(SALU_CYCLE_1)
	s_and_b32 s13, s13, exec_lo
                                        ; implicit-def: $vgpr181
	s_or_saveexec_b32 s17, s17
	v_mov_b32_e32 v180, s16
	s_xor_b32 exec_lo, exec_lo, s17
	s_cbranch_execz .LBB4_4230
.LBB4_4533:                             ;   in Loop: Header=BB4_3808 Depth=3
	v_cmp_ne_u16_e64 vcc_lo, 0, v181
	v_mov_b32_e32 v180, 0
	s_and_not1_b32 s13, s13, exec_lo
	s_delay_alu instid0(VALU_DEP_2) | instskip(NEXT) | instid1(SALU_CYCLE_1)
	s_and_b32 s16, vcc_lo, exec_lo
	s_or_b32 s13, s13, s16
	s_or_b32 exec_lo, exec_lo, s17
	s_and_saveexec_b32 s16, s13
	s_cbranch_execnz .LBB4_4231
	s_branch .LBB4_4232
.LBB4_4534:                             ;   in Loop: Header=BB4_3808 Depth=3
	s_mov_b32 s13, -1
	s_mov_b32 s29, exec_lo
                                        ; implicit-def: $sgpr16
	v_cmpx_eq_u16_e64 0x80, v180
; %bb.4535:                             ;   in Loop: Header=BB4_3808 Depth=3
	s_mov_b32 s16, 0x7f800001
	s_xor_b32 s13, exec_lo, -1
; %bb.4536:                             ;   in Loop: Header=BB4_3808 Depth=3
	s_or_b32 exec_lo, exec_lo, s29
	s_delay_alu instid0(SALU_CYCLE_1)
	s_and_b32 s13, s13, exec_lo
	s_or_saveexec_b32 s17, s17
	v_mov_b32_e32 v179, s16
	s_xor_b32 exec_lo, exec_lo, s17
	s_cbranch_execz .LBB4_4242
.LBB4_4537:                             ;   in Loop: Header=BB4_3808 Depth=3
	v_cmp_ne_u16_e64 vcc_lo, 0, v180
	v_mov_b32_e32 v179, 0
	s_and_not1_b32 s13, s13, exec_lo
	s_delay_alu instid0(VALU_DEP_2) | instskip(NEXT) | instid1(SALU_CYCLE_1)
	s_and_b32 s16, vcc_lo, exec_lo
	s_or_b32 s13, s13, s16
	s_or_b32 exec_lo, exec_lo, s17
	s_and_saveexec_b32 s16, s13
	s_cbranch_execnz .LBB4_4243
	s_branch .LBB4_4244
.LBB4_4538:                             ;   in Loop: Header=BB4_3808 Depth=3
	s_mov_b32 s13, -1
	s_mov_b32 s29, exec_lo
                                        ; implicit-def: $sgpr16
	v_cmpx_eq_u16_e32 0x80, v14
; %bb.4539:                             ;   in Loop: Header=BB4_3808 Depth=3
	s_mov_b32 s16, 0x7f800001
	s_xor_b32 s13, exec_lo, -1
; %bb.4540:                             ;   in Loop: Header=BB4_3808 Depth=3
	s_or_b32 exec_lo, exec_lo, s29
	s_delay_alu instid0(SALU_CYCLE_1)
	s_and_b32 s13, s13, exec_lo
	s_or_saveexec_b32 s17, s17
	v_mov_b32_e32 v180, s16
	s_xor_b32 exec_lo, exec_lo, s17
	s_cbranch_execz .LBB4_4246
.LBB4_4541:                             ;   in Loop: Header=BB4_3808 Depth=3
	v_cmp_ne_u16_e32 vcc_lo, 0, v14
	v_mov_b32_e32 v180, 0
	s_and_not1_b32 s13, s13, exec_lo
	s_and_b32 s16, vcc_lo, exec_lo
	s_delay_alu instid0(SALU_CYCLE_1)
	s_or_b32 s13, s13, s16
	s_or_b32 exec_lo, exec_lo, s17
	s_and_saveexec_b32 s16, s13
	s_cbranch_execnz .LBB4_4247
	s_branch .LBB4_4248
.LBB4_4542:                             ;   in Loop: Header=BB4_3808 Depth=3
	s_mov_b32 s13, -1
	s_mov_b32 s29, exec_lo
                                        ; implicit-def: $sgpr16
	v_cmpx_eq_u16_e64 0x80, v179
; %bb.4543:                             ;   in Loop: Header=BB4_3808 Depth=3
	s_mov_b32 s16, 0x7f800001
	s_xor_b32 s13, exec_lo, -1
; %bb.4544:                             ;   in Loop: Header=BB4_3808 Depth=3
	s_or_b32 exec_lo, exec_lo, s29
	s_delay_alu instid0(SALU_CYCLE_1)
	s_and_b32 s13, s13, exec_lo
                                        ; implicit-def: $vgpr179
	s_or_saveexec_b32 s17, s17
	v_mov_b32_e32 v14, s16
	s_xor_b32 exec_lo, exec_lo, s17
	s_cbranch_execz .LBB4_4258
.LBB4_4545:                             ;   in Loop: Header=BB4_3808 Depth=3
	v_cmp_ne_u16_e64 vcc_lo, 0, v179
	v_mov_b32_e32 v14, 0
	s_and_not1_b32 s13, s13, exec_lo
	s_delay_alu instid0(VALU_DEP_2) | instskip(NEXT) | instid1(SALU_CYCLE_1)
	s_and_b32 s16, vcc_lo, exec_lo
	s_or_b32 s13, s13, s16
	s_or_b32 exec_lo, exec_lo, s17
	s_and_saveexec_b32 s16, s13
	s_cbranch_execnz .LBB4_4259
	s_branch .LBB4_4260
.LBB4_4546:                             ;   in Loop: Header=BB4_3808 Depth=3
	s_mov_b32 s13, -1
	s_mov_b32 s29, exec_lo
                                        ; implicit-def: $sgpr16
	v_cmpx_eq_u16_e64 0x80, v180
; %bb.4547:                             ;   in Loop: Header=BB4_3808 Depth=3
	s_mov_b32 s16, 0x7f800001
	s_xor_b32 s13, exec_lo, -1
; %bb.4548:                             ;   in Loop: Header=BB4_3808 Depth=3
	s_or_b32 exec_lo, exec_lo, s29
	s_delay_alu instid0(SALU_CYCLE_1)
	s_and_b32 s13, s13, exec_lo
                                        ; implicit-def: $vgpr180
	s_or_saveexec_b32 s17, s17
	v_mov_b32_e32 v179, s16
	s_xor_b32 exec_lo, exec_lo, s17
	s_cbranch_execz .LBB4_4262
.LBB4_4549:                             ;   in Loop: Header=BB4_3808 Depth=3
	v_cmp_ne_u16_e64 vcc_lo, 0, v180
	v_mov_b32_e32 v179, 0
	s_and_not1_b32 s13, s13, exec_lo
	s_delay_alu instid0(VALU_DEP_2) | instskip(NEXT) | instid1(SALU_CYCLE_1)
	s_and_b32 s16, vcc_lo, exec_lo
	s_or_b32 s13, s13, s16
	s_or_b32 exec_lo, exec_lo, s17
	s_and_saveexec_b32 s16, s13
	s_cbranch_execnz .LBB4_4263
	s_branch .LBB4_4264
.LBB4_4550:                             ;   in Loop: Header=BB4_3808 Depth=3
	s_mov_b32 s13, -1
	s_mov_b32 s29, exec_lo
                                        ; implicit-def: $sgpr16
	v_cmpx_eq_u16_e64 0x80, v180
; %bb.4551:                             ;   in Loop: Header=BB4_3808 Depth=3
	s_mov_b32 s16, 0x7f800001
	s_xor_b32 s13, exec_lo, -1
; %bb.4552:                             ;   in Loop: Header=BB4_3808 Depth=3
	s_or_b32 exec_lo, exec_lo, s29
	s_delay_alu instid0(SALU_CYCLE_1)
	s_and_b32 s13, s13, exec_lo
	s_or_saveexec_b32 s17, s17
	v_mov_b32_e32 v179, s16
	s_xor_b32 exec_lo, exec_lo, s17
	s_cbranch_execz .LBB4_4274
.LBB4_4553:                             ;   in Loop: Header=BB4_3808 Depth=3
	v_cmp_ne_u16_e64 vcc_lo, 0, v180
	v_mov_b32_e32 v179, 0
	s_and_not1_b32 s13, s13, exec_lo
	s_delay_alu instid0(VALU_DEP_2) | instskip(NEXT) | instid1(SALU_CYCLE_1)
	s_and_b32 s16, vcc_lo, exec_lo
	s_or_b32 s13, s13, s16
	s_or_b32 exec_lo, exec_lo, s17
	s_and_saveexec_b32 s16, s13
	s_cbranch_execnz .LBB4_4275
	s_branch .LBB4_4276
.LBB4_4554:                             ;   in Loop: Header=BB4_3808 Depth=3
	s_mov_b32 s13, -1
	s_mov_b32 s29, exec_lo
                                        ; implicit-def: $sgpr16
	v_cmpx_eq_u16_e64 0x80, v180
; %bb.4555:                             ;   in Loop: Header=BB4_3808 Depth=3
	s_mov_b32 s16, 0x7f800001
	s_xor_b32 s13, exec_lo, -1
; %bb.4556:                             ;   in Loop: Header=BB4_3808 Depth=3
	s_or_b32 exec_lo, exec_lo, s29
	s_delay_alu instid0(SALU_CYCLE_1)
	s_and_b32 s13, s13, exec_lo
	s_or_saveexec_b32 s17, s17
	v_mov_b32_e32 v181, s16
	s_xor_b32 exec_lo, exec_lo, s17
	s_cbranch_execz .LBB4_4278
.LBB4_4557:                             ;   in Loop: Header=BB4_3808 Depth=3
	v_cmp_ne_u16_e64 vcc_lo, 0, v180
	v_mov_b32_e32 v181, 0
	s_and_not1_b32 s13, s13, exec_lo
	s_delay_alu instid0(VALU_DEP_2) | instskip(NEXT) | instid1(SALU_CYCLE_1)
	s_and_b32 s16, vcc_lo, exec_lo
	s_or_b32 s13, s13, s16
	s_or_b32 exec_lo, exec_lo, s17
	s_and_saveexec_b32 s16, s13
	s_cbranch_execnz .LBB4_4279
	s_branch .LBB4_4280
.LBB4_4558:                             ;   in Loop: Header=BB4_3808 Depth=3
	s_mov_b32 s13, -1
	s_mov_b32 s29, exec_lo
                                        ; implicit-def: $sgpr16
	v_cmpx_eq_u16_e64 0x80, v182
; %bb.4559:                             ;   in Loop: Header=BB4_3808 Depth=3
	s_mov_b32 s16, 0x7f800001
	s_xor_b32 s13, exec_lo, -1
; %bb.4560:                             ;   in Loop: Header=BB4_3808 Depth=3
	s_or_b32 exec_lo, exec_lo, s29
	s_delay_alu instid0(SALU_CYCLE_1)
	s_and_b32 s13, s13, exec_lo
                                        ; implicit-def: $vgpr182
	s_or_saveexec_b32 s17, s17
	v_mov_b32_e32 v180, s16
	s_xor_b32 exec_lo, exec_lo, s17
	s_cbranch_execz .LBB4_4290
.LBB4_4561:                             ;   in Loop: Header=BB4_3808 Depth=3
	v_cmp_ne_u16_e64 vcc_lo, 0, v182
	v_mov_b32_e32 v180, 0
	s_and_not1_b32 s13, s13, exec_lo
	s_delay_alu instid0(VALU_DEP_2) | instskip(NEXT) | instid1(SALU_CYCLE_1)
	s_and_b32 s16, vcc_lo, exec_lo
	s_or_b32 s13, s13, s16
	s_or_b32 exec_lo, exec_lo, s17
	s_and_saveexec_b32 s16, s13
	s_cbranch_execnz .LBB4_4291
	s_branch .LBB4_4292
.LBB4_4562:                             ;   in Loop: Header=BB4_3808 Depth=3
	s_mov_b32 s13, -1
	s_mov_b32 s29, exec_lo
                                        ; implicit-def: $sgpr16
	v_cmpx_eq_u16_e64 0x80, v183
; %bb.4563:                             ;   in Loop: Header=BB4_3808 Depth=3
	s_mov_b32 s16, 0x7f800001
	s_xor_b32 s13, exec_lo, -1
; %bb.4564:                             ;   in Loop: Header=BB4_3808 Depth=3
	s_or_b32 exec_lo, exec_lo, s29
	s_delay_alu instid0(SALU_CYCLE_1)
	s_and_b32 s13, s13, exec_lo
                                        ; implicit-def: $vgpr183
	s_or_saveexec_b32 s17, s17
	v_mov_b32_e32 v182, s16
	s_xor_b32 exec_lo, exec_lo, s17
	s_cbranch_execz .LBB4_4294
.LBB4_4565:                             ;   in Loop: Header=BB4_3808 Depth=3
	v_cmp_ne_u16_e64 vcc_lo, 0, v183
	v_mov_b32_e32 v182, 0
	s_and_not1_b32 s13, s13, exec_lo
	s_delay_alu instid0(VALU_DEP_2) | instskip(NEXT) | instid1(SALU_CYCLE_1)
	s_and_b32 s16, vcc_lo, exec_lo
	s_or_b32 s13, s13, s16
	s_or_b32 exec_lo, exec_lo, s17
	s_and_saveexec_b32 s16, s13
	s_cbranch_execnz .LBB4_4295
	s_branch .LBB4_4296
.LBB4_4566:                             ;   in Loop: Header=BB4_3808 Depth=3
	s_mov_b32 s13, -1
	s_mov_b32 s29, exec_lo
                                        ; implicit-def: $sgpr16
	v_cmpx_eq_u16_e64 0x80, v182
; %bb.4567:                             ;   in Loop: Header=BB4_3808 Depth=3
	s_mov_b32 s16, 0x7f800001
	s_xor_b32 s13, exec_lo, -1
; %bb.4568:                             ;   in Loop: Header=BB4_3808 Depth=3
	s_or_b32 exec_lo, exec_lo, s29
	s_delay_alu instid0(SALU_CYCLE_1)
	s_and_b32 s13, s13, exec_lo
	s_or_saveexec_b32 s17, s17
	v_mov_b32_e32 v181, s16
	s_xor_b32 exec_lo, exec_lo, s17
	s_cbranch_execz .LBB4_4306
.LBB4_4569:                             ;   in Loop: Header=BB4_3808 Depth=3
	v_cmp_ne_u16_e64 vcc_lo, 0, v182
	v_mov_b32_e32 v181, 0
	s_and_not1_b32 s13, s13, exec_lo
	s_delay_alu instid0(VALU_DEP_2) | instskip(NEXT) | instid1(SALU_CYCLE_1)
	s_and_b32 s16, vcc_lo, exec_lo
	s_or_b32 s13, s13, s16
	s_or_b32 exec_lo, exec_lo, s17
	s_and_saveexec_b32 s16, s13
	s_cbranch_execnz .LBB4_4307
	s_branch .LBB4_4308
.LBB4_4570:                             ;   in Loop: Header=BB4_3808 Depth=3
	s_mov_b32 s13, -1
	s_mov_b32 s29, exec_lo
                                        ; implicit-def: $sgpr16
	v_cmpx_eq_u16_e32 0x80, v15
; %bb.4571:                             ;   in Loop: Header=BB4_3808 Depth=3
	s_mov_b32 s16, 0x7f800001
	s_xor_b32 s13, exec_lo, -1
; %bb.4572:                             ;   in Loop: Header=BB4_3808 Depth=3
	s_or_b32 exec_lo, exec_lo, s29
	s_delay_alu instid0(SALU_CYCLE_1)
	s_and_b32 s13, s13, exec_lo
	s_or_saveexec_b32 s17, s17
	v_mov_b32_e32 v182, s16
	s_xor_b32 exec_lo, exec_lo, s17
	s_cbranch_execz .LBB4_4310
.LBB4_4573:                             ;   in Loop: Header=BB4_3808 Depth=3
	v_cmp_ne_u16_e32 vcc_lo, 0, v15
	v_mov_b32_e32 v182, 0
	s_and_not1_b32 s13, s13, exec_lo
	s_and_b32 s16, vcc_lo, exec_lo
	s_delay_alu instid0(SALU_CYCLE_1)
	s_or_b32 s13, s13, s16
	s_or_b32 exec_lo, exec_lo, s17
	s_and_saveexec_b32 s16, s13
	s_cbranch_execnz .LBB4_4311
	s_branch .LBB4_4312
.LBB4_4574:                             ;   in Loop: Header=BB4_2119 Depth=2
	s_or_b32 exec_lo, exec_lo, s15
.LBB4_4575:                             ;   in Loop: Header=BB4_2119 Depth=2
	s_delay_alu instid0(SALU_CYCLE_1) | instskip(SKIP_4) | instid1(VALU_DEP_2)
	s_or_b32 exec_lo, exec_lo, s14
	v_lshlrev_b32_e32 v22, 10, v84
	v_mov_b32_e32 v14, 0
	s_mov_b32 s13, 0
	s_mov_b32 s15, exec_lo
                                        ; implicit-def: $vgpr15
                                        ; implicit-def: $vgpr16
                                        ; implicit-def: $vgpr8
	v_cmpx_ne_u32_e64 v148, v22
	s_cbranch_execz .LBB4_4968
; %bb.4576:                             ;   in Loop: Header=BB4_2119 Depth=2
	v_lshlrev_b32_e32 v2, 5, v2
	v_sub_nc_u32_e32 v9, v148, v22
	s_mov_b32 s16, exec_lo
	s_delay_alu instid0(VALU_DEP_2) | instskip(NEXT) | instid1(VALU_DEP_2)
	v_sub_nc_u32_e32 v2, v100, v2
	v_ashrrev_i32_e32 v10, 31, v9
	s_delay_alu instid0(VALU_DEP_2) | instskip(NEXT) | instid1(VALU_DEP_2)
	v_ashrrev_i32_e32 v8, 31, v2
	v_lshrrev_b32_e32 v10, 23, v10
	s_delay_alu instid0(VALU_DEP_2) | instskip(NEXT) | instid1(VALU_DEP_2)
	v_lshrrev_b32_e32 v8, 27, v8
	v_add_nc_u32_e32 v10, v9, v10
	s_delay_alu instid0(VALU_DEP_2) | instskip(NEXT) | instid1(VALU_DEP_1)
	v_add_nc_u32_e32 v8, v2, v8
	v_and_b32_e32 v11, 0xffffffe0, v8
	s_delay_alu instid0(VALU_DEP_1) | instskip(NEXT) | instid1(VALU_DEP_4)
	v_sub_nc_u32_e32 v23, v2, v11
	v_and_b32_e32 v2, 0xfffffe00, v10
	v_ashrrev_i32_e32 v11, 5, v8
	v_ashrrev_i32_e32 v10, 9, v10
	s_delay_alu instid0(VALU_DEP_4) | instskip(NEXT) | instid1(VALU_DEP_4)
	v_lshlrev_b32_e32 v8, 4, v23
	v_sub_nc_u32_e32 v69, v9, v2
	s_delay_alu instid0(VALU_DEP_2) | instskip(NEXT) | instid1(VALU_DEP_2)
	v_lshl_add_u32 v8, v11, 9, v8
	v_cmp_lt_i32_e32 vcc_lo, 15, v69
	s_delay_alu instid0(VALU_DEP_2) | instskip(SKIP_1) | instid1(VALU_DEP_1)
	v_sub_nc_u32_e32 v80, v9, v8
	v_add_co_ci_u32_e64 v10, s13, 0, v10, vcc_lo
	v_sub_nc_u32_e32 v70, v10, v11
	s_delay_alu instid0(VALU_DEP_3)
	v_cmpx_lt_i32_e32 15, v80
	s_cbranch_execz .LBB4_4965
; %bb.4577:                             ;   in Loop: Header=BB4_2119 Depth=2
	s_cbranch_execnz .LBB4_6519
; %bb.4578:                             ;   in Loop: Header=BB4_2119 Depth=2
	ds_load_b128 v[9:12], v0
	ds_load_b64 v[13:14], v0
	v_add_nc_u32_e32 v8, v8, v22
	s_mov_b32 s17, 0
	s_delay_alu instid0(VALU_DEP_1) | instskip(SKIP_2) | instid1(VALU_DEP_1)
	v_ashrrev_i32_e32 v15, 31, v8
	s_waitcnt lgkmcnt(1)
	v_add_co_u32 v16, s13, v9, v8
	v_add_co_ci_u32_e64 v17, s13, v10, v15, s13
	v_add_co_u32 v18, s13, v11, v8
	s_delay_alu instid0(VALU_DEP_1) | instskip(SKIP_2) | instid1(VALU_DEP_1)
	v_add_co_ci_u32_e64 v19, s13, v12, v15, s13
	s_waitcnt lgkmcnt(0)
	v_add_co_u32 v20, s13, v13, v8
	v_add_co_ci_u32_e64 v21, s13, v14, v15, s13
	s_branch .LBB4_4582
.LBB4_4579:                             ;   in Loop: Header=BB4_4582 Depth=3
	s_or_b32 exec_lo, exec_lo, s13
	s_delay_alu instid0(VALU_DEP_1) | instskip(NEXT) | instid1(VALU_DEP_2)
	v_lshrrev_b32_e32 v161, 20, v161
	v_min_i32_e32 v162, 15, v15
	v_cmp_gt_i32_e64 s13, 16, v15
	v_lshrrev_b32_e32 v11, 24, v11
	s_delay_alu instid0(VALU_DEP_3) | instskip(NEXT) | instid1(VALU_DEP_3)
	v_lshlrev_b32_e32 v162, 3, v162
	v_cndmask_b32_e64 v161, 7, v161, s13
	s_delay_alu instid0(VALU_DEP_3) | instskip(NEXT) | instid1(VALU_DEP_3)
	v_and_b32_e32 v11, 0x80, v11
	v_and_b32_e32 v162, 0xf8, v162
	s_delay_alu instid0(VALU_DEP_3) | instskip(SKIP_1) | instid1(VALU_DEP_2)
	v_and_b32_e32 v163, 7, v161
	v_or_b32_e32 v15, v15, v161
	v_or3_b32 v11, v11, v162, v163
	s_delay_alu instid0(VALU_DEP_2) | instskip(NEXT) | instid1(VALU_DEP_2)
	v_cmp_ne_u32_e64 s13, 0, v15
	v_lshlrev_b32_e32 v11, 8, v11
	s_delay_alu instid0(VALU_DEP_1)
	v_cndmask_b32_e64 v15, 0, v11, s13
.LBB4_4580:                             ;   in Loop: Header=BB4_4582 Depth=3
	s_or_b32 exec_lo, exec_lo, s30
.LBB4_4581:                             ;   in Loop: Header=BB4_4582 Depth=3
	s_delay_alu instid0(SALU_CYCLE_1)
	s_or_b32 exec_lo, exec_lo, s29
	v_or_b32_e32 v9, v9, v85
	v_and_b32_e32 v11, 0xff, v83
	v_lshlrev_b32_e32 v82, 8, v82
	v_and_b32_e32 v83, 0xff, v150
	v_lshlrev_b32_e32 v85, 8, v149
	v_or_b32_e32 v15, v15, v160
	v_and_b32_e32 v12, 0xff, v12
	v_lshlrev_b32_e32 v8, 24, v8
	v_lshlrev_b32_e32 v9, 16, v9
	;; [unrolled: 1-line block ×3, first 2 shown]
	v_perm_b32 v81, v82, v81, 0xc0c0500
	v_lshlrev_b32_e32 v10, 24, v10
	v_lshlrev_b32_e32 v82, 16, v83
	v_perm_b32 v13, v85, v13, 0xc0c0500
	v_and_b32_e32 v14, 0xff, v14
	v_lshlrev_b32_e32 v15, 16, v15
	v_add_co_u32 v16, s13, v16, v117
	v_or3_b32 v9, v84, v12, v9
	v_or3_b32 v8, v8, v11, v81
	;; [unrolled: 1-line block ×4, first 2 shown]
	v_sub_nc_u32_e32 v80, v80, v101
	v_add_co_ci_u32_e64 v17, s13, v17, v118, s13
	v_add_co_u32 v18, s13, v18, v117
	s_delay_alu instid0(VALU_DEP_1) | instskip(SKIP_3) | instid1(VALU_DEP_1)
	v_add_co_ci_u32_e64 v19, s13, v19, v118, s13
	global_store_b128 v[20:21], v[8:11], off glc slc dlc
	v_cmp_gt_i32_e64 s13, 16, v80
	v_add_co_u32 v20, s14, v20, v117
	v_add_co_ci_u32_e64 v21, s14, v21, v118, s14
	v_sub_nc_u32_e32 v70, v70, v97
	s_delay_alu instid0(VALU_DEP_4) | instskip(NEXT) | instid1(SALU_CYCLE_1)
	s_or_b32 s17, s13, s17
	s_and_not1_b32 exec_lo, exec_lo, s17
	s_cbranch_execz .LBB4_4964
.LBB4_4582:                             ;   Parent Loop BB4_51 Depth=1
                                        ;     Parent Loop BB4_2119 Depth=2
                                        ; =>    This Inner Loop Header: Depth=3
	global_load_b128 v[12:15], v[16:17], off slc dlc
	global_load_b128 v[8:11], v[18:19], off slc dlc
	s_mov_b32 s14, 0
	s_mov_b32 s30, exec_lo
                                        ; implicit-def: $sgpr29
	s_waitcnt vmcnt(1)
	v_and_b32_e32 v82, 0xff, v12
	s_delay_alu instid0(VALU_DEP_1)
	v_cmpx_lt_i16_e32 0x7f, v82
	s_xor_b32 s30, exec_lo, s30
	s_cbranch_execnz .LBB4_4836
; %bb.4583:                             ;   in Loop: Header=BB4_4582 Depth=3
	s_or_saveexec_b32 s30, s30
	v_mov_b32_e32 v81, s29
	s_xor_b32 exec_lo, exec_lo, s30
	s_cbranch_execnz .LBB4_4839
.LBB4_4584:                             ;   in Loop: Header=BB4_4582 Depth=3
	s_or_b32 exec_lo, exec_lo, s30
	s_and_saveexec_b32 s29, s14
	s_cbranch_execz .LBB4_4586
.LBB4_4585:                             ;   in Loop: Header=BB4_4582 Depth=3
	v_and_b32_e32 v81, 7, v12
	v_bfe_u32 v84, v12, 3, 4
	v_lshlrev_b32_e32 v85, 24, v12
	s_delay_alu instid0(VALU_DEP_3) | instskip(NEXT) | instid1(VALU_DEP_3)
	v_clz_i32_u32_e32 v82, v81
	v_cmp_eq_u32_e64 s13, 0, v84
	s_delay_alu instid0(VALU_DEP_2) | instskip(NEXT) | instid1(VALU_DEP_1)
	v_min_u32_e32 v82, 32, v82
	v_subrev_nc_u32_e32 v83, 28, v82
	v_sub_nc_u32_e32 v82, 29, v82
	s_delay_alu instid0(VALU_DEP_2) | instskip(NEXT) | instid1(VALU_DEP_2)
	v_lshlrev_b32_e32 v83, v83, v12
	v_cndmask_b32_e64 v82, v84, v82, s13
	s_delay_alu instid0(VALU_DEP_2) | instskip(NEXT) | instid1(VALU_DEP_2)
	v_and_b32_e32 v83, 7, v83
	v_lshl_add_u32 v82, v82, 23, 0x3b800000
	s_delay_alu instid0(VALU_DEP_2) | instskip(SKIP_1) | instid1(VALU_DEP_2)
	v_cndmask_b32_e64 v81, v81, v83, s13
	v_and_b32_e32 v83, 0x80000000, v85
	v_lshlrev_b32_e32 v81, 20, v81
	s_delay_alu instid0(VALU_DEP_1)
	v_or3_b32 v81, v83, v82, v81
.LBB4_4586:                             ;   in Loop: Header=BB4_4582 Depth=3
	s_or_b32 exec_lo, exec_lo, s29
	s_waitcnt vmcnt(0)
	v_and_b32_e32 v83, 0xff, v8
	s_mov_b32 s14, 0
	s_mov_b32 s30, exec_lo
                                        ; implicit-def: $sgpr29
	s_delay_alu instid0(VALU_DEP_1)
	v_cmpx_lt_i16_e32 0x7f, v83
	s_xor_b32 s30, exec_lo, s30
	s_cbranch_execnz .LBB4_4840
; %bb.4587:                             ;   in Loop: Header=BB4_4582 Depth=3
	s_or_saveexec_b32 s30, s30
	v_mov_b32_e32 v82, s29
	s_xor_b32 exec_lo, exec_lo, s30
	s_cbranch_execnz .LBB4_4843
.LBB4_4588:                             ;   in Loop: Header=BB4_4582 Depth=3
	s_or_b32 exec_lo, exec_lo, s30
	s_and_saveexec_b32 s29, s14
	s_cbranch_execz .LBB4_4590
.LBB4_4589:                             ;   in Loop: Header=BB4_4582 Depth=3
	v_and_b32_e32 v82, 7, v8
	v_bfe_u32 v85, v8, 3, 4
	v_lshlrev_b32_e32 v149, 24, v8
	s_delay_alu instid0(VALU_DEP_3) | instskip(NEXT) | instid1(VALU_DEP_3)
	v_clz_i32_u32_e32 v83, v82
	v_cmp_eq_u32_e64 s13, 0, v85
	s_delay_alu instid0(VALU_DEP_2) | instskip(NEXT) | instid1(VALU_DEP_1)
	v_min_u32_e32 v83, 32, v83
	v_subrev_nc_u32_e32 v84, 28, v83
	v_sub_nc_u32_e32 v83, 29, v83
	s_delay_alu instid0(VALU_DEP_2) | instskip(NEXT) | instid1(VALU_DEP_2)
	v_lshlrev_b32_e32 v84, v84, v8
	v_cndmask_b32_e64 v83, v85, v83, s13
	s_delay_alu instid0(VALU_DEP_2) | instskip(NEXT) | instid1(VALU_DEP_2)
	v_and_b32_e32 v84, 7, v84
	v_lshl_add_u32 v83, v83, 23, 0x3b800000
	s_delay_alu instid0(VALU_DEP_2) | instskip(SKIP_1) | instid1(VALU_DEP_2)
	v_cndmask_b32_e64 v82, v82, v84, s13
	v_and_b32_e32 v84, 0x80000000, v149
	v_lshlrev_b32_e32 v82, 20, v82
	s_delay_alu instid0(VALU_DEP_1)
	v_or3_b32 v82, v84, v83, v82
.LBB4_4590:                             ;   in Loop: Header=BB4_4582 Depth=3
	s_or_b32 exec_lo, exec_lo, s29
	s_delay_alu instid0(VALU_DEP_1) | instskip(NEXT) | instid1(VALU_DEP_1)
	v_add_f32_e32 v82, v81, v82
	v_and_b32_e32 v81, 0x7f800000, v82
	s_delay_alu instid0(VALU_DEP_1) | instskip(SKIP_1) | instid1(VALU_DEP_2)
	v_cmp_ne_u32_e64 s13, 0x7f800000, v81
	v_mov_b32_e32 v81, 0x80
	s_and_saveexec_b32 s29, s13
	s_cbranch_execz .LBB4_4598
; %bb.4591:                             ;   in Loop: Header=BB4_4582 Depth=3
	v_mov_b32_e32 v81, 0
	s_mov_b32 s30, exec_lo
	v_cmpx_ne_u32_e32 0, v82
	s_cbranch_execz .LBB4_4597
; %bb.4592:                             ;   in Loop: Header=BB4_4582 Depth=3
	v_bfe_u32 v81, v82, 23, 8
	v_and_b32_e32 v83, 0x7fffff, v82
	s_delay_alu instid0(VALU_DEP_2) | instskip(SKIP_1) | instid1(VALU_DEP_3)
	v_sub_nc_u32_e32 v84, 0x78, v81
	v_cmp_gt_u32_e64 s13, 0x79, v81
	v_or_b32_e32 v85, 0x800000, v83
	s_delay_alu instid0(VALU_DEP_2) | instskip(SKIP_2) | instid1(VALU_DEP_2)
	v_cndmask_b32_e64 v84, 0, v84, s13
	v_cmp_eq_u32_e64 s13, 0, v81
	v_add_nc_u32_e32 v81, 0xffffff89, v81
	v_cndmask_b32_e64 v84, v84, 0x77, s13
	v_cndmask_b32_e64 v83, v85, v83, s13
	s_delay_alu instid0(VALU_DEP_3) | instskip(NEXT) | instid1(VALU_DEP_3)
	v_cndmask_b32_e64 v81, v81, 0xffffff8a, s13
	v_lshl_add_u32 v85, 0x100000, v84, -1
	s_delay_alu instid0(VALU_DEP_3) | instskip(SKIP_1) | instid1(VALU_DEP_4)
	v_lshrrev_b32_e32 v149, v84, v83
	v_lshlrev_b32_e64 v151, v84, 0x80000
	v_add_nc_u32_e32 v84, v84, v81
	s_delay_alu instid0(VALU_DEP_4) | instskip(NEXT) | instid1(VALU_DEP_4)
	v_and_b32_e32 v83, v85, v83
	v_bfe_u32 v150, v149, 20, 1
	s_delay_alu instid0(VALU_DEP_2) | instskip(NEXT) | instid1(VALU_DEP_2)
	v_cmp_eq_u32_e64 s14, v83, v151
	v_add_nc_u32_e32 v85, -1, v150
	s_delay_alu instid0(VALU_DEP_1) | instskip(SKIP_2) | instid1(VALU_DEP_2)
	v_cndmask_b32_e64 v83, 0, v85, s14
	v_lshrrev_b32_e32 v85, 23, v149
	s_mov_b32 s14, exec_lo
	v_add_nc_u32_e32 v83, v83, v149
	s_delay_alu instid0(VALU_DEP_2) | instskip(NEXT) | instid1(VALU_DEP_2)
	v_xor_b32_e32 v85, 1, v85
	v_and_b32_e32 v81, 0xfffff, v83
	s_delay_alu instid0(VALU_DEP_1) | instskip(NEXT) | instid1(VALU_DEP_3)
	v_add_nc_u32_e32 v83, v81, v149
                                        ; implicit-def: $vgpr81
	v_cmpx_ne_u32_e64 v84, v85
	s_xor_b32 s14, exec_lo, s14
; %bb.4593:                             ;   in Loop: Header=BB4_4582 Depth=3
	s_delay_alu instid0(VALU_DEP_2) | instskip(SKIP_1) | instid1(VALU_DEP_2)
	v_cmp_lt_u32_e64 s13, 0xffffff, v83
	v_sub_nc_u32_e32 v81, v84, v85
	v_cndmask_b32_e64 v84, 0, 1, s13
	s_delay_alu instid0(VALU_DEP_2) | instskip(NEXT) | instid1(VALU_DEP_2)
	v_add_co_ci_u32_e64 v81, s13, 0, v81, s13
	v_lshrrev_b32_e32 v83, v84, v83
; %bb.4594:                             ;   in Loop: Header=BB4_4582 Depth=3
	s_and_not1_saveexec_b32 s13, s14
; %bb.4595:                             ;   in Loop: Header=BB4_4582 Depth=3
	s_delay_alu instid0(VALU_DEP_1)
	v_bfe_u32 v81, v83, 23, 1
; %bb.4596:                             ;   in Loop: Header=BB4_4582 Depth=3
	s_or_b32 exec_lo, exec_lo, s13
	v_lshrrev_b32_e32 v83, 20, v83
	s_delay_alu instid0(VALU_DEP_2) | instskip(SKIP_2) | instid1(VALU_DEP_3)
	v_cmp_gt_i32_e64 s13, 16, v81
	v_lshrrev_b32_e32 v82, 24, v82
	v_min_i32_e32 v84, 15, v81
	v_cndmask_b32_e64 v83, 7, v83, s13
	s_delay_alu instid0(VALU_DEP_3) | instskip(NEXT) | instid1(VALU_DEP_3)
	v_and_b32_e32 v82, 0x80, v82
	v_lshlrev_b32_e32 v84, 3, v84
	s_delay_alu instid0(VALU_DEP_3) | instskip(SKIP_1) | instid1(VALU_DEP_2)
	v_and_b32_e32 v85, 7, v83
	v_or_b32_e32 v81, v81, v83
	v_or3_b32 v82, v84, v82, v85
	s_delay_alu instid0(VALU_DEP_2) | instskip(NEXT) | instid1(VALU_DEP_1)
	v_cmp_ne_u32_e64 s13, 0, v81
	v_cndmask_b32_e64 v81, 0, v82, s13
.LBB4_4597:                             ;   in Loop: Header=BB4_4582 Depth=3
	s_or_b32 exec_lo, exec_lo, s30
.LBB4_4598:                             ;   in Loop: Header=BB4_4582 Depth=3
	s_delay_alu instid0(SALU_CYCLE_1) | instskip(SKIP_3) | instid1(VALU_DEP_1)
	s_or_b32 exec_lo, exec_lo, s29
	v_lshrrev_b16 v83, 8, v12
	s_mov_b32 s14, 0
	s_mov_b32 s30, exec_lo
                                        ; implicit-def: $sgpr29
	v_cmpx_lt_i16_e32 0x7f, v83
	s_xor_b32 s30, exec_lo, s30
	s_cbranch_execnz .LBB4_4844
; %bb.4599:                             ;   in Loop: Header=BB4_4582 Depth=3
	s_or_saveexec_b32 s30, s30
	v_mov_b32_e32 v82, s29
	s_xor_b32 exec_lo, exec_lo, s30
	s_cbranch_execnz .LBB4_4847
.LBB4_4600:                             ;   in Loop: Header=BB4_4582 Depth=3
	s_or_b32 exec_lo, exec_lo, s30
	s_and_saveexec_b32 s29, s14
	s_cbranch_execz .LBB4_4602
.LBB4_4601:                             ;   in Loop: Header=BB4_4582 Depth=3
	v_and_b32_e32 v82, 0xffff, v83
	v_lshlrev_b32_e32 v83, 24, v83
	s_delay_alu instid0(VALU_DEP_2) | instskip(NEXT) | instid1(VALU_DEP_2)
	v_and_b32_e32 v84, 7, v82
	v_and_b32_e32 v83, 0x80000000, v83
	s_delay_alu instid0(VALU_DEP_2) | instskip(NEXT) | instid1(VALU_DEP_1)
	v_clz_i32_u32_e32 v85, v84
	v_min_u32_e32 v85, 32, v85
	s_delay_alu instid0(VALU_DEP_1) | instskip(SKIP_1) | instid1(VALU_DEP_2)
	v_subrev_nc_u32_e32 v149, 28, v85
	v_sub_nc_u32_e32 v85, 29, v85
	v_lshlrev_b32_e32 v149, v149, v82
	v_bfe_u32 v82, v82, 3, 4
	s_delay_alu instid0(VALU_DEP_2) | instskip(NEXT) | instid1(VALU_DEP_2)
	v_and_b32_e32 v149, 7, v149
	v_cmp_eq_u32_e64 s13, 0, v82
	s_delay_alu instid0(VALU_DEP_1) | instskip(NEXT) | instid1(VALU_DEP_3)
	v_cndmask_b32_e64 v82, v82, v85, s13
	v_cndmask_b32_e64 v84, v84, v149, s13
	s_delay_alu instid0(VALU_DEP_2) | instskip(NEXT) | instid1(VALU_DEP_2)
	v_lshl_add_u32 v82, v82, 23, 0x3b800000
	v_lshlrev_b32_e32 v84, 20, v84
	s_delay_alu instid0(VALU_DEP_1)
	v_or3_b32 v82, v83, v82, v84
.LBB4_4602:                             ;   in Loop: Header=BB4_4582 Depth=3
	s_or_b32 exec_lo, exec_lo, s29
	v_lshrrev_b16 v83, 8, v8
	s_mov_b32 s14, 0
	s_mov_b32 s30, exec_lo
                                        ; implicit-def: $sgpr29
	s_delay_alu instid0(VALU_DEP_1)
	v_cmpx_lt_i16_e32 0x7f, v83
	s_xor_b32 s30, exec_lo, s30
	s_cbranch_execnz .LBB4_4848
; %bb.4603:                             ;   in Loop: Header=BB4_4582 Depth=3
	s_or_saveexec_b32 s30, s30
	v_mov_b32_e32 v84, s29
	s_xor_b32 exec_lo, exec_lo, s30
	s_cbranch_execnz .LBB4_4851
.LBB4_4604:                             ;   in Loop: Header=BB4_4582 Depth=3
	s_or_b32 exec_lo, exec_lo, s30
	s_and_saveexec_b32 s29, s14
	s_cbranch_execz .LBB4_4606
.LBB4_4605:                             ;   in Loop: Header=BB4_4582 Depth=3
	v_and_b32_e32 v84, 0xffff, v83
	v_lshlrev_b32_e32 v83, 24, v83
	s_delay_alu instid0(VALU_DEP_2) | instskip(NEXT) | instid1(VALU_DEP_2)
	v_and_b32_e32 v85, 7, v84
	v_and_b32_e32 v83, 0x80000000, v83
	s_delay_alu instid0(VALU_DEP_2) | instskip(NEXT) | instid1(VALU_DEP_1)
	v_clz_i32_u32_e32 v149, v85
	v_min_u32_e32 v149, 32, v149
	s_delay_alu instid0(VALU_DEP_1) | instskip(SKIP_1) | instid1(VALU_DEP_2)
	v_subrev_nc_u32_e32 v150, 28, v149
	v_sub_nc_u32_e32 v149, 29, v149
	v_lshlrev_b32_e32 v150, v150, v84
	v_bfe_u32 v84, v84, 3, 4
	s_delay_alu instid0(VALU_DEP_2) | instskip(NEXT) | instid1(VALU_DEP_2)
	v_and_b32_e32 v150, 7, v150
	v_cmp_eq_u32_e64 s13, 0, v84
	s_delay_alu instid0(VALU_DEP_1) | instskip(NEXT) | instid1(VALU_DEP_3)
	v_cndmask_b32_e64 v84, v84, v149, s13
	v_cndmask_b32_e64 v85, v85, v150, s13
	s_delay_alu instid0(VALU_DEP_2) | instskip(NEXT) | instid1(VALU_DEP_2)
	v_lshl_add_u32 v84, v84, 23, 0x3b800000
	v_lshlrev_b32_e32 v85, 20, v85
	s_delay_alu instid0(VALU_DEP_1)
	v_or3_b32 v84, v83, v84, v85
.LBB4_4606:                             ;   in Loop: Header=BB4_4582 Depth=3
	s_or_b32 exec_lo, exec_lo, s29
	s_delay_alu instid0(VALU_DEP_1) | instskip(NEXT) | instid1(VALU_DEP_1)
	v_add_f32_e32 v83, v82, v84
	v_and_b32_e32 v82, 0x7f800000, v83
	s_delay_alu instid0(VALU_DEP_1) | instskip(SKIP_1) | instid1(VALU_DEP_2)
	v_cmp_ne_u32_e64 s13, 0x7f800000, v82
	v_mov_b32_e32 v82, 0x80
	s_and_saveexec_b32 s29, s13
	s_cbranch_execz .LBB4_4614
; %bb.4607:                             ;   in Loop: Header=BB4_4582 Depth=3
	v_mov_b32_e32 v82, 0
	s_mov_b32 s30, exec_lo
	v_cmpx_ne_u32_e32 0, v83
	s_cbranch_execz .LBB4_4613
; %bb.4608:                             ;   in Loop: Header=BB4_4582 Depth=3
	v_bfe_u32 v82, v83, 23, 8
	v_and_b32_e32 v84, 0x7fffff, v83
	s_delay_alu instid0(VALU_DEP_2) | instskip(SKIP_1) | instid1(VALU_DEP_3)
	v_sub_nc_u32_e32 v85, 0x78, v82
	v_cmp_gt_u32_e64 s13, 0x79, v82
	v_or_b32_e32 v149, 0x800000, v84
	s_delay_alu instid0(VALU_DEP_2) | instskip(SKIP_2) | instid1(VALU_DEP_2)
	v_cndmask_b32_e64 v85, 0, v85, s13
	v_cmp_eq_u32_e64 s13, 0, v82
	v_add_nc_u32_e32 v82, 0xffffff89, v82
	v_cndmask_b32_e64 v85, v85, 0x77, s13
	v_cndmask_b32_e64 v84, v149, v84, s13
	s_delay_alu instid0(VALU_DEP_3) | instskip(NEXT) | instid1(VALU_DEP_3)
	v_cndmask_b32_e64 v82, v82, 0xffffff8a, s13
	v_lshl_add_u32 v149, 0x100000, v85, -1
	s_delay_alu instid0(VALU_DEP_3) | instskip(SKIP_1) | instid1(VALU_DEP_4)
	v_lshrrev_b32_e32 v150, v85, v84
	v_lshlrev_b32_e64 v160, v85, 0x80000
	v_add_nc_u32_e32 v85, v85, v82
	s_delay_alu instid0(VALU_DEP_4) | instskip(NEXT) | instid1(VALU_DEP_4)
	v_and_b32_e32 v84, v149, v84
	v_bfe_u32 v151, v150, 20, 1
	s_delay_alu instid0(VALU_DEP_2) | instskip(NEXT) | instid1(VALU_DEP_2)
	v_cmp_eq_u32_e64 s14, v84, v160
	v_add_nc_u32_e32 v149, -1, v151
	s_delay_alu instid0(VALU_DEP_1) | instskip(SKIP_2) | instid1(VALU_DEP_2)
	v_cndmask_b32_e64 v84, 0, v149, s14
	v_lshrrev_b32_e32 v149, 23, v150
	s_mov_b32 s14, exec_lo
	v_add_nc_u32_e32 v84, v84, v150
	s_delay_alu instid0(VALU_DEP_2) | instskip(NEXT) | instid1(VALU_DEP_2)
	v_xor_b32_e32 v149, 1, v149
	v_and_b32_e32 v82, 0xfffff, v84
	s_delay_alu instid0(VALU_DEP_1) | instskip(NEXT) | instid1(VALU_DEP_3)
	v_add_nc_u32_e32 v84, v82, v150
                                        ; implicit-def: $vgpr82
	v_cmpx_ne_u32_e64 v85, v149
	s_xor_b32 s14, exec_lo, s14
; %bb.4609:                             ;   in Loop: Header=BB4_4582 Depth=3
	s_delay_alu instid0(VALU_DEP_2) | instskip(SKIP_1) | instid1(VALU_DEP_2)
	v_cmp_lt_u32_e64 s13, 0xffffff, v84
	v_sub_nc_u32_e32 v82, v85, v149
	v_cndmask_b32_e64 v85, 0, 1, s13
	s_delay_alu instid0(VALU_DEP_2) | instskip(NEXT) | instid1(VALU_DEP_2)
	v_add_co_ci_u32_e64 v82, s13, 0, v82, s13
	v_lshrrev_b32_e32 v84, v85, v84
; %bb.4610:                             ;   in Loop: Header=BB4_4582 Depth=3
	s_and_not1_saveexec_b32 s13, s14
; %bb.4611:                             ;   in Loop: Header=BB4_4582 Depth=3
	s_delay_alu instid0(VALU_DEP_1)
	v_bfe_u32 v82, v84, 23, 1
; %bb.4612:                             ;   in Loop: Header=BB4_4582 Depth=3
	s_or_b32 exec_lo, exec_lo, s13
	v_lshrrev_b32_e32 v84, 20, v84
	s_delay_alu instid0(VALU_DEP_2) | instskip(SKIP_2) | instid1(VALU_DEP_3)
	v_cmp_gt_i32_e64 s13, 16, v82
	v_lshrrev_b32_e32 v83, 24, v83
	v_min_i32_e32 v85, 15, v82
	v_cndmask_b32_e64 v84, 7, v84, s13
	s_delay_alu instid0(VALU_DEP_3) | instskip(NEXT) | instid1(VALU_DEP_3)
	v_and_b32_e32 v83, 0x80, v83
	v_lshlrev_b32_e32 v85, 3, v85
	s_delay_alu instid0(VALU_DEP_3) | instskip(SKIP_1) | instid1(VALU_DEP_2)
	v_and_b32_e32 v149, 7, v84
	v_or_b32_e32 v82, v82, v84
	v_or3_b32 v83, v85, v83, v149
	s_delay_alu instid0(VALU_DEP_2) | instskip(NEXT) | instid1(VALU_DEP_1)
	v_cmp_ne_u32_e64 s13, 0, v82
	v_cndmask_b32_e64 v82, 0, v83, s13
.LBB4_4613:                             ;   in Loop: Header=BB4_4582 Depth=3
	s_or_b32 exec_lo, exec_lo, s30
.LBB4_4614:                             ;   in Loop: Header=BB4_4582 Depth=3
	s_delay_alu instid0(SALU_CYCLE_1) | instskip(SKIP_3) | instid1(VALU_DEP_1)
	s_or_b32 exec_lo, exec_lo, s29
	v_lshrrev_b32_e32 v84, 16, v12
	s_mov_b32 s14, 0
	s_mov_b32 s30, exec_lo
                                        ; implicit-def: $sgpr29
	v_and_b32_e32 v85, 0xff, v84
	s_delay_alu instid0(VALU_DEP_1)
	v_cmpx_lt_i16_e32 0x7f, v85
	s_xor_b32 s30, exec_lo, s30
	s_cbranch_execnz .LBB4_4852
; %bb.4615:                             ;   in Loop: Header=BB4_4582 Depth=3
	s_or_saveexec_b32 s30, s30
	v_mov_b32_e32 v83, s29
	s_xor_b32 exec_lo, exec_lo, s30
	s_cbranch_execnz .LBB4_4855
.LBB4_4616:                             ;   in Loop: Header=BB4_4582 Depth=3
	s_or_b32 exec_lo, exec_lo, s30
	s_and_saveexec_b32 s29, s14
	s_cbranch_execz .LBB4_4618
.LBB4_4617:                             ;   in Loop: Header=BB4_4582 Depth=3
	v_bfe_u32 v83, v12, 16, 3
	v_lshlrev_b32_e32 v150, 8, v12
	s_delay_alu instid0(VALU_DEP_2) | instskip(NEXT) | instid1(VALU_DEP_1)
	v_clz_i32_u32_e32 v85, v83
	v_min_u32_e32 v85, 32, v85
	s_delay_alu instid0(VALU_DEP_1) | instskip(SKIP_1) | instid1(VALU_DEP_2)
	v_subrev_nc_u32_e32 v149, 28, v85
	v_sub_nc_u32_e32 v85, 29, v85
	v_lshlrev_b32_e32 v84, v149, v84
	v_bfe_u32 v149, v12, 19, 4
	s_delay_alu instid0(VALU_DEP_2) | instskip(NEXT) | instid1(VALU_DEP_2)
	v_and_b32_e32 v84, 7, v84
	v_cmp_eq_u32_e64 s13, 0, v149
	s_delay_alu instid0(VALU_DEP_1) | instskip(NEXT) | instid1(VALU_DEP_3)
	v_cndmask_b32_e64 v85, v149, v85, s13
	v_cndmask_b32_e64 v83, v83, v84, s13
	v_and_b32_e32 v84, 0x80000000, v150
	s_delay_alu instid0(VALU_DEP_3) | instskip(NEXT) | instid1(VALU_DEP_3)
	v_lshl_add_u32 v85, v85, 23, 0x3b800000
	v_lshlrev_b32_e32 v83, 20, v83
	s_delay_alu instid0(VALU_DEP_1)
	v_or3_b32 v83, v84, v85, v83
.LBB4_4618:                             ;   in Loop: Header=BB4_4582 Depth=3
	s_or_b32 exec_lo, exec_lo, s29
	v_lshrrev_b32_e32 v84, 16, v8
	s_mov_b32 s14, 0
	s_mov_b32 s30, exec_lo
                                        ; implicit-def: $sgpr29
	s_delay_alu instid0(VALU_DEP_1) | instskip(NEXT) | instid1(VALU_DEP_1)
	v_and_b32_e32 v149, 0xff, v84
	v_cmpx_lt_i16_e64 0x7f, v149
	s_xor_b32 s30, exec_lo, s30
	s_cbranch_execnz .LBB4_4856
; %bb.4619:                             ;   in Loop: Header=BB4_4582 Depth=3
	s_or_saveexec_b32 s30, s30
	v_mov_b32_e32 v85, s29
	s_xor_b32 exec_lo, exec_lo, s30
	s_cbranch_execnz .LBB4_4859
.LBB4_4620:                             ;   in Loop: Header=BB4_4582 Depth=3
	s_or_b32 exec_lo, exec_lo, s30
	s_and_saveexec_b32 s29, s14
	s_cbranch_execz .LBB4_4622
.LBB4_4621:                             ;   in Loop: Header=BB4_4582 Depth=3
	v_bfe_u32 v85, v8, 16, 3
	v_lshlrev_b32_e32 v151, 8, v8
	s_delay_alu instid0(VALU_DEP_2) | instskip(NEXT) | instid1(VALU_DEP_1)
	v_clz_i32_u32_e32 v149, v85
	v_min_u32_e32 v149, 32, v149
	s_delay_alu instid0(VALU_DEP_1) | instskip(SKIP_1) | instid1(VALU_DEP_2)
	v_subrev_nc_u32_e32 v150, 28, v149
	v_sub_nc_u32_e32 v149, 29, v149
	v_lshlrev_b32_e32 v84, v150, v84
	v_bfe_u32 v150, v8, 19, 4
	s_delay_alu instid0(VALU_DEP_2) | instskip(NEXT) | instid1(VALU_DEP_2)
	v_and_b32_e32 v84, 7, v84
	v_cmp_eq_u32_e64 s13, 0, v150
	s_delay_alu instid0(VALU_DEP_1) | instskip(NEXT) | instid1(VALU_DEP_3)
	v_cndmask_b32_e64 v149, v150, v149, s13
	v_cndmask_b32_e64 v84, v85, v84, s13
	v_and_b32_e32 v85, 0x80000000, v151
	s_delay_alu instid0(VALU_DEP_3) | instskip(NEXT) | instid1(VALU_DEP_3)
	v_lshl_add_u32 v149, v149, 23, 0x3b800000
	v_lshlrev_b32_e32 v84, 20, v84
	s_delay_alu instid0(VALU_DEP_1)
	v_or3_b32 v85, v85, v149, v84
.LBB4_4622:                             ;   in Loop: Header=BB4_4582 Depth=3
	s_or_b32 exec_lo, exec_lo, s29
	s_delay_alu instid0(VALU_DEP_1) | instskip(NEXT) | instid1(VALU_DEP_1)
	v_add_f32_e32 v84, v83, v85
	v_and_b32_e32 v83, 0x7f800000, v84
	s_delay_alu instid0(VALU_DEP_1) | instskip(SKIP_1) | instid1(VALU_DEP_2)
	v_cmp_ne_u32_e64 s13, 0x7f800000, v83
	v_mov_b32_e32 v83, 0x80
	s_and_saveexec_b32 s29, s13
	s_cbranch_execz .LBB4_4630
; %bb.4623:                             ;   in Loop: Header=BB4_4582 Depth=3
	v_mov_b32_e32 v83, 0
	s_mov_b32 s30, exec_lo
	v_cmpx_ne_u32_e32 0, v84
	s_cbranch_execz .LBB4_4629
; %bb.4624:                             ;   in Loop: Header=BB4_4582 Depth=3
	v_bfe_u32 v83, v84, 23, 8
	v_and_b32_e32 v85, 0x7fffff, v84
	s_delay_alu instid0(VALU_DEP_2) | instskip(SKIP_1) | instid1(VALU_DEP_3)
	v_sub_nc_u32_e32 v149, 0x78, v83
	v_cmp_gt_u32_e64 s13, 0x79, v83
	v_or_b32_e32 v150, 0x800000, v85
	s_delay_alu instid0(VALU_DEP_2) | instskip(SKIP_2) | instid1(VALU_DEP_2)
	v_cndmask_b32_e64 v149, 0, v149, s13
	v_cmp_eq_u32_e64 s13, 0, v83
	v_add_nc_u32_e32 v83, 0xffffff89, v83
	v_cndmask_b32_e64 v149, v149, 0x77, s13
	v_cndmask_b32_e64 v85, v150, v85, s13
	s_delay_alu instid0(VALU_DEP_3) | instskip(NEXT) | instid1(VALU_DEP_3)
	v_cndmask_b32_e64 v83, v83, 0xffffff8a, s13
	v_lshl_add_u32 v150, 0x100000, v149, -1
	s_delay_alu instid0(VALU_DEP_3) | instskip(SKIP_1) | instid1(VALU_DEP_4)
	v_lshrrev_b32_e32 v151, v149, v85
	v_lshlrev_b32_e64 v161, v149, 0x80000
	v_add_nc_u32_e32 v149, v149, v83
	s_delay_alu instid0(VALU_DEP_4) | instskip(NEXT) | instid1(VALU_DEP_4)
	v_and_b32_e32 v85, v150, v85
	v_bfe_u32 v160, v151, 20, 1
	s_delay_alu instid0(VALU_DEP_2) | instskip(NEXT) | instid1(VALU_DEP_2)
	v_cmp_eq_u32_e64 s14, v85, v161
	v_add_nc_u32_e32 v150, -1, v160
	s_delay_alu instid0(VALU_DEP_1) | instskip(SKIP_2) | instid1(VALU_DEP_2)
	v_cndmask_b32_e64 v85, 0, v150, s14
	v_lshrrev_b32_e32 v150, 23, v151
	s_mov_b32 s14, exec_lo
	v_add_nc_u32_e32 v85, v85, v151
	s_delay_alu instid0(VALU_DEP_2) | instskip(NEXT) | instid1(VALU_DEP_2)
	v_xor_b32_e32 v150, 1, v150
	v_and_b32_e32 v83, 0xfffff, v85
	s_delay_alu instid0(VALU_DEP_1) | instskip(NEXT) | instid1(VALU_DEP_3)
	v_add_nc_u32_e32 v85, v83, v151
                                        ; implicit-def: $vgpr83
	v_cmpx_ne_u32_e64 v149, v150
	s_xor_b32 s14, exec_lo, s14
; %bb.4625:                             ;   in Loop: Header=BB4_4582 Depth=3
	s_delay_alu instid0(VALU_DEP_2) | instskip(SKIP_1) | instid1(VALU_DEP_2)
	v_cmp_lt_u32_e64 s13, 0xffffff, v85
	v_sub_nc_u32_e32 v83, v149, v150
	v_cndmask_b32_e64 v149, 0, 1, s13
	s_delay_alu instid0(VALU_DEP_2) | instskip(NEXT) | instid1(VALU_DEP_2)
	v_add_co_ci_u32_e64 v83, s13, 0, v83, s13
	v_lshrrev_b32_e32 v85, v149, v85
; %bb.4626:                             ;   in Loop: Header=BB4_4582 Depth=3
	s_and_not1_saveexec_b32 s13, s14
; %bb.4627:                             ;   in Loop: Header=BB4_4582 Depth=3
	s_delay_alu instid0(VALU_DEP_1)
	v_bfe_u32 v83, v85, 23, 1
; %bb.4628:                             ;   in Loop: Header=BB4_4582 Depth=3
	s_or_b32 exec_lo, exec_lo, s13
	v_lshrrev_b32_e32 v85, 20, v85
	s_delay_alu instid0(VALU_DEP_2) | instskip(SKIP_2) | instid1(VALU_DEP_3)
	v_cmp_gt_i32_e64 s13, 16, v83
	v_lshrrev_b32_e32 v84, 24, v84
	v_min_i32_e32 v149, 15, v83
	v_cndmask_b32_e64 v85, 7, v85, s13
	s_delay_alu instid0(VALU_DEP_3) | instskip(NEXT) | instid1(VALU_DEP_3)
	v_and_b32_e32 v84, 0x80, v84
	v_lshlrev_b32_e32 v149, 3, v149
	s_delay_alu instid0(VALU_DEP_3) | instskip(SKIP_1) | instid1(VALU_DEP_2)
	v_and_b32_e32 v150, 7, v85
	v_or_b32_e32 v83, v83, v85
	v_or3_b32 v84, v149, v84, v150
	s_delay_alu instid0(VALU_DEP_2) | instskip(NEXT) | instid1(VALU_DEP_1)
	v_cmp_ne_u32_e64 s13, 0, v83
	v_cndmask_b32_e64 v83, 0, v84, s13
.LBB4_4629:                             ;   in Loop: Header=BB4_4582 Depth=3
	s_or_b32 exec_lo, exec_lo, s30
.LBB4_4630:                             ;   in Loop: Header=BB4_4582 Depth=3
	s_delay_alu instid0(SALU_CYCLE_1) | instskip(SKIP_3) | instid1(VALU_DEP_1)
	s_or_b32 exec_lo, exec_lo, s29
	v_lshrrev_b32_e32 v85, 24, v12
	s_mov_b32 s14, 0
	s_mov_b32 s30, exec_lo
                                        ; implicit-def: $sgpr29
	v_cmpx_lt_i16_e32 0x7f, v85
	s_xor_b32 s30, exec_lo, s30
	s_cbranch_execnz .LBB4_4860
; %bb.4631:                             ;   in Loop: Header=BB4_4582 Depth=3
	s_or_saveexec_b32 s30, s30
	v_mov_b32_e32 v84, s29
	s_xor_b32 exec_lo, exec_lo, s30
	s_cbranch_execnz .LBB4_4863
.LBB4_4632:                             ;   in Loop: Header=BB4_4582 Depth=3
	s_or_b32 exec_lo, exec_lo, s30
	s_and_saveexec_b32 s29, s14
	s_cbranch_execz .LBB4_4634
.LBB4_4633:                             ;   in Loop: Header=BB4_4582 Depth=3
	v_bfe_u32 v84, v12, 24, 3
	s_delay_alu instid0(VALU_DEP_1) | instskip(NEXT) | instid1(VALU_DEP_1)
	v_clz_i32_u32_e32 v149, v84
	v_min_u32_e32 v149, 32, v149
	s_delay_alu instid0(VALU_DEP_1) | instskip(SKIP_1) | instid1(VALU_DEP_2)
	v_subrev_nc_u32_e32 v150, 28, v149
	v_sub_nc_u32_e32 v149, 29, v149
	v_lshlrev_b32_e32 v85, v150, v85
	v_bfe_u32 v150, v12, 27, 4
	v_and_b32_e32 v12, 0x80000000, v12
	s_delay_alu instid0(VALU_DEP_3) | instskip(NEXT) | instid1(VALU_DEP_3)
	v_and_b32_e32 v85, 7, v85
	v_cmp_eq_u32_e64 s13, 0, v150
	s_delay_alu instid0(VALU_DEP_1) | instskip(NEXT) | instid1(VALU_DEP_3)
	v_cndmask_b32_e64 v149, v150, v149, s13
	v_cndmask_b32_e64 v84, v84, v85, s13
	s_delay_alu instid0(VALU_DEP_2) | instskip(NEXT) | instid1(VALU_DEP_2)
	v_lshl_add_u32 v85, v149, 23, 0x3b800000
	v_lshlrev_b32_e32 v84, 20, v84
	s_delay_alu instid0(VALU_DEP_1)
	v_or3_b32 v84, v12, v85, v84
.LBB4_4634:                             ;   in Loop: Header=BB4_4582 Depth=3
	s_or_b32 exec_lo, exec_lo, s29
	v_lshrrev_b32_e32 v12, 24, v8
	s_mov_b32 s14, 0
	s_mov_b32 s30, exec_lo
                                        ; implicit-def: $sgpr29
	s_delay_alu instid0(VALU_DEP_1)
	v_cmpx_lt_i16_e32 0x7f, v12
	s_xor_b32 s30, exec_lo, s30
	s_cbranch_execnz .LBB4_4864
; %bb.4635:                             ;   in Loop: Header=BB4_4582 Depth=3
	s_or_saveexec_b32 s30, s30
	v_mov_b32_e32 v85, s29
	s_xor_b32 exec_lo, exec_lo, s30
	s_cbranch_execnz .LBB4_4867
.LBB4_4636:                             ;   in Loop: Header=BB4_4582 Depth=3
	s_or_b32 exec_lo, exec_lo, s30
	s_and_saveexec_b32 s29, s14
	s_cbranch_execz .LBB4_4638
.LBB4_4637:                             ;   in Loop: Header=BB4_4582 Depth=3
	v_bfe_u32 v85, v8, 24, 3
	s_delay_alu instid0(VALU_DEP_1) | instskip(NEXT) | instid1(VALU_DEP_1)
	v_clz_i32_u32_e32 v149, v85
	v_min_u32_e32 v149, 32, v149
	s_delay_alu instid0(VALU_DEP_1) | instskip(SKIP_1) | instid1(VALU_DEP_2)
	v_subrev_nc_u32_e32 v150, 28, v149
	v_sub_nc_u32_e32 v149, 29, v149
	v_lshlrev_b32_e32 v12, v150, v12
	v_bfe_u32 v150, v8, 27, 4
	v_and_b32_e32 v8, 0x80000000, v8
	s_delay_alu instid0(VALU_DEP_3) | instskip(NEXT) | instid1(VALU_DEP_3)
	v_and_b32_e32 v12, 7, v12
	v_cmp_eq_u32_e64 s13, 0, v150
	s_delay_alu instid0(VALU_DEP_1) | instskip(NEXT) | instid1(VALU_DEP_3)
	v_cndmask_b32_e64 v149, v150, v149, s13
	v_cndmask_b32_e64 v12, v85, v12, s13
	s_delay_alu instid0(VALU_DEP_2) | instskip(NEXT) | instid1(VALU_DEP_2)
	v_lshl_add_u32 v85, v149, 23, 0x3b800000
	v_lshlrev_b32_e32 v12, 20, v12
	s_delay_alu instid0(VALU_DEP_1)
	v_or3_b32 v85, v8, v85, v12
.LBB4_4638:                             ;   in Loop: Header=BB4_4582 Depth=3
	s_or_b32 exec_lo, exec_lo, s29
	s_delay_alu instid0(VALU_DEP_1) | instskip(NEXT) | instid1(VALU_DEP_1)
	v_add_f32_e32 v12, v84, v85
	v_and_b32_e32 v8, 0x7f800000, v12
	s_delay_alu instid0(VALU_DEP_1) | instskip(SKIP_1) | instid1(VALU_DEP_2)
	v_cmp_ne_u32_e64 s13, 0x7f800000, v8
	v_mov_b32_e32 v8, 0x80
	s_and_saveexec_b32 s29, s13
	s_cbranch_execz .LBB4_4646
; %bb.4639:                             ;   in Loop: Header=BB4_4582 Depth=3
	v_mov_b32_e32 v8, 0
	s_mov_b32 s30, exec_lo
	v_cmpx_ne_u32_e32 0, v12
	s_cbranch_execz .LBB4_4645
; %bb.4640:                             ;   in Loop: Header=BB4_4582 Depth=3
	v_bfe_u32 v8, v12, 23, 8
	v_and_b32_e32 v84, 0x7fffff, v12
	s_delay_alu instid0(VALU_DEP_2) | instskip(SKIP_1) | instid1(VALU_DEP_3)
	v_sub_nc_u32_e32 v85, 0x78, v8
	v_cmp_gt_u32_e64 s13, 0x79, v8
	v_or_b32_e32 v149, 0x800000, v84
	s_delay_alu instid0(VALU_DEP_2) | instskip(SKIP_2) | instid1(VALU_DEP_2)
	v_cndmask_b32_e64 v85, 0, v85, s13
	v_cmp_eq_u32_e64 s13, 0, v8
	v_add_nc_u32_e32 v8, 0xffffff89, v8
	v_cndmask_b32_e64 v85, v85, 0x77, s13
	v_cndmask_b32_e64 v84, v149, v84, s13
	s_delay_alu instid0(VALU_DEP_3) | instskip(NEXT) | instid1(VALU_DEP_3)
	v_cndmask_b32_e64 v8, v8, 0xffffff8a, s13
	v_lshl_add_u32 v149, 0x100000, v85, -1
	s_delay_alu instid0(VALU_DEP_3) | instskip(SKIP_1) | instid1(VALU_DEP_4)
	v_lshrrev_b32_e32 v150, v85, v84
	v_lshlrev_b32_e64 v160, v85, 0x80000
	v_add_nc_u32_e32 v85, v85, v8
	s_delay_alu instid0(VALU_DEP_4) | instskip(NEXT) | instid1(VALU_DEP_4)
	v_and_b32_e32 v84, v149, v84
	v_bfe_u32 v151, v150, 20, 1
	s_delay_alu instid0(VALU_DEP_2) | instskip(NEXT) | instid1(VALU_DEP_2)
	v_cmp_eq_u32_e64 s14, v84, v160
	v_add_nc_u32_e32 v149, -1, v151
	s_delay_alu instid0(VALU_DEP_1) | instskip(SKIP_2) | instid1(VALU_DEP_2)
	v_cndmask_b32_e64 v84, 0, v149, s14
	v_lshrrev_b32_e32 v149, 23, v150
	s_mov_b32 s14, exec_lo
	v_add_nc_u32_e32 v84, v84, v150
	s_delay_alu instid0(VALU_DEP_2) | instskip(NEXT) | instid1(VALU_DEP_2)
	v_xor_b32_e32 v149, 1, v149
	v_and_b32_e32 v8, 0xfffff, v84
	s_delay_alu instid0(VALU_DEP_1) | instskip(NEXT) | instid1(VALU_DEP_3)
	v_add_nc_u32_e32 v84, v8, v150
                                        ; implicit-def: $vgpr8
	v_cmpx_ne_u32_e64 v85, v149
	s_xor_b32 s14, exec_lo, s14
; %bb.4641:                             ;   in Loop: Header=BB4_4582 Depth=3
	s_delay_alu instid0(VALU_DEP_2) | instskip(SKIP_1) | instid1(VALU_DEP_2)
	v_cmp_lt_u32_e64 s13, 0xffffff, v84
	v_sub_nc_u32_e32 v8, v85, v149
	v_cndmask_b32_e64 v85, 0, 1, s13
	s_delay_alu instid0(VALU_DEP_2) | instskip(NEXT) | instid1(VALU_DEP_2)
	v_add_co_ci_u32_e64 v8, s13, 0, v8, s13
	v_lshrrev_b32_e32 v84, v85, v84
; %bb.4642:                             ;   in Loop: Header=BB4_4582 Depth=3
	s_and_not1_saveexec_b32 s13, s14
; %bb.4643:                             ;   in Loop: Header=BB4_4582 Depth=3
	s_delay_alu instid0(VALU_DEP_1)
	v_bfe_u32 v8, v84, 23, 1
; %bb.4644:                             ;   in Loop: Header=BB4_4582 Depth=3
	s_or_b32 exec_lo, exec_lo, s13
	v_lshrrev_b32_e32 v84, 20, v84
	s_delay_alu instid0(VALU_DEP_2) | instskip(SKIP_2) | instid1(VALU_DEP_3)
	v_cmp_gt_i32_e64 s13, 16, v8
	v_lshrrev_b32_e32 v12, 24, v12
	v_min_i32_e32 v85, 15, v8
	v_cndmask_b32_e64 v84, 7, v84, s13
	s_delay_alu instid0(VALU_DEP_3) | instskip(NEXT) | instid1(VALU_DEP_3)
	v_and_b32_e32 v12, 0x80, v12
	v_lshlrev_b32_e32 v85, 3, v85
	s_delay_alu instid0(VALU_DEP_3) | instskip(SKIP_1) | instid1(VALU_DEP_2)
	v_and_b32_e32 v149, 7, v84
	v_or_b32_e32 v8, v8, v84
	v_or3_b32 v12, v85, v12, v149
	s_delay_alu instid0(VALU_DEP_2) | instskip(NEXT) | instid1(VALU_DEP_1)
	v_cmp_ne_u32_e64 s13, 0, v8
	v_cndmask_b32_e64 v8, 0, v12, s13
.LBB4_4645:                             ;   in Loop: Header=BB4_4582 Depth=3
	s_or_b32 exec_lo, exec_lo, s30
.LBB4_4646:                             ;   in Loop: Header=BB4_4582 Depth=3
	s_delay_alu instid0(SALU_CYCLE_1) | instskip(SKIP_3) | instid1(VALU_DEP_1)
	s_or_b32 exec_lo, exec_lo, s29
	v_and_b32_e32 v84, 0xff, v13
	s_mov_b32 s14, 0
	s_mov_b32 s30, exec_lo
                                        ; implicit-def: $sgpr29
	v_cmpx_lt_i16_e32 0x7f, v84
	s_xor_b32 s30, exec_lo, s30
	s_cbranch_execnz .LBB4_4868
; %bb.4647:                             ;   in Loop: Header=BB4_4582 Depth=3
	s_or_saveexec_b32 s30, s30
	v_mov_b32_e32 v12, s29
	s_xor_b32 exec_lo, exec_lo, s30
	s_cbranch_execnz .LBB4_4871
.LBB4_4648:                             ;   in Loop: Header=BB4_4582 Depth=3
	s_or_b32 exec_lo, exec_lo, s30
	s_and_saveexec_b32 s29, s14
	s_cbranch_execz .LBB4_4650
.LBB4_4649:                             ;   in Loop: Header=BB4_4582 Depth=3
	v_and_b32_e32 v12, 7, v13
	v_bfe_u32 v149, v13, 3, 4
	v_lshlrev_b32_e32 v150, 24, v13
	s_delay_alu instid0(VALU_DEP_3) | instskip(NEXT) | instid1(VALU_DEP_3)
	v_clz_i32_u32_e32 v84, v12
	v_cmp_eq_u32_e64 s13, 0, v149
	s_delay_alu instid0(VALU_DEP_2) | instskip(NEXT) | instid1(VALU_DEP_1)
	v_min_u32_e32 v84, 32, v84
	v_subrev_nc_u32_e32 v85, 28, v84
	v_sub_nc_u32_e32 v84, 29, v84
	s_delay_alu instid0(VALU_DEP_2) | instskip(NEXT) | instid1(VALU_DEP_2)
	v_lshlrev_b32_e32 v85, v85, v13
	v_cndmask_b32_e64 v84, v149, v84, s13
	s_delay_alu instid0(VALU_DEP_2) | instskip(NEXT) | instid1(VALU_DEP_2)
	v_and_b32_e32 v85, 7, v85
	v_lshl_add_u32 v84, v84, 23, 0x3b800000
	s_delay_alu instid0(VALU_DEP_2) | instskip(SKIP_1) | instid1(VALU_DEP_2)
	v_cndmask_b32_e64 v12, v12, v85, s13
	v_and_b32_e32 v85, 0x80000000, v150
	v_lshlrev_b32_e32 v12, 20, v12
	s_delay_alu instid0(VALU_DEP_1)
	v_or3_b32 v12, v85, v84, v12
.LBB4_4650:                             ;   in Loop: Header=BB4_4582 Depth=3
	s_or_b32 exec_lo, exec_lo, s29
	v_and_b32_e32 v85, 0xff, v9
	s_mov_b32 s14, 0
	s_mov_b32 s30, exec_lo
                                        ; implicit-def: $sgpr29
	s_delay_alu instid0(VALU_DEP_1)
	v_cmpx_lt_i16_e32 0x7f, v85
	s_xor_b32 s30, exec_lo, s30
	s_cbranch_execnz .LBB4_4872
; %bb.4651:                             ;   in Loop: Header=BB4_4582 Depth=3
	s_or_saveexec_b32 s30, s30
	v_mov_b32_e32 v84, s29
	s_xor_b32 exec_lo, exec_lo, s30
	s_cbranch_execnz .LBB4_4875
.LBB4_4652:                             ;   in Loop: Header=BB4_4582 Depth=3
	s_or_b32 exec_lo, exec_lo, s30
	s_and_saveexec_b32 s29, s14
	s_cbranch_execz .LBB4_4654
.LBB4_4653:                             ;   in Loop: Header=BB4_4582 Depth=3
	v_and_b32_e32 v84, 7, v9
	v_bfe_u32 v150, v9, 3, 4
	v_lshlrev_b32_e32 v151, 24, v9
	s_delay_alu instid0(VALU_DEP_3) | instskip(NEXT) | instid1(VALU_DEP_3)
	v_clz_i32_u32_e32 v85, v84
	v_cmp_eq_u32_e64 s13, 0, v150
	s_delay_alu instid0(VALU_DEP_2) | instskip(NEXT) | instid1(VALU_DEP_1)
	v_min_u32_e32 v85, 32, v85
	v_subrev_nc_u32_e32 v149, 28, v85
	v_sub_nc_u32_e32 v85, 29, v85
	s_delay_alu instid0(VALU_DEP_2) | instskip(NEXT) | instid1(VALU_DEP_2)
	v_lshlrev_b32_e32 v149, v149, v9
	v_cndmask_b32_e64 v85, v150, v85, s13
	s_delay_alu instid0(VALU_DEP_2) | instskip(NEXT) | instid1(VALU_DEP_2)
	v_and_b32_e32 v149, 7, v149
	v_lshl_add_u32 v85, v85, 23, 0x3b800000
	s_delay_alu instid0(VALU_DEP_2) | instskip(SKIP_1) | instid1(VALU_DEP_2)
	v_cndmask_b32_e64 v84, v84, v149, s13
	v_and_b32_e32 v149, 0x80000000, v151
	v_lshlrev_b32_e32 v84, 20, v84
	s_delay_alu instid0(VALU_DEP_1)
	v_or3_b32 v84, v149, v85, v84
.LBB4_4654:                             ;   in Loop: Header=BB4_4582 Depth=3
	s_or_b32 exec_lo, exec_lo, s29
	s_delay_alu instid0(VALU_DEP_1) | instskip(NEXT) | instid1(VALU_DEP_1)
	v_add_f32_e32 v84, v12, v84
	v_and_b32_e32 v12, 0x7f800000, v84
	s_delay_alu instid0(VALU_DEP_1) | instskip(SKIP_1) | instid1(VALU_DEP_2)
	v_cmp_ne_u32_e64 s13, 0x7f800000, v12
	v_mov_b32_e32 v12, 0x80
	s_and_saveexec_b32 s29, s13
	s_cbranch_execz .LBB4_4662
; %bb.4655:                             ;   in Loop: Header=BB4_4582 Depth=3
	v_mov_b32_e32 v12, 0
	s_mov_b32 s30, exec_lo
	v_cmpx_ne_u32_e32 0, v84
	s_cbranch_execz .LBB4_4661
; %bb.4656:                             ;   in Loop: Header=BB4_4582 Depth=3
	v_bfe_u32 v12, v84, 23, 8
	v_and_b32_e32 v85, 0x7fffff, v84
	s_delay_alu instid0(VALU_DEP_2) | instskip(SKIP_1) | instid1(VALU_DEP_3)
	v_sub_nc_u32_e32 v149, 0x78, v12
	v_cmp_gt_u32_e64 s13, 0x79, v12
	v_or_b32_e32 v150, 0x800000, v85
	s_delay_alu instid0(VALU_DEP_2) | instskip(SKIP_2) | instid1(VALU_DEP_2)
	v_cndmask_b32_e64 v149, 0, v149, s13
	v_cmp_eq_u32_e64 s13, 0, v12
	v_add_nc_u32_e32 v12, 0xffffff89, v12
	v_cndmask_b32_e64 v149, v149, 0x77, s13
	v_cndmask_b32_e64 v85, v150, v85, s13
	s_delay_alu instid0(VALU_DEP_3) | instskip(NEXT) | instid1(VALU_DEP_3)
	v_cndmask_b32_e64 v12, v12, 0xffffff8a, s13
	v_lshl_add_u32 v150, 0x100000, v149, -1
	s_delay_alu instid0(VALU_DEP_3) | instskip(SKIP_1) | instid1(VALU_DEP_4)
	v_lshrrev_b32_e32 v151, v149, v85
	v_lshlrev_b32_e64 v161, v149, 0x80000
	v_add_nc_u32_e32 v149, v149, v12
	s_delay_alu instid0(VALU_DEP_4) | instskip(NEXT) | instid1(VALU_DEP_4)
	v_and_b32_e32 v85, v150, v85
	v_bfe_u32 v160, v151, 20, 1
	s_delay_alu instid0(VALU_DEP_2) | instskip(NEXT) | instid1(VALU_DEP_2)
	v_cmp_eq_u32_e64 s14, v85, v161
	v_add_nc_u32_e32 v150, -1, v160
	s_delay_alu instid0(VALU_DEP_1) | instskip(SKIP_2) | instid1(VALU_DEP_2)
	v_cndmask_b32_e64 v85, 0, v150, s14
	v_lshrrev_b32_e32 v150, 23, v151
	s_mov_b32 s14, exec_lo
	v_add_nc_u32_e32 v85, v85, v151
	s_delay_alu instid0(VALU_DEP_2) | instskip(NEXT) | instid1(VALU_DEP_2)
	v_xor_b32_e32 v150, 1, v150
	v_and_b32_e32 v12, 0xfffff, v85
	s_delay_alu instid0(VALU_DEP_1) | instskip(NEXT) | instid1(VALU_DEP_3)
	v_add_nc_u32_e32 v85, v12, v151
                                        ; implicit-def: $vgpr12
	v_cmpx_ne_u32_e64 v149, v150
	s_xor_b32 s14, exec_lo, s14
; %bb.4657:                             ;   in Loop: Header=BB4_4582 Depth=3
	s_delay_alu instid0(VALU_DEP_2) | instskip(SKIP_1) | instid1(VALU_DEP_2)
	v_cmp_lt_u32_e64 s13, 0xffffff, v85
	v_sub_nc_u32_e32 v12, v149, v150
	v_cndmask_b32_e64 v149, 0, 1, s13
	s_delay_alu instid0(VALU_DEP_2) | instskip(NEXT) | instid1(VALU_DEP_2)
	v_add_co_ci_u32_e64 v12, s13, 0, v12, s13
	v_lshrrev_b32_e32 v85, v149, v85
; %bb.4658:                             ;   in Loop: Header=BB4_4582 Depth=3
	s_and_not1_saveexec_b32 s13, s14
; %bb.4659:                             ;   in Loop: Header=BB4_4582 Depth=3
	s_delay_alu instid0(VALU_DEP_1)
	v_bfe_u32 v12, v85, 23, 1
; %bb.4660:                             ;   in Loop: Header=BB4_4582 Depth=3
	s_or_b32 exec_lo, exec_lo, s13
	v_lshrrev_b32_e32 v85, 20, v85
	s_delay_alu instid0(VALU_DEP_2) | instskip(SKIP_2) | instid1(VALU_DEP_3)
	v_cmp_gt_i32_e64 s13, 16, v12
	v_lshrrev_b32_e32 v84, 24, v84
	v_min_i32_e32 v149, 15, v12
	v_cndmask_b32_e64 v85, 7, v85, s13
	s_delay_alu instid0(VALU_DEP_3) | instskip(NEXT) | instid1(VALU_DEP_3)
	v_and_b32_e32 v84, 0x80, v84
	v_lshlrev_b32_e32 v149, 3, v149
	s_delay_alu instid0(VALU_DEP_3) | instskip(SKIP_1) | instid1(VALU_DEP_2)
	v_and_b32_e32 v150, 7, v85
	v_or_b32_e32 v12, v12, v85
	v_or3_b32 v84, v149, v84, v150
	s_delay_alu instid0(VALU_DEP_2) | instskip(NEXT) | instid1(VALU_DEP_1)
	v_cmp_ne_u32_e64 s13, 0, v12
	v_cndmask_b32_e64 v12, 0, v84, s13
.LBB4_4661:                             ;   in Loop: Header=BB4_4582 Depth=3
	s_or_b32 exec_lo, exec_lo, s30
.LBB4_4662:                             ;   in Loop: Header=BB4_4582 Depth=3
	s_delay_alu instid0(SALU_CYCLE_1) | instskip(SKIP_3) | instid1(VALU_DEP_1)
	s_or_b32 exec_lo, exec_lo, s29
	v_lshrrev_b16 v85, 8, v13
	s_mov_b32 s14, 0
	s_mov_b32 s30, exec_lo
                                        ; implicit-def: $sgpr29
	v_cmpx_lt_i16_e32 0x7f, v85
	s_xor_b32 s30, exec_lo, s30
	s_cbranch_execnz .LBB4_4876
; %bb.4663:                             ;   in Loop: Header=BB4_4582 Depth=3
	s_or_saveexec_b32 s30, s30
	v_mov_b32_e32 v84, s29
	s_xor_b32 exec_lo, exec_lo, s30
	s_cbranch_execnz .LBB4_4879
.LBB4_4664:                             ;   in Loop: Header=BB4_4582 Depth=3
	s_or_b32 exec_lo, exec_lo, s30
	s_and_saveexec_b32 s29, s14
	s_cbranch_execz .LBB4_4666
.LBB4_4665:                             ;   in Loop: Header=BB4_4582 Depth=3
	v_and_b32_e32 v84, 0xffff, v85
	v_lshlrev_b32_e32 v85, 24, v85
	s_delay_alu instid0(VALU_DEP_2) | instskip(NEXT) | instid1(VALU_DEP_2)
	v_and_b32_e32 v149, 7, v84
	v_and_b32_e32 v85, 0x80000000, v85
	s_delay_alu instid0(VALU_DEP_2) | instskip(NEXT) | instid1(VALU_DEP_1)
	v_clz_i32_u32_e32 v150, v149
	v_min_u32_e32 v150, 32, v150
	s_delay_alu instid0(VALU_DEP_1) | instskip(SKIP_1) | instid1(VALU_DEP_2)
	v_subrev_nc_u32_e32 v151, 28, v150
	v_sub_nc_u32_e32 v150, 29, v150
	v_lshlrev_b32_e32 v151, v151, v84
	v_bfe_u32 v84, v84, 3, 4
	s_delay_alu instid0(VALU_DEP_2) | instskip(NEXT) | instid1(VALU_DEP_2)
	v_and_b32_e32 v151, 7, v151
	v_cmp_eq_u32_e64 s13, 0, v84
	s_delay_alu instid0(VALU_DEP_1) | instskip(NEXT) | instid1(VALU_DEP_3)
	v_cndmask_b32_e64 v84, v84, v150, s13
	v_cndmask_b32_e64 v149, v149, v151, s13
	s_delay_alu instid0(VALU_DEP_2) | instskip(NEXT) | instid1(VALU_DEP_2)
	v_lshl_add_u32 v84, v84, 23, 0x3b800000
	v_lshlrev_b32_e32 v149, 20, v149
	s_delay_alu instid0(VALU_DEP_1)
	v_or3_b32 v84, v85, v84, v149
.LBB4_4666:                             ;   in Loop: Header=BB4_4582 Depth=3
	s_or_b32 exec_lo, exec_lo, s29
	v_lshrrev_b16 v85, 8, v9
	s_mov_b32 s14, 0
	s_mov_b32 s30, exec_lo
                                        ; implicit-def: $sgpr29
	s_delay_alu instid0(VALU_DEP_1)
	v_cmpx_lt_i16_e32 0x7f, v85
	s_xor_b32 s30, exec_lo, s30
	s_cbranch_execnz .LBB4_4880
; %bb.4667:                             ;   in Loop: Header=BB4_4582 Depth=3
	s_or_saveexec_b32 s30, s30
	v_mov_b32_e32 v149, s29
	s_xor_b32 exec_lo, exec_lo, s30
	s_cbranch_execnz .LBB4_4883
.LBB4_4668:                             ;   in Loop: Header=BB4_4582 Depth=3
	s_or_b32 exec_lo, exec_lo, s30
	s_and_saveexec_b32 s29, s14
	s_cbranch_execz .LBB4_4670
.LBB4_4669:                             ;   in Loop: Header=BB4_4582 Depth=3
	v_and_b32_e32 v149, 0xffff, v85
	v_lshlrev_b32_e32 v85, 24, v85
	s_delay_alu instid0(VALU_DEP_2) | instskip(NEXT) | instid1(VALU_DEP_2)
	v_and_b32_e32 v150, 7, v149
	v_and_b32_e32 v85, 0x80000000, v85
	s_delay_alu instid0(VALU_DEP_2) | instskip(NEXT) | instid1(VALU_DEP_1)
	v_clz_i32_u32_e32 v151, v150
	v_min_u32_e32 v151, 32, v151
	s_delay_alu instid0(VALU_DEP_1) | instskip(SKIP_1) | instid1(VALU_DEP_2)
	v_subrev_nc_u32_e32 v160, 28, v151
	v_sub_nc_u32_e32 v151, 29, v151
	v_lshlrev_b32_e32 v160, v160, v149
	v_bfe_u32 v149, v149, 3, 4
	s_delay_alu instid0(VALU_DEP_2) | instskip(NEXT) | instid1(VALU_DEP_2)
	v_and_b32_e32 v160, 7, v160
	v_cmp_eq_u32_e64 s13, 0, v149
	s_delay_alu instid0(VALU_DEP_1) | instskip(NEXT) | instid1(VALU_DEP_3)
	v_cndmask_b32_e64 v149, v149, v151, s13
	v_cndmask_b32_e64 v150, v150, v160, s13
	s_delay_alu instid0(VALU_DEP_2) | instskip(NEXT) | instid1(VALU_DEP_2)
	v_lshl_add_u32 v149, v149, 23, 0x3b800000
	v_lshlrev_b32_e32 v150, 20, v150
	s_delay_alu instid0(VALU_DEP_1)
	v_or3_b32 v149, v85, v149, v150
.LBB4_4670:                             ;   in Loop: Header=BB4_4582 Depth=3
	s_or_b32 exec_lo, exec_lo, s29
	s_delay_alu instid0(VALU_DEP_1) | instskip(NEXT) | instid1(VALU_DEP_1)
	v_add_f32_e32 v85, v84, v149
	v_and_b32_e32 v84, 0x7f800000, v85
	s_delay_alu instid0(VALU_DEP_1) | instskip(SKIP_1) | instid1(VALU_DEP_2)
	v_cmp_ne_u32_e64 s13, 0x7f800000, v84
	v_mov_b32_e32 v84, 0x8000
	s_and_saveexec_b32 s29, s13
	s_cbranch_execz .LBB4_4678
; %bb.4671:                             ;   in Loop: Header=BB4_4582 Depth=3
	v_mov_b32_e32 v84, 0
	s_mov_b32 s30, exec_lo
	v_cmpx_ne_u32_e32 0, v85
	s_cbranch_execz .LBB4_4677
; %bb.4672:                             ;   in Loop: Header=BB4_4582 Depth=3
	v_bfe_u32 v84, v85, 23, 8
	v_and_b32_e32 v149, 0x7fffff, v85
	s_delay_alu instid0(VALU_DEP_2) | instskip(SKIP_1) | instid1(VALU_DEP_3)
	v_sub_nc_u32_e32 v150, 0x78, v84
	v_cmp_gt_u32_e64 s13, 0x79, v84
	v_or_b32_e32 v151, 0x800000, v149
	s_delay_alu instid0(VALU_DEP_2) | instskip(SKIP_2) | instid1(VALU_DEP_2)
	v_cndmask_b32_e64 v150, 0, v150, s13
	v_cmp_eq_u32_e64 s13, 0, v84
	v_add_nc_u32_e32 v84, 0xffffff89, v84
	v_cndmask_b32_e64 v150, v150, 0x77, s13
	v_cndmask_b32_e64 v149, v151, v149, s13
	s_delay_alu instid0(VALU_DEP_3) | instskip(NEXT) | instid1(VALU_DEP_3)
	v_cndmask_b32_e64 v84, v84, 0xffffff8a, s13
	v_lshl_add_u32 v151, 0x100000, v150, -1
	s_delay_alu instid0(VALU_DEP_3) | instskip(SKIP_1) | instid1(VALU_DEP_4)
	v_lshrrev_b32_e32 v160, v150, v149
	v_lshlrev_b32_e64 v162, v150, 0x80000
	v_add_nc_u32_e32 v150, v150, v84
	s_delay_alu instid0(VALU_DEP_4) | instskip(NEXT) | instid1(VALU_DEP_4)
	v_and_b32_e32 v149, v151, v149
	v_bfe_u32 v161, v160, 20, 1
	s_delay_alu instid0(VALU_DEP_2) | instskip(NEXT) | instid1(VALU_DEP_2)
	v_cmp_eq_u32_e64 s14, v149, v162
	v_add_nc_u32_e32 v151, -1, v161
	s_delay_alu instid0(VALU_DEP_1) | instskip(SKIP_2) | instid1(VALU_DEP_2)
	v_cndmask_b32_e64 v149, 0, v151, s14
	v_lshrrev_b32_e32 v151, 23, v160
	s_mov_b32 s14, exec_lo
	v_add_nc_u32_e32 v149, v149, v160
	s_delay_alu instid0(VALU_DEP_2) | instskip(NEXT) | instid1(VALU_DEP_2)
	v_xor_b32_e32 v151, 1, v151
	v_and_b32_e32 v84, 0xfffff, v149
	s_delay_alu instid0(VALU_DEP_1) | instskip(NEXT) | instid1(VALU_DEP_3)
	v_add_nc_u32_e32 v149, v84, v160
                                        ; implicit-def: $vgpr84
	v_cmpx_ne_u32_e64 v150, v151
	s_xor_b32 s14, exec_lo, s14
; %bb.4673:                             ;   in Loop: Header=BB4_4582 Depth=3
	s_delay_alu instid0(VALU_DEP_2) | instskip(SKIP_1) | instid1(VALU_DEP_2)
	v_cmp_lt_u32_e64 s13, 0xffffff, v149
	v_sub_nc_u32_e32 v84, v150, v151
	v_cndmask_b32_e64 v150, 0, 1, s13
	s_delay_alu instid0(VALU_DEP_2) | instskip(NEXT) | instid1(VALU_DEP_2)
	v_add_co_ci_u32_e64 v84, s13, 0, v84, s13
	v_lshrrev_b32_e32 v149, v150, v149
; %bb.4674:                             ;   in Loop: Header=BB4_4582 Depth=3
	s_and_not1_saveexec_b32 s13, s14
; %bb.4675:                             ;   in Loop: Header=BB4_4582 Depth=3
	s_delay_alu instid0(VALU_DEP_1)
	v_bfe_u32 v84, v149, 23, 1
; %bb.4676:                             ;   in Loop: Header=BB4_4582 Depth=3
	s_or_b32 exec_lo, exec_lo, s13
	v_lshrrev_b32_e32 v149, 20, v149
	s_delay_alu instid0(VALU_DEP_2) | instskip(SKIP_2) | instid1(VALU_DEP_3)
	v_min_i32_e32 v150, 15, v84
	v_cmp_gt_i32_e64 s13, 16, v84
	v_lshrrev_b32_e32 v85, 24, v85
	v_lshlrev_b32_e32 v150, 3, v150
	s_delay_alu instid0(VALU_DEP_3) | instskip(NEXT) | instid1(VALU_DEP_3)
	v_cndmask_b32_e64 v149, 7, v149, s13
	v_and_b32_e32 v85, 0x80, v85
	s_delay_alu instid0(VALU_DEP_3) | instskip(NEXT) | instid1(VALU_DEP_3)
	v_and_b32_e32 v150, 0xf8, v150
	v_and_b32_e32 v151, 7, v149
	v_or_b32_e32 v84, v84, v149
	s_delay_alu instid0(VALU_DEP_2) | instskip(NEXT) | instid1(VALU_DEP_2)
	v_or3_b32 v85, v85, v150, v151
	v_cmp_ne_u32_e64 s13, 0, v84
	s_delay_alu instid0(VALU_DEP_2) | instskip(NEXT) | instid1(VALU_DEP_1)
	v_lshlrev_b32_e32 v85, 8, v85
	v_cndmask_b32_e64 v84, 0, v85, s13
.LBB4_4677:                             ;   in Loop: Header=BB4_4582 Depth=3
	s_or_b32 exec_lo, exec_lo, s30
.LBB4_4678:                             ;   in Loop: Header=BB4_4582 Depth=3
	s_delay_alu instid0(SALU_CYCLE_1) | instskip(SKIP_3) | instid1(VALU_DEP_1)
	s_or_b32 exec_lo, exec_lo, s29
	v_lshrrev_b32_e32 v149, 16, v13
	s_mov_b32 s14, 0
	s_mov_b32 s30, exec_lo
                                        ; implicit-def: $sgpr29
	v_and_b32_e32 v150, 0xff, v149
	s_delay_alu instid0(VALU_DEP_1)
	v_cmpx_lt_i16_e64 0x7f, v150
	s_xor_b32 s30, exec_lo, s30
	s_cbranch_execnz .LBB4_4884
; %bb.4679:                             ;   in Loop: Header=BB4_4582 Depth=3
	s_or_saveexec_b32 s30, s30
	v_mov_b32_e32 v85, s29
	s_xor_b32 exec_lo, exec_lo, s30
	s_cbranch_execnz .LBB4_4887
.LBB4_4680:                             ;   in Loop: Header=BB4_4582 Depth=3
	s_or_b32 exec_lo, exec_lo, s30
	s_and_saveexec_b32 s29, s14
	s_cbranch_execz .LBB4_4682
.LBB4_4681:                             ;   in Loop: Header=BB4_4582 Depth=3
	v_bfe_u32 v85, v13, 16, 3
	v_lshlrev_b32_e32 v160, 8, v13
	s_delay_alu instid0(VALU_DEP_2) | instskip(NEXT) | instid1(VALU_DEP_1)
	v_clz_i32_u32_e32 v150, v85
	v_min_u32_e32 v150, 32, v150
	s_delay_alu instid0(VALU_DEP_1) | instskip(SKIP_1) | instid1(VALU_DEP_2)
	v_subrev_nc_u32_e32 v151, 28, v150
	v_sub_nc_u32_e32 v150, 29, v150
	v_lshlrev_b32_e32 v149, v151, v149
	v_bfe_u32 v151, v13, 19, 4
	s_delay_alu instid0(VALU_DEP_2) | instskip(NEXT) | instid1(VALU_DEP_2)
	v_and_b32_e32 v149, 7, v149
	v_cmp_eq_u32_e64 s13, 0, v151
	s_delay_alu instid0(VALU_DEP_1) | instskip(NEXT) | instid1(VALU_DEP_3)
	v_cndmask_b32_e64 v150, v151, v150, s13
	v_cndmask_b32_e64 v85, v85, v149, s13
	v_and_b32_e32 v149, 0x80000000, v160
	s_delay_alu instid0(VALU_DEP_3) | instskip(NEXT) | instid1(VALU_DEP_3)
	v_lshl_add_u32 v150, v150, 23, 0x3b800000
	v_lshlrev_b32_e32 v85, 20, v85
	s_delay_alu instid0(VALU_DEP_1)
	v_or3_b32 v85, v149, v150, v85
.LBB4_4682:                             ;   in Loop: Header=BB4_4582 Depth=3
	s_or_b32 exec_lo, exec_lo, s29
	v_lshrrev_b32_e32 v149, 16, v9
	s_mov_b32 s14, 0
	s_mov_b32 s30, exec_lo
                                        ; implicit-def: $sgpr29
	s_delay_alu instid0(VALU_DEP_1) | instskip(NEXT) | instid1(VALU_DEP_1)
	v_and_b32_e32 v151, 0xff, v149
	v_cmpx_lt_i16_e64 0x7f, v151
	s_xor_b32 s30, exec_lo, s30
	s_cbranch_execnz .LBB4_4888
; %bb.4683:                             ;   in Loop: Header=BB4_4582 Depth=3
	s_or_saveexec_b32 s30, s30
	v_mov_b32_e32 v150, s29
	s_xor_b32 exec_lo, exec_lo, s30
	s_cbranch_execnz .LBB4_4891
.LBB4_4684:                             ;   in Loop: Header=BB4_4582 Depth=3
	s_or_b32 exec_lo, exec_lo, s30
	s_and_saveexec_b32 s29, s14
	s_cbranch_execz .LBB4_4686
.LBB4_4685:                             ;   in Loop: Header=BB4_4582 Depth=3
	v_bfe_u32 v150, v9, 16, 3
	v_lshlrev_b32_e32 v161, 8, v9
	s_delay_alu instid0(VALU_DEP_2) | instskip(NEXT) | instid1(VALU_DEP_1)
	v_clz_i32_u32_e32 v151, v150
	v_min_u32_e32 v151, 32, v151
	s_delay_alu instid0(VALU_DEP_1) | instskip(SKIP_1) | instid1(VALU_DEP_2)
	v_subrev_nc_u32_e32 v160, 28, v151
	v_sub_nc_u32_e32 v151, 29, v151
	v_lshlrev_b32_e32 v149, v160, v149
	v_bfe_u32 v160, v9, 19, 4
	s_delay_alu instid0(VALU_DEP_2) | instskip(NEXT) | instid1(VALU_DEP_2)
	v_and_b32_e32 v149, 7, v149
	v_cmp_eq_u32_e64 s13, 0, v160
	s_delay_alu instid0(VALU_DEP_1) | instskip(NEXT) | instid1(VALU_DEP_3)
	v_cndmask_b32_e64 v151, v160, v151, s13
	v_cndmask_b32_e64 v149, v150, v149, s13
	v_and_b32_e32 v150, 0x80000000, v161
	s_delay_alu instid0(VALU_DEP_3) | instskip(NEXT) | instid1(VALU_DEP_3)
	v_lshl_add_u32 v151, v151, 23, 0x3b800000
	v_lshlrev_b32_e32 v149, 20, v149
	s_delay_alu instid0(VALU_DEP_1)
	v_or3_b32 v150, v150, v151, v149
.LBB4_4686:                             ;   in Loop: Header=BB4_4582 Depth=3
	s_or_b32 exec_lo, exec_lo, s29
	s_delay_alu instid0(VALU_DEP_1) | instskip(NEXT) | instid1(VALU_DEP_1)
	v_add_f32_e32 v149, v85, v150
	v_and_b32_e32 v85, 0x7f800000, v149
	s_delay_alu instid0(VALU_DEP_1) | instskip(SKIP_1) | instid1(VALU_DEP_2)
	v_cmp_ne_u32_e64 s13, 0x7f800000, v85
	v_mov_b32_e32 v85, 0x80
	s_and_saveexec_b32 s29, s13
	s_cbranch_execz .LBB4_4694
; %bb.4687:                             ;   in Loop: Header=BB4_4582 Depth=3
	v_mov_b32_e32 v85, 0
	s_mov_b32 s30, exec_lo
	v_cmpx_ne_u32_e32 0, v149
	s_cbranch_execz .LBB4_4693
; %bb.4688:                             ;   in Loop: Header=BB4_4582 Depth=3
	v_bfe_u32 v85, v149, 23, 8
	v_and_b32_e32 v150, 0x7fffff, v149
	s_delay_alu instid0(VALU_DEP_2) | instskip(SKIP_1) | instid1(VALU_DEP_3)
	v_sub_nc_u32_e32 v151, 0x78, v85
	v_cmp_gt_u32_e64 s13, 0x79, v85
	v_or_b32_e32 v160, 0x800000, v150
	s_delay_alu instid0(VALU_DEP_2) | instskip(SKIP_2) | instid1(VALU_DEP_2)
	v_cndmask_b32_e64 v151, 0, v151, s13
	v_cmp_eq_u32_e64 s13, 0, v85
	v_add_nc_u32_e32 v85, 0xffffff89, v85
	v_cndmask_b32_e64 v151, v151, 0x77, s13
	v_cndmask_b32_e64 v150, v160, v150, s13
	s_delay_alu instid0(VALU_DEP_3) | instskip(NEXT) | instid1(VALU_DEP_3)
	v_cndmask_b32_e64 v85, v85, 0xffffff8a, s13
	v_lshl_add_u32 v160, 0x100000, v151, -1
	s_delay_alu instid0(VALU_DEP_3) | instskip(SKIP_1) | instid1(VALU_DEP_4)
	v_lshrrev_b32_e32 v161, v151, v150
	v_lshlrev_b32_e64 v163, v151, 0x80000
	v_add_nc_u32_e32 v151, v151, v85
	s_delay_alu instid0(VALU_DEP_4) | instskip(NEXT) | instid1(VALU_DEP_4)
	v_and_b32_e32 v150, v160, v150
	v_bfe_u32 v162, v161, 20, 1
	s_delay_alu instid0(VALU_DEP_2) | instskip(NEXT) | instid1(VALU_DEP_2)
	v_cmp_eq_u32_e64 s14, v150, v163
	v_add_nc_u32_e32 v160, -1, v162
	s_delay_alu instid0(VALU_DEP_1) | instskip(SKIP_2) | instid1(VALU_DEP_2)
	v_cndmask_b32_e64 v150, 0, v160, s14
	v_lshrrev_b32_e32 v160, 23, v161
	s_mov_b32 s14, exec_lo
	v_add_nc_u32_e32 v150, v150, v161
	s_delay_alu instid0(VALU_DEP_2) | instskip(NEXT) | instid1(VALU_DEP_2)
	v_xor_b32_e32 v160, 1, v160
	v_and_b32_e32 v85, 0xfffff, v150
	s_delay_alu instid0(VALU_DEP_1) | instskip(NEXT) | instid1(VALU_DEP_3)
	v_add_nc_u32_e32 v150, v85, v161
                                        ; implicit-def: $vgpr85
	v_cmpx_ne_u32_e64 v151, v160
	s_xor_b32 s14, exec_lo, s14
; %bb.4689:                             ;   in Loop: Header=BB4_4582 Depth=3
	s_delay_alu instid0(VALU_DEP_2) | instskip(SKIP_1) | instid1(VALU_DEP_2)
	v_cmp_lt_u32_e64 s13, 0xffffff, v150
	v_sub_nc_u32_e32 v85, v151, v160
	v_cndmask_b32_e64 v151, 0, 1, s13
	s_delay_alu instid0(VALU_DEP_2) | instskip(NEXT) | instid1(VALU_DEP_2)
	v_add_co_ci_u32_e64 v85, s13, 0, v85, s13
	v_lshrrev_b32_e32 v150, v151, v150
; %bb.4690:                             ;   in Loop: Header=BB4_4582 Depth=3
	s_and_not1_saveexec_b32 s13, s14
; %bb.4691:                             ;   in Loop: Header=BB4_4582 Depth=3
	s_delay_alu instid0(VALU_DEP_1)
	v_bfe_u32 v85, v150, 23, 1
; %bb.4692:                             ;   in Loop: Header=BB4_4582 Depth=3
	s_or_b32 exec_lo, exec_lo, s13
	v_lshrrev_b32_e32 v150, 20, v150
	s_delay_alu instid0(VALU_DEP_2) | instskip(SKIP_2) | instid1(VALU_DEP_3)
	v_min_i32_e32 v151, 15, v85
	v_cmp_gt_i32_e64 s13, 16, v85
	v_lshrrev_b32_e32 v149, 24, v149
	v_lshlrev_b32_e32 v151, 3, v151
	s_delay_alu instid0(VALU_DEP_3) | instskip(NEXT) | instid1(VALU_DEP_3)
	v_cndmask_b32_e64 v150, 7, v150, s13
	v_and_b32_e32 v149, 0x80, v149
	s_delay_alu instid0(VALU_DEP_3) | instskip(NEXT) | instid1(VALU_DEP_3)
	v_and_b32_e32 v151, 0xf8, v151
	v_and_b32_e32 v160, 7, v150
	v_or_b32_e32 v85, v85, v150
	s_delay_alu instid0(VALU_DEP_2) | instskip(NEXT) | instid1(VALU_DEP_2)
	v_or3_b32 v149, v151, v149, v160
	v_cmp_ne_u32_e64 s13, 0, v85
	s_delay_alu instid0(VALU_DEP_1)
	v_cndmask_b32_e64 v85, 0, v149, s13
.LBB4_4693:                             ;   in Loop: Header=BB4_4582 Depth=3
	s_or_b32 exec_lo, exec_lo, s30
.LBB4_4694:                             ;   in Loop: Header=BB4_4582 Depth=3
	s_delay_alu instid0(SALU_CYCLE_1) | instskip(SKIP_3) | instid1(VALU_DEP_1)
	s_or_b32 exec_lo, exec_lo, s29
	v_lshrrev_b32_e32 v150, 24, v13
	s_mov_b32 s14, 0
	s_mov_b32 s30, exec_lo
                                        ; implicit-def: $sgpr29
	v_cmpx_lt_i16_e64 0x7f, v150
	s_xor_b32 s30, exec_lo, s30
	s_cbranch_execnz .LBB4_4892
; %bb.4695:                             ;   in Loop: Header=BB4_4582 Depth=3
	s_or_saveexec_b32 s30, s30
	v_mov_b32_e32 v149, s29
	s_xor_b32 exec_lo, exec_lo, s30
	s_cbranch_execnz .LBB4_4895
.LBB4_4696:                             ;   in Loop: Header=BB4_4582 Depth=3
	s_or_b32 exec_lo, exec_lo, s30
	s_and_saveexec_b32 s29, s14
	s_cbranch_execz .LBB4_4698
.LBB4_4697:                             ;   in Loop: Header=BB4_4582 Depth=3
	v_bfe_u32 v149, v13, 24, 3
	s_delay_alu instid0(VALU_DEP_1) | instskip(NEXT) | instid1(VALU_DEP_1)
	v_clz_i32_u32_e32 v151, v149
	v_min_u32_e32 v151, 32, v151
	s_delay_alu instid0(VALU_DEP_1) | instskip(SKIP_1) | instid1(VALU_DEP_2)
	v_subrev_nc_u32_e32 v160, 28, v151
	v_sub_nc_u32_e32 v151, 29, v151
	v_lshlrev_b32_e32 v150, v160, v150
	v_bfe_u32 v160, v13, 27, 4
	v_and_b32_e32 v13, 0x80000000, v13
	s_delay_alu instid0(VALU_DEP_3) | instskip(NEXT) | instid1(VALU_DEP_3)
	v_and_b32_e32 v150, 7, v150
	v_cmp_eq_u32_e64 s13, 0, v160
	s_delay_alu instid0(VALU_DEP_1) | instskip(NEXT) | instid1(VALU_DEP_3)
	v_cndmask_b32_e64 v151, v160, v151, s13
	v_cndmask_b32_e64 v149, v149, v150, s13
	s_delay_alu instid0(VALU_DEP_2) | instskip(NEXT) | instid1(VALU_DEP_2)
	v_lshl_add_u32 v150, v151, 23, 0x3b800000
	v_lshlrev_b32_e32 v149, 20, v149
	s_delay_alu instid0(VALU_DEP_1)
	v_or3_b32 v149, v13, v150, v149
.LBB4_4698:                             ;   in Loop: Header=BB4_4582 Depth=3
	s_or_b32 exec_lo, exec_lo, s29
	v_lshrrev_b32_e32 v13, 24, v9
	s_mov_b32 s14, 0
	s_mov_b32 s30, exec_lo
                                        ; implicit-def: $sgpr29
	s_delay_alu instid0(VALU_DEP_1)
	v_cmpx_lt_i16_e32 0x7f, v13
	s_xor_b32 s30, exec_lo, s30
	s_cbranch_execnz .LBB4_4896
; %bb.4699:                             ;   in Loop: Header=BB4_4582 Depth=3
	s_or_saveexec_b32 s30, s30
	v_mov_b32_e32 v150, s29
	s_xor_b32 exec_lo, exec_lo, s30
	s_cbranch_execnz .LBB4_4899
.LBB4_4700:                             ;   in Loop: Header=BB4_4582 Depth=3
	s_or_b32 exec_lo, exec_lo, s30
	s_and_saveexec_b32 s29, s14
	s_cbranch_execz .LBB4_4702
.LBB4_4701:                             ;   in Loop: Header=BB4_4582 Depth=3
	v_bfe_u32 v150, v9, 24, 3
	s_delay_alu instid0(VALU_DEP_1) | instskip(NEXT) | instid1(VALU_DEP_1)
	v_clz_i32_u32_e32 v151, v150
	v_min_u32_e32 v151, 32, v151
	s_delay_alu instid0(VALU_DEP_1) | instskip(SKIP_1) | instid1(VALU_DEP_2)
	v_subrev_nc_u32_e32 v160, 28, v151
	v_sub_nc_u32_e32 v151, 29, v151
	v_lshlrev_b32_e32 v13, v160, v13
	v_bfe_u32 v160, v9, 27, 4
	v_and_b32_e32 v9, 0x80000000, v9
	s_delay_alu instid0(VALU_DEP_3) | instskip(NEXT) | instid1(VALU_DEP_3)
	v_and_b32_e32 v13, 7, v13
	v_cmp_eq_u32_e64 s13, 0, v160
	s_delay_alu instid0(VALU_DEP_1) | instskip(NEXT) | instid1(VALU_DEP_3)
	v_cndmask_b32_e64 v151, v160, v151, s13
	v_cndmask_b32_e64 v13, v150, v13, s13
	s_delay_alu instid0(VALU_DEP_2) | instskip(NEXT) | instid1(VALU_DEP_2)
	v_lshl_add_u32 v150, v151, 23, 0x3b800000
	v_lshlrev_b32_e32 v13, 20, v13
	s_delay_alu instid0(VALU_DEP_1)
	v_or3_b32 v150, v9, v150, v13
.LBB4_4702:                             ;   in Loop: Header=BB4_4582 Depth=3
	s_or_b32 exec_lo, exec_lo, s29
	s_delay_alu instid0(VALU_DEP_1) | instskip(NEXT) | instid1(VALU_DEP_1)
	v_add_f32_e32 v13, v149, v150
	v_and_b32_e32 v9, 0x7f800000, v13
	s_delay_alu instid0(VALU_DEP_1) | instskip(SKIP_1) | instid1(VALU_DEP_2)
	v_cmp_ne_u32_e64 s13, 0x7f800000, v9
	v_mov_b32_e32 v9, 0x8000
	s_and_saveexec_b32 s29, s13
	s_cbranch_execz .LBB4_4710
; %bb.4703:                             ;   in Loop: Header=BB4_4582 Depth=3
	v_mov_b32_e32 v9, 0
	s_mov_b32 s30, exec_lo
	v_cmpx_ne_u32_e32 0, v13
	s_cbranch_execz .LBB4_4709
; %bb.4704:                             ;   in Loop: Header=BB4_4582 Depth=3
	v_bfe_u32 v9, v13, 23, 8
	v_and_b32_e32 v149, 0x7fffff, v13
	s_delay_alu instid0(VALU_DEP_2) | instskip(SKIP_1) | instid1(VALU_DEP_3)
	v_sub_nc_u32_e32 v150, 0x78, v9
	v_cmp_gt_u32_e64 s13, 0x79, v9
	v_or_b32_e32 v151, 0x800000, v149
	s_delay_alu instid0(VALU_DEP_2) | instskip(SKIP_2) | instid1(VALU_DEP_2)
	v_cndmask_b32_e64 v150, 0, v150, s13
	v_cmp_eq_u32_e64 s13, 0, v9
	v_add_nc_u32_e32 v9, 0xffffff89, v9
	v_cndmask_b32_e64 v150, v150, 0x77, s13
	v_cndmask_b32_e64 v149, v151, v149, s13
	s_delay_alu instid0(VALU_DEP_3) | instskip(NEXT) | instid1(VALU_DEP_3)
	v_cndmask_b32_e64 v9, v9, 0xffffff8a, s13
	v_lshl_add_u32 v151, 0x100000, v150, -1
	s_delay_alu instid0(VALU_DEP_3) | instskip(SKIP_1) | instid1(VALU_DEP_4)
	v_lshrrev_b32_e32 v160, v150, v149
	v_lshlrev_b32_e64 v162, v150, 0x80000
	v_add_nc_u32_e32 v150, v150, v9
	s_delay_alu instid0(VALU_DEP_4) | instskip(NEXT) | instid1(VALU_DEP_4)
	v_and_b32_e32 v149, v151, v149
	v_bfe_u32 v161, v160, 20, 1
	s_delay_alu instid0(VALU_DEP_2) | instskip(NEXT) | instid1(VALU_DEP_2)
	v_cmp_eq_u32_e64 s14, v149, v162
	v_add_nc_u32_e32 v151, -1, v161
	s_delay_alu instid0(VALU_DEP_1) | instskip(SKIP_2) | instid1(VALU_DEP_2)
	v_cndmask_b32_e64 v149, 0, v151, s14
	v_lshrrev_b32_e32 v151, 23, v160
	s_mov_b32 s14, exec_lo
	v_add_nc_u32_e32 v149, v149, v160
	s_delay_alu instid0(VALU_DEP_2) | instskip(NEXT) | instid1(VALU_DEP_2)
	v_xor_b32_e32 v151, 1, v151
	v_and_b32_e32 v9, 0xfffff, v149
	s_delay_alu instid0(VALU_DEP_1) | instskip(NEXT) | instid1(VALU_DEP_3)
	v_add_nc_u32_e32 v149, v9, v160
                                        ; implicit-def: $vgpr9
	v_cmpx_ne_u32_e64 v150, v151
	s_xor_b32 s14, exec_lo, s14
; %bb.4705:                             ;   in Loop: Header=BB4_4582 Depth=3
	s_delay_alu instid0(VALU_DEP_2) | instskip(SKIP_1) | instid1(VALU_DEP_2)
	v_cmp_lt_u32_e64 s13, 0xffffff, v149
	v_sub_nc_u32_e32 v9, v150, v151
	v_cndmask_b32_e64 v150, 0, 1, s13
	s_delay_alu instid0(VALU_DEP_2) | instskip(NEXT) | instid1(VALU_DEP_2)
	v_add_co_ci_u32_e64 v9, s13, 0, v9, s13
	v_lshrrev_b32_e32 v149, v150, v149
; %bb.4706:                             ;   in Loop: Header=BB4_4582 Depth=3
	s_and_not1_saveexec_b32 s13, s14
; %bb.4707:                             ;   in Loop: Header=BB4_4582 Depth=3
	s_delay_alu instid0(VALU_DEP_1)
	v_bfe_u32 v9, v149, 23, 1
; %bb.4708:                             ;   in Loop: Header=BB4_4582 Depth=3
	s_or_b32 exec_lo, exec_lo, s13
	v_lshrrev_b32_e32 v149, 20, v149
	s_delay_alu instid0(VALU_DEP_2) | instskip(SKIP_2) | instid1(VALU_DEP_3)
	v_min_i32_e32 v150, 15, v9
	v_cmp_gt_i32_e64 s13, 16, v9
	v_lshrrev_b32_e32 v13, 24, v13
	v_lshlrev_b32_e32 v150, 3, v150
	s_delay_alu instid0(VALU_DEP_3) | instskip(NEXT) | instid1(VALU_DEP_3)
	v_cndmask_b32_e64 v149, 7, v149, s13
	v_and_b32_e32 v13, 0x80, v13
	s_delay_alu instid0(VALU_DEP_3) | instskip(NEXT) | instid1(VALU_DEP_3)
	v_and_b32_e32 v150, 0xf8, v150
	v_and_b32_e32 v151, 7, v149
	v_or_b32_e32 v9, v9, v149
	s_delay_alu instid0(VALU_DEP_2) | instskip(NEXT) | instid1(VALU_DEP_2)
	v_or3_b32 v13, v13, v150, v151
	v_cmp_ne_u32_e64 s13, 0, v9
	s_delay_alu instid0(VALU_DEP_2) | instskip(NEXT) | instid1(VALU_DEP_1)
	v_lshlrev_b32_e32 v13, 8, v13
	v_cndmask_b32_e64 v9, 0, v13, s13
.LBB4_4709:                             ;   in Loop: Header=BB4_4582 Depth=3
	s_or_b32 exec_lo, exec_lo, s30
.LBB4_4710:                             ;   in Loop: Header=BB4_4582 Depth=3
	s_delay_alu instid0(SALU_CYCLE_1) | instskip(SKIP_3) | instid1(VALU_DEP_1)
	s_or_b32 exec_lo, exec_lo, s29
	v_and_b32_e32 v149, 0xff, v14
	s_mov_b32 s14, 0
	s_mov_b32 s30, exec_lo
                                        ; implicit-def: $sgpr29
	v_cmpx_lt_i16_e64 0x7f, v149
	s_xor_b32 s30, exec_lo, s30
	s_cbranch_execnz .LBB4_4900
; %bb.4711:                             ;   in Loop: Header=BB4_4582 Depth=3
	s_or_saveexec_b32 s30, s30
	v_mov_b32_e32 v13, s29
	s_xor_b32 exec_lo, exec_lo, s30
	s_cbranch_execnz .LBB4_4903
.LBB4_4712:                             ;   in Loop: Header=BB4_4582 Depth=3
	s_or_b32 exec_lo, exec_lo, s30
	s_and_saveexec_b32 s29, s14
	s_cbranch_execz .LBB4_4714
.LBB4_4713:                             ;   in Loop: Header=BB4_4582 Depth=3
	v_and_b32_e32 v13, 7, v14
	v_bfe_u32 v151, v14, 3, 4
	v_lshlrev_b32_e32 v160, 24, v14
	s_delay_alu instid0(VALU_DEP_3) | instskip(NEXT) | instid1(VALU_DEP_3)
	v_clz_i32_u32_e32 v149, v13
	v_cmp_eq_u32_e64 s13, 0, v151
	s_delay_alu instid0(VALU_DEP_2) | instskip(NEXT) | instid1(VALU_DEP_1)
	v_min_u32_e32 v149, 32, v149
	v_subrev_nc_u32_e32 v150, 28, v149
	v_sub_nc_u32_e32 v149, 29, v149
	s_delay_alu instid0(VALU_DEP_2) | instskip(NEXT) | instid1(VALU_DEP_2)
	v_lshlrev_b32_e32 v150, v150, v14
	v_cndmask_b32_e64 v149, v151, v149, s13
	s_delay_alu instid0(VALU_DEP_2) | instskip(NEXT) | instid1(VALU_DEP_2)
	v_and_b32_e32 v150, 7, v150
	v_lshl_add_u32 v149, v149, 23, 0x3b800000
	s_delay_alu instid0(VALU_DEP_2) | instskip(SKIP_1) | instid1(VALU_DEP_2)
	v_cndmask_b32_e64 v13, v13, v150, s13
	v_and_b32_e32 v150, 0x80000000, v160
	v_lshlrev_b32_e32 v13, 20, v13
	s_delay_alu instid0(VALU_DEP_1)
	v_or3_b32 v13, v150, v149, v13
.LBB4_4714:                             ;   in Loop: Header=BB4_4582 Depth=3
	s_or_b32 exec_lo, exec_lo, s29
	v_and_b32_e32 v150, 0xff, v10
	s_mov_b32 s14, 0
	s_mov_b32 s30, exec_lo
                                        ; implicit-def: $sgpr29
	s_delay_alu instid0(VALU_DEP_1)
	v_cmpx_lt_i16_e64 0x7f, v150
	s_xor_b32 s30, exec_lo, s30
	s_cbranch_execnz .LBB4_4904
; %bb.4715:                             ;   in Loop: Header=BB4_4582 Depth=3
	s_or_saveexec_b32 s30, s30
	v_mov_b32_e32 v149, s29
	s_xor_b32 exec_lo, exec_lo, s30
	s_cbranch_execnz .LBB4_4907
.LBB4_4716:                             ;   in Loop: Header=BB4_4582 Depth=3
	s_or_b32 exec_lo, exec_lo, s30
	s_and_saveexec_b32 s29, s14
	s_cbranch_execz .LBB4_4718
.LBB4_4717:                             ;   in Loop: Header=BB4_4582 Depth=3
	v_and_b32_e32 v149, 7, v10
	v_bfe_u32 v160, v10, 3, 4
	v_lshlrev_b32_e32 v161, 24, v10
	s_delay_alu instid0(VALU_DEP_3) | instskip(NEXT) | instid1(VALU_DEP_3)
	v_clz_i32_u32_e32 v150, v149
	v_cmp_eq_u32_e64 s13, 0, v160
	s_delay_alu instid0(VALU_DEP_2) | instskip(NEXT) | instid1(VALU_DEP_1)
	v_min_u32_e32 v150, 32, v150
	v_subrev_nc_u32_e32 v151, 28, v150
	v_sub_nc_u32_e32 v150, 29, v150
	s_delay_alu instid0(VALU_DEP_2) | instskip(NEXT) | instid1(VALU_DEP_2)
	v_lshlrev_b32_e32 v151, v151, v10
	v_cndmask_b32_e64 v150, v160, v150, s13
	s_delay_alu instid0(VALU_DEP_2) | instskip(NEXT) | instid1(VALU_DEP_2)
	v_and_b32_e32 v151, 7, v151
	v_lshl_add_u32 v150, v150, 23, 0x3b800000
	s_delay_alu instid0(VALU_DEP_2) | instskip(SKIP_1) | instid1(VALU_DEP_2)
	v_cndmask_b32_e64 v149, v149, v151, s13
	v_and_b32_e32 v151, 0x80000000, v161
	v_lshlrev_b32_e32 v149, 20, v149
	s_delay_alu instid0(VALU_DEP_1)
	v_or3_b32 v149, v151, v150, v149
.LBB4_4718:                             ;   in Loop: Header=BB4_4582 Depth=3
	s_or_b32 exec_lo, exec_lo, s29
	s_delay_alu instid0(VALU_DEP_1) | instskip(NEXT) | instid1(VALU_DEP_1)
	v_add_f32_e32 v149, v13, v149
	v_and_b32_e32 v13, 0x7f800000, v149
	s_delay_alu instid0(VALU_DEP_1) | instskip(SKIP_1) | instid1(VALU_DEP_2)
	v_cmp_ne_u32_e64 s13, 0x7f800000, v13
	v_mov_b32_e32 v13, 0x80
	s_and_saveexec_b32 s29, s13
	s_cbranch_execz .LBB4_4726
; %bb.4719:                             ;   in Loop: Header=BB4_4582 Depth=3
	v_mov_b32_e32 v13, 0
	s_mov_b32 s30, exec_lo
	v_cmpx_ne_u32_e32 0, v149
	s_cbranch_execz .LBB4_4725
; %bb.4720:                             ;   in Loop: Header=BB4_4582 Depth=3
	v_bfe_u32 v13, v149, 23, 8
	v_and_b32_e32 v150, 0x7fffff, v149
	s_delay_alu instid0(VALU_DEP_2) | instskip(SKIP_1) | instid1(VALU_DEP_3)
	v_sub_nc_u32_e32 v151, 0x78, v13
	v_cmp_gt_u32_e64 s13, 0x79, v13
	v_or_b32_e32 v160, 0x800000, v150
	s_delay_alu instid0(VALU_DEP_2) | instskip(SKIP_2) | instid1(VALU_DEP_2)
	v_cndmask_b32_e64 v151, 0, v151, s13
	v_cmp_eq_u32_e64 s13, 0, v13
	v_add_nc_u32_e32 v13, 0xffffff89, v13
	v_cndmask_b32_e64 v151, v151, 0x77, s13
	v_cndmask_b32_e64 v150, v160, v150, s13
	s_delay_alu instid0(VALU_DEP_3) | instskip(NEXT) | instid1(VALU_DEP_3)
	v_cndmask_b32_e64 v13, v13, 0xffffff8a, s13
	v_lshl_add_u32 v160, 0x100000, v151, -1
	s_delay_alu instid0(VALU_DEP_3) | instskip(SKIP_1) | instid1(VALU_DEP_4)
	v_lshrrev_b32_e32 v161, v151, v150
	v_lshlrev_b32_e64 v163, v151, 0x80000
	v_add_nc_u32_e32 v151, v151, v13
	s_delay_alu instid0(VALU_DEP_4) | instskip(NEXT) | instid1(VALU_DEP_4)
	v_and_b32_e32 v150, v160, v150
	v_bfe_u32 v162, v161, 20, 1
	s_delay_alu instid0(VALU_DEP_2) | instskip(NEXT) | instid1(VALU_DEP_2)
	v_cmp_eq_u32_e64 s14, v150, v163
	v_add_nc_u32_e32 v160, -1, v162
	s_delay_alu instid0(VALU_DEP_1) | instskip(SKIP_2) | instid1(VALU_DEP_2)
	v_cndmask_b32_e64 v150, 0, v160, s14
	v_lshrrev_b32_e32 v160, 23, v161
	s_mov_b32 s14, exec_lo
	v_add_nc_u32_e32 v150, v150, v161
	s_delay_alu instid0(VALU_DEP_2) | instskip(NEXT) | instid1(VALU_DEP_2)
	v_xor_b32_e32 v160, 1, v160
	v_and_b32_e32 v13, 0xfffff, v150
	s_delay_alu instid0(VALU_DEP_1) | instskip(NEXT) | instid1(VALU_DEP_3)
	v_add_nc_u32_e32 v150, v13, v161
                                        ; implicit-def: $vgpr13
	v_cmpx_ne_u32_e64 v151, v160
	s_xor_b32 s14, exec_lo, s14
; %bb.4721:                             ;   in Loop: Header=BB4_4582 Depth=3
	s_delay_alu instid0(VALU_DEP_2) | instskip(SKIP_1) | instid1(VALU_DEP_2)
	v_cmp_lt_u32_e64 s13, 0xffffff, v150
	v_sub_nc_u32_e32 v13, v151, v160
	v_cndmask_b32_e64 v151, 0, 1, s13
	s_delay_alu instid0(VALU_DEP_2) | instskip(NEXT) | instid1(VALU_DEP_2)
	v_add_co_ci_u32_e64 v13, s13, 0, v13, s13
	v_lshrrev_b32_e32 v150, v151, v150
; %bb.4722:                             ;   in Loop: Header=BB4_4582 Depth=3
	s_and_not1_saveexec_b32 s13, s14
; %bb.4723:                             ;   in Loop: Header=BB4_4582 Depth=3
	s_delay_alu instid0(VALU_DEP_1)
	v_bfe_u32 v13, v150, 23, 1
; %bb.4724:                             ;   in Loop: Header=BB4_4582 Depth=3
	s_or_b32 exec_lo, exec_lo, s13
	v_lshrrev_b32_e32 v150, 20, v150
	s_delay_alu instid0(VALU_DEP_2) | instskip(SKIP_2) | instid1(VALU_DEP_3)
	v_cmp_gt_i32_e64 s13, 16, v13
	v_lshrrev_b32_e32 v149, 24, v149
	v_min_i32_e32 v151, 15, v13
	v_cndmask_b32_e64 v150, 7, v150, s13
	s_delay_alu instid0(VALU_DEP_3) | instskip(NEXT) | instid1(VALU_DEP_3)
	v_and_b32_e32 v149, 0x80, v149
	v_lshlrev_b32_e32 v151, 3, v151
	s_delay_alu instid0(VALU_DEP_3) | instskip(SKIP_1) | instid1(VALU_DEP_2)
	v_and_b32_e32 v160, 7, v150
	v_or_b32_e32 v13, v13, v150
	v_or3_b32 v149, v151, v149, v160
	s_delay_alu instid0(VALU_DEP_2) | instskip(NEXT) | instid1(VALU_DEP_1)
	v_cmp_ne_u32_e64 s13, 0, v13
	v_cndmask_b32_e64 v13, 0, v149, s13
.LBB4_4725:                             ;   in Loop: Header=BB4_4582 Depth=3
	s_or_b32 exec_lo, exec_lo, s30
.LBB4_4726:                             ;   in Loop: Header=BB4_4582 Depth=3
	s_delay_alu instid0(SALU_CYCLE_1) | instskip(SKIP_3) | instid1(VALU_DEP_1)
	s_or_b32 exec_lo, exec_lo, s29
	v_lshrrev_b16 v150, 8, v14
	s_mov_b32 s14, 0
	s_mov_b32 s30, exec_lo
                                        ; implicit-def: $sgpr29
	v_cmpx_lt_i16_e64 0x7f, v150
	s_xor_b32 s30, exec_lo, s30
	s_cbranch_execnz .LBB4_4908
; %bb.4727:                             ;   in Loop: Header=BB4_4582 Depth=3
	s_or_saveexec_b32 s30, s30
	v_mov_b32_e32 v149, s29
	s_xor_b32 exec_lo, exec_lo, s30
	s_cbranch_execnz .LBB4_4911
.LBB4_4728:                             ;   in Loop: Header=BB4_4582 Depth=3
	s_or_b32 exec_lo, exec_lo, s30
	s_and_saveexec_b32 s29, s14
	s_cbranch_execz .LBB4_4730
.LBB4_4729:                             ;   in Loop: Header=BB4_4582 Depth=3
	v_and_b32_e32 v149, 0xffff, v150
	v_lshlrev_b32_e32 v150, 24, v150
	s_delay_alu instid0(VALU_DEP_2) | instskip(NEXT) | instid1(VALU_DEP_2)
	v_and_b32_e32 v151, 7, v149
	v_and_b32_e32 v150, 0x80000000, v150
	s_delay_alu instid0(VALU_DEP_2) | instskip(NEXT) | instid1(VALU_DEP_1)
	v_clz_i32_u32_e32 v160, v151
	v_min_u32_e32 v160, 32, v160
	s_delay_alu instid0(VALU_DEP_1) | instskip(SKIP_1) | instid1(VALU_DEP_2)
	v_subrev_nc_u32_e32 v161, 28, v160
	v_sub_nc_u32_e32 v160, 29, v160
	v_lshlrev_b32_e32 v161, v161, v149
	v_bfe_u32 v149, v149, 3, 4
	s_delay_alu instid0(VALU_DEP_2) | instskip(NEXT) | instid1(VALU_DEP_2)
	v_and_b32_e32 v161, 7, v161
	v_cmp_eq_u32_e64 s13, 0, v149
	s_delay_alu instid0(VALU_DEP_1) | instskip(NEXT) | instid1(VALU_DEP_3)
	v_cndmask_b32_e64 v149, v149, v160, s13
	v_cndmask_b32_e64 v151, v151, v161, s13
	s_delay_alu instid0(VALU_DEP_2) | instskip(NEXT) | instid1(VALU_DEP_2)
	v_lshl_add_u32 v149, v149, 23, 0x3b800000
	v_lshlrev_b32_e32 v151, 20, v151
	s_delay_alu instid0(VALU_DEP_1)
	v_or3_b32 v149, v150, v149, v151
.LBB4_4730:                             ;   in Loop: Header=BB4_4582 Depth=3
	s_or_b32 exec_lo, exec_lo, s29
	v_lshrrev_b16 v150, 8, v10
	s_mov_b32 s14, 0
	s_mov_b32 s30, exec_lo
                                        ; implicit-def: $sgpr29
	s_delay_alu instid0(VALU_DEP_1)
	v_cmpx_lt_i16_e64 0x7f, v150
	s_xor_b32 s30, exec_lo, s30
	s_cbranch_execnz .LBB4_4912
; %bb.4731:                             ;   in Loop: Header=BB4_4582 Depth=3
	s_or_saveexec_b32 s30, s30
	v_mov_b32_e32 v151, s29
	s_xor_b32 exec_lo, exec_lo, s30
	s_cbranch_execnz .LBB4_4915
.LBB4_4732:                             ;   in Loop: Header=BB4_4582 Depth=3
	s_or_b32 exec_lo, exec_lo, s30
	s_and_saveexec_b32 s29, s14
	s_cbranch_execz .LBB4_4734
.LBB4_4733:                             ;   in Loop: Header=BB4_4582 Depth=3
	v_and_b32_e32 v151, 0xffff, v150
	v_lshlrev_b32_e32 v150, 24, v150
	s_delay_alu instid0(VALU_DEP_2) | instskip(NEXT) | instid1(VALU_DEP_2)
	v_and_b32_e32 v160, 7, v151
	v_and_b32_e32 v150, 0x80000000, v150
	s_delay_alu instid0(VALU_DEP_2) | instskip(NEXT) | instid1(VALU_DEP_1)
	v_clz_i32_u32_e32 v161, v160
	v_min_u32_e32 v161, 32, v161
	s_delay_alu instid0(VALU_DEP_1) | instskip(SKIP_1) | instid1(VALU_DEP_2)
	v_subrev_nc_u32_e32 v162, 28, v161
	v_sub_nc_u32_e32 v161, 29, v161
	v_lshlrev_b32_e32 v162, v162, v151
	v_bfe_u32 v151, v151, 3, 4
	s_delay_alu instid0(VALU_DEP_2) | instskip(NEXT) | instid1(VALU_DEP_2)
	v_and_b32_e32 v162, 7, v162
	v_cmp_eq_u32_e64 s13, 0, v151
	s_delay_alu instid0(VALU_DEP_1) | instskip(NEXT) | instid1(VALU_DEP_3)
	v_cndmask_b32_e64 v151, v151, v161, s13
	v_cndmask_b32_e64 v160, v160, v162, s13
	s_delay_alu instid0(VALU_DEP_2) | instskip(NEXT) | instid1(VALU_DEP_2)
	v_lshl_add_u32 v151, v151, 23, 0x3b800000
	v_lshlrev_b32_e32 v160, 20, v160
	s_delay_alu instid0(VALU_DEP_1)
	v_or3_b32 v151, v150, v151, v160
.LBB4_4734:                             ;   in Loop: Header=BB4_4582 Depth=3
	s_or_b32 exec_lo, exec_lo, s29
	s_delay_alu instid0(VALU_DEP_1) | instskip(NEXT) | instid1(VALU_DEP_1)
	v_add_f32_e32 v150, v149, v151
	v_and_b32_e32 v149, 0x7f800000, v150
	s_delay_alu instid0(VALU_DEP_1) | instskip(SKIP_1) | instid1(VALU_DEP_2)
	v_cmp_ne_u32_e64 s13, 0x7f800000, v149
	v_mov_b32_e32 v149, 0x80
	s_and_saveexec_b32 s29, s13
	s_cbranch_execz .LBB4_4742
; %bb.4735:                             ;   in Loop: Header=BB4_4582 Depth=3
	v_mov_b32_e32 v149, 0
	s_mov_b32 s30, exec_lo
	v_cmpx_ne_u32_e32 0, v150
	s_cbranch_execz .LBB4_4741
; %bb.4736:                             ;   in Loop: Header=BB4_4582 Depth=3
	v_bfe_u32 v149, v150, 23, 8
	v_and_b32_e32 v151, 0x7fffff, v150
	s_delay_alu instid0(VALU_DEP_2) | instskip(SKIP_1) | instid1(VALU_DEP_3)
	v_sub_nc_u32_e32 v160, 0x78, v149
	v_cmp_gt_u32_e64 s13, 0x79, v149
	v_or_b32_e32 v161, 0x800000, v151
	s_delay_alu instid0(VALU_DEP_2) | instskip(SKIP_2) | instid1(VALU_DEP_2)
	v_cndmask_b32_e64 v160, 0, v160, s13
	v_cmp_eq_u32_e64 s13, 0, v149
	v_add_nc_u32_e32 v149, 0xffffff89, v149
	v_cndmask_b32_e64 v160, v160, 0x77, s13
	v_cndmask_b32_e64 v151, v161, v151, s13
	s_delay_alu instid0(VALU_DEP_3) | instskip(NEXT) | instid1(VALU_DEP_3)
	v_cndmask_b32_e64 v149, v149, 0xffffff8a, s13
	v_lshl_add_u32 v161, 0x100000, v160, -1
	s_delay_alu instid0(VALU_DEP_3) | instskip(SKIP_1) | instid1(VALU_DEP_4)
	v_lshrrev_b32_e32 v162, v160, v151
	v_lshlrev_b32_e64 v164, v160, 0x80000
	v_add_nc_u32_e32 v160, v160, v149
	s_delay_alu instid0(VALU_DEP_4) | instskip(NEXT) | instid1(VALU_DEP_4)
	v_and_b32_e32 v151, v161, v151
	v_bfe_u32 v163, v162, 20, 1
	s_delay_alu instid0(VALU_DEP_2) | instskip(NEXT) | instid1(VALU_DEP_2)
	v_cmp_eq_u32_e64 s14, v151, v164
	v_add_nc_u32_e32 v161, -1, v163
	s_delay_alu instid0(VALU_DEP_1) | instskip(SKIP_2) | instid1(VALU_DEP_2)
	v_cndmask_b32_e64 v151, 0, v161, s14
	v_lshrrev_b32_e32 v161, 23, v162
	s_mov_b32 s14, exec_lo
	v_add_nc_u32_e32 v151, v151, v162
	s_delay_alu instid0(VALU_DEP_2) | instskip(NEXT) | instid1(VALU_DEP_2)
	v_xor_b32_e32 v161, 1, v161
	v_and_b32_e32 v149, 0xfffff, v151
	s_delay_alu instid0(VALU_DEP_1) | instskip(NEXT) | instid1(VALU_DEP_3)
	v_add_nc_u32_e32 v151, v149, v162
                                        ; implicit-def: $vgpr149
	v_cmpx_ne_u32_e64 v160, v161
	s_xor_b32 s14, exec_lo, s14
; %bb.4737:                             ;   in Loop: Header=BB4_4582 Depth=3
	s_delay_alu instid0(VALU_DEP_2) | instskip(SKIP_1) | instid1(VALU_DEP_2)
	v_cmp_lt_u32_e64 s13, 0xffffff, v151
	v_sub_nc_u32_e32 v149, v160, v161
	v_cndmask_b32_e64 v160, 0, 1, s13
	s_delay_alu instid0(VALU_DEP_2) | instskip(NEXT) | instid1(VALU_DEP_2)
	v_add_co_ci_u32_e64 v149, s13, 0, v149, s13
	v_lshrrev_b32_e32 v151, v160, v151
; %bb.4738:                             ;   in Loop: Header=BB4_4582 Depth=3
	s_and_not1_saveexec_b32 s13, s14
; %bb.4739:                             ;   in Loop: Header=BB4_4582 Depth=3
	s_delay_alu instid0(VALU_DEP_1)
	v_bfe_u32 v149, v151, 23, 1
; %bb.4740:                             ;   in Loop: Header=BB4_4582 Depth=3
	s_or_b32 exec_lo, exec_lo, s13
	v_lshrrev_b32_e32 v151, 20, v151
	s_delay_alu instid0(VALU_DEP_2) | instskip(SKIP_2) | instid1(VALU_DEP_3)
	v_cmp_gt_i32_e64 s13, 16, v149
	v_lshrrev_b32_e32 v150, 24, v150
	v_min_i32_e32 v160, 15, v149
	v_cndmask_b32_e64 v151, 7, v151, s13
	s_delay_alu instid0(VALU_DEP_3) | instskip(NEXT) | instid1(VALU_DEP_3)
	v_and_b32_e32 v150, 0x80, v150
	v_lshlrev_b32_e32 v160, 3, v160
	s_delay_alu instid0(VALU_DEP_3) | instskip(SKIP_1) | instid1(VALU_DEP_2)
	v_and_b32_e32 v161, 7, v151
	v_or_b32_e32 v149, v149, v151
	v_or3_b32 v150, v160, v150, v161
	s_delay_alu instid0(VALU_DEP_2) | instskip(NEXT) | instid1(VALU_DEP_1)
	v_cmp_ne_u32_e64 s13, 0, v149
	v_cndmask_b32_e64 v149, 0, v150, s13
.LBB4_4741:                             ;   in Loop: Header=BB4_4582 Depth=3
	s_or_b32 exec_lo, exec_lo, s30
.LBB4_4742:                             ;   in Loop: Header=BB4_4582 Depth=3
	s_delay_alu instid0(SALU_CYCLE_1) | instskip(SKIP_3) | instid1(VALU_DEP_1)
	s_or_b32 exec_lo, exec_lo, s29
	v_lshrrev_b32_e32 v151, 16, v14
	s_mov_b32 s14, 0
	s_mov_b32 s30, exec_lo
                                        ; implicit-def: $sgpr29
	v_and_b32_e32 v160, 0xff, v151
	s_delay_alu instid0(VALU_DEP_1)
	v_cmpx_lt_i16_e64 0x7f, v160
	s_xor_b32 s30, exec_lo, s30
	s_cbranch_execnz .LBB4_4916
; %bb.4743:                             ;   in Loop: Header=BB4_4582 Depth=3
	s_or_saveexec_b32 s30, s30
	v_mov_b32_e32 v150, s29
	s_xor_b32 exec_lo, exec_lo, s30
	s_cbranch_execnz .LBB4_4919
.LBB4_4744:                             ;   in Loop: Header=BB4_4582 Depth=3
	s_or_b32 exec_lo, exec_lo, s30
	s_and_saveexec_b32 s29, s14
	s_cbranch_execz .LBB4_4746
.LBB4_4745:                             ;   in Loop: Header=BB4_4582 Depth=3
	v_bfe_u32 v150, v14, 16, 3
	v_lshlrev_b32_e32 v162, 8, v14
	s_delay_alu instid0(VALU_DEP_2) | instskip(NEXT) | instid1(VALU_DEP_1)
	v_clz_i32_u32_e32 v160, v150
	v_min_u32_e32 v160, 32, v160
	s_delay_alu instid0(VALU_DEP_1) | instskip(SKIP_1) | instid1(VALU_DEP_2)
	v_subrev_nc_u32_e32 v161, 28, v160
	v_sub_nc_u32_e32 v160, 29, v160
	v_lshlrev_b32_e32 v151, v161, v151
	v_bfe_u32 v161, v14, 19, 4
	s_delay_alu instid0(VALU_DEP_2) | instskip(NEXT) | instid1(VALU_DEP_2)
	v_and_b32_e32 v151, 7, v151
	v_cmp_eq_u32_e64 s13, 0, v161
	s_delay_alu instid0(VALU_DEP_1) | instskip(NEXT) | instid1(VALU_DEP_3)
	v_cndmask_b32_e64 v160, v161, v160, s13
	v_cndmask_b32_e64 v150, v150, v151, s13
	v_and_b32_e32 v151, 0x80000000, v162
	s_delay_alu instid0(VALU_DEP_3) | instskip(NEXT) | instid1(VALU_DEP_3)
	v_lshl_add_u32 v160, v160, 23, 0x3b800000
	v_lshlrev_b32_e32 v150, 20, v150
	s_delay_alu instid0(VALU_DEP_1)
	v_or3_b32 v150, v151, v160, v150
.LBB4_4746:                             ;   in Loop: Header=BB4_4582 Depth=3
	s_or_b32 exec_lo, exec_lo, s29
	v_lshrrev_b32_e32 v151, 16, v10
	s_mov_b32 s14, 0
	s_mov_b32 s30, exec_lo
                                        ; implicit-def: $sgpr29
	s_delay_alu instid0(VALU_DEP_1) | instskip(NEXT) | instid1(VALU_DEP_1)
	v_and_b32_e32 v161, 0xff, v151
	v_cmpx_lt_i16_e64 0x7f, v161
	s_xor_b32 s30, exec_lo, s30
	s_cbranch_execnz .LBB4_4920
; %bb.4747:                             ;   in Loop: Header=BB4_4582 Depth=3
	s_or_saveexec_b32 s30, s30
	v_mov_b32_e32 v160, s29
	s_xor_b32 exec_lo, exec_lo, s30
	s_cbranch_execnz .LBB4_4923
.LBB4_4748:                             ;   in Loop: Header=BB4_4582 Depth=3
	s_or_b32 exec_lo, exec_lo, s30
	s_and_saveexec_b32 s29, s14
	s_cbranch_execz .LBB4_4750
.LBB4_4749:                             ;   in Loop: Header=BB4_4582 Depth=3
	v_bfe_u32 v160, v10, 16, 3
	v_lshlrev_b32_e32 v163, 8, v10
	s_delay_alu instid0(VALU_DEP_2) | instskip(NEXT) | instid1(VALU_DEP_1)
	v_clz_i32_u32_e32 v161, v160
	v_min_u32_e32 v161, 32, v161
	s_delay_alu instid0(VALU_DEP_1) | instskip(SKIP_1) | instid1(VALU_DEP_2)
	v_subrev_nc_u32_e32 v162, 28, v161
	v_sub_nc_u32_e32 v161, 29, v161
	v_lshlrev_b32_e32 v151, v162, v151
	v_bfe_u32 v162, v10, 19, 4
	s_delay_alu instid0(VALU_DEP_2) | instskip(NEXT) | instid1(VALU_DEP_2)
	v_and_b32_e32 v151, 7, v151
	v_cmp_eq_u32_e64 s13, 0, v162
	s_delay_alu instid0(VALU_DEP_1) | instskip(NEXT) | instid1(VALU_DEP_3)
	v_cndmask_b32_e64 v161, v162, v161, s13
	v_cndmask_b32_e64 v151, v160, v151, s13
	v_and_b32_e32 v160, 0x80000000, v163
	s_delay_alu instid0(VALU_DEP_3) | instskip(NEXT) | instid1(VALU_DEP_3)
	v_lshl_add_u32 v161, v161, 23, 0x3b800000
	v_lshlrev_b32_e32 v151, 20, v151
	s_delay_alu instid0(VALU_DEP_1)
	v_or3_b32 v160, v160, v161, v151
.LBB4_4750:                             ;   in Loop: Header=BB4_4582 Depth=3
	s_or_b32 exec_lo, exec_lo, s29
	s_delay_alu instid0(VALU_DEP_1) | instskip(NEXT) | instid1(VALU_DEP_1)
	v_add_f32_e32 v151, v150, v160
	v_and_b32_e32 v150, 0x7f800000, v151
	s_delay_alu instid0(VALU_DEP_1) | instskip(SKIP_1) | instid1(VALU_DEP_2)
	v_cmp_ne_u32_e64 s13, 0x7f800000, v150
	v_mov_b32_e32 v150, 0x80
	s_and_saveexec_b32 s29, s13
	s_cbranch_execz .LBB4_4758
; %bb.4751:                             ;   in Loop: Header=BB4_4582 Depth=3
	v_mov_b32_e32 v150, 0
	s_mov_b32 s30, exec_lo
	v_cmpx_ne_u32_e32 0, v151
	s_cbranch_execz .LBB4_4757
; %bb.4752:                             ;   in Loop: Header=BB4_4582 Depth=3
	v_bfe_u32 v150, v151, 23, 8
	v_and_b32_e32 v160, 0x7fffff, v151
	s_delay_alu instid0(VALU_DEP_2) | instskip(SKIP_1) | instid1(VALU_DEP_3)
	v_sub_nc_u32_e32 v161, 0x78, v150
	v_cmp_gt_u32_e64 s13, 0x79, v150
	v_or_b32_e32 v162, 0x800000, v160
	s_delay_alu instid0(VALU_DEP_2) | instskip(SKIP_2) | instid1(VALU_DEP_2)
	v_cndmask_b32_e64 v161, 0, v161, s13
	v_cmp_eq_u32_e64 s13, 0, v150
	v_add_nc_u32_e32 v150, 0xffffff89, v150
	v_cndmask_b32_e64 v161, v161, 0x77, s13
	v_cndmask_b32_e64 v160, v162, v160, s13
	s_delay_alu instid0(VALU_DEP_3) | instskip(NEXT) | instid1(VALU_DEP_3)
	v_cndmask_b32_e64 v150, v150, 0xffffff8a, s13
	v_lshl_add_u32 v162, 0x100000, v161, -1
	s_delay_alu instid0(VALU_DEP_3) | instskip(SKIP_1) | instid1(VALU_DEP_4)
	v_lshrrev_b32_e32 v163, v161, v160
	v_lshlrev_b32_e64 v165, v161, 0x80000
	v_add_nc_u32_e32 v161, v161, v150
	s_delay_alu instid0(VALU_DEP_4) | instskip(NEXT) | instid1(VALU_DEP_4)
	v_and_b32_e32 v160, v162, v160
	v_bfe_u32 v164, v163, 20, 1
	s_delay_alu instid0(VALU_DEP_2) | instskip(NEXT) | instid1(VALU_DEP_2)
	v_cmp_eq_u32_e64 s14, v160, v165
	v_add_nc_u32_e32 v162, -1, v164
	s_delay_alu instid0(VALU_DEP_1) | instskip(SKIP_2) | instid1(VALU_DEP_2)
	v_cndmask_b32_e64 v160, 0, v162, s14
	v_lshrrev_b32_e32 v162, 23, v163
	s_mov_b32 s14, exec_lo
	v_add_nc_u32_e32 v160, v160, v163
	s_delay_alu instid0(VALU_DEP_2) | instskip(NEXT) | instid1(VALU_DEP_2)
	v_xor_b32_e32 v162, 1, v162
	v_and_b32_e32 v150, 0xfffff, v160
	s_delay_alu instid0(VALU_DEP_1) | instskip(NEXT) | instid1(VALU_DEP_3)
	v_add_nc_u32_e32 v160, v150, v163
                                        ; implicit-def: $vgpr150
	v_cmpx_ne_u32_e64 v161, v162
	s_xor_b32 s14, exec_lo, s14
; %bb.4753:                             ;   in Loop: Header=BB4_4582 Depth=3
	s_delay_alu instid0(VALU_DEP_2) | instskip(SKIP_1) | instid1(VALU_DEP_2)
	v_cmp_lt_u32_e64 s13, 0xffffff, v160
	v_sub_nc_u32_e32 v150, v161, v162
	v_cndmask_b32_e64 v161, 0, 1, s13
	s_delay_alu instid0(VALU_DEP_2) | instskip(NEXT) | instid1(VALU_DEP_2)
	v_add_co_ci_u32_e64 v150, s13, 0, v150, s13
	v_lshrrev_b32_e32 v160, v161, v160
; %bb.4754:                             ;   in Loop: Header=BB4_4582 Depth=3
	s_and_not1_saveexec_b32 s13, s14
; %bb.4755:                             ;   in Loop: Header=BB4_4582 Depth=3
	s_delay_alu instid0(VALU_DEP_1)
	v_bfe_u32 v150, v160, 23, 1
; %bb.4756:                             ;   in Loop: Header=BB4_4582 Depth=3
	s_or_b32 exec_lo, exec_lo, s13
	v_lshrrev_b32_e32 v160, 20, v160
	s_delay_alu instid0(VALU_DEP_2) | instskip(SKIP_2) | instid1(VALU_DEP_3)
	v_cmp_gt_i32_e64 s13, 16, v150
	v_lshrrev_b32_e32 v151, 24, v151
	v_min_i32_e32 v161, 15, v150
	v_cndmask_b32_e64 v160, 7, v160, s13
	s_delay_alu instid0(VALU_DEP_3) | instskip(NEXT) | instid1(VALU_DEP_3)
	v_and_b32_e32 v151, 0x80, v151
	v_lshlrev_b32_e32 v161, 3, v161
	s_delay_alu instid0(VALU_DEP_3) | instskip(SKIP_1) | instid1(VALU_DEP_2)
	v_and_b32_e32 v162, 7, v160
	v_or_b32_e32 v150, v150, v160
	v_or3_b32 v151, v161, v151, v162
	s_delay_alu instid0(VALU_DEP_2) | instskip(NEXT) | instid1(VALU_DEP_1)
	v_cmp_ne_u32_e64 s13, 0, v150
	v_cndmask_b32_e64 v150, 0, v151, s13
.LBB4_4757:                             ;   in Loop: Header=BB4_4582 Depth=3
	s_or_b32 exec_lo, exec_lo, s30
.LBB4_4758:                             ;   in Loop: Header=BB4_4582 Depth=3
	s_delay_alu instid0(SALU_CYCLE_1) | instskip(SKIP_3) | instid1(VALU_DEP_1)
	s_or_b32 exec_lo, exec_lo, s29
	v_lshrrev_b32_e32 v160, 24, v14
	s_mov_b32 s14, 0
	s_mov_b32 s30, exec_lo
                                        ; implicit-def: $sgpr29
	v_cmpx_lt_i16_e64 0x7f, v160
	s_xor_b32 s30, exec_lo, s30
	s_cbranch_execnz .LBB4_4924
; %bb.4759:                             ;   in Loop: Header=BB4_4582 Depth=3
	s_or_saveexec_b32 s30, s30
	v_mov_b32_e32 v151, s29
	s_xor_b32 exec_lo, exec_lo, s30
	s_cbranch_execnz .LBB4_4927
.LBB4_4760:                             ;   in Loop: Header=BB4_4582 Depth=3
	s_or_b32 exec_lo, exec_lo, s30
	s_and_saveexec_b32 s29, s14
	s_cbranch_execz .LBB4_4762
.LBB4_4761:                             ;   in Loop: Header=BB4_4582 Depth=3
	v_bfe_u32 v151, v14, 24, 3
	s_delay_alu instid0(VALU_DEP_1) | instskip(NEXT) | instid1(VALU_DEP_1)
	v_clz_i32_u32_e32 v161, v151
	v_min_u32_e32 v161, 32, v161
	s_delay_alu instid0(VALU_DEP_1) | instskip(SKIP_1) | instid1(VALU_DEP_2)
	v_subrev_nc_u32_e32 v162, 28, v161
	v_sub_nc_u32_e32 v161, 29, v161
	v_lshlrev_b32_e32 v160, v162, v160
	v_bfe_u32 v162, v14, 27, 4
	v_and_b32_e32 v14, 0x80000000, v14
	s_delay_alu instid0(VALU_DEP_3) | instskip(NEXT) | instid1(VALU_DEP_3)
	v_and_b32_e32 v160, 7, v160
	v_cmp_eq_u32_e64 s13, 0, v162
	s_delay_alu instid0(VALU_DEP_1) | instskip(NEXT) | instid1(VALU_DEP_3)
	v_cndmask_b32_e64 v161, v162, v161, s13
	v_cndmask_b32_e64 v151, v151, v160, s13
	s_delay_alu instid0(VALU_DEP_2) | instskip(NEXT) | instid1(VALU_DEP_2)
	v_lshl_add_u32 v160, v161, 23, 0x3b800000
	v_lshlrev_b32_e32 v151, 20, v151
	s_delay_alu instid0(VALU_DEP_1)
	v_or3_b32 v151, v14, v160, v151
.LBB4_4762:                             ;   in Loop: Header=BB4_4582 Depth=3
	s_or_b32 exec_lo, exec_lo, s29
	v_lshrrev_b32_e32 v14, 24, v10
	s_mov_b32 s14, 0
	s_mov_b32 s30, exec_lo
                                        ; implicit-def: $sgpr29
	s_delay_alu instid0(VALU_DEP_1)
	v_cmpx_lt_i16_e32 0x7f, v14
	s_xor_b32 s30, exec_lo, s30
	s_cbranch_execnz .LBB4_4928
; %bb.4763:                             ;   in Loop: Header=BB4_4582 Depth=3
	s_or_saveexec_b32 s30, s30
	v_mov_b32_e32 v160, s29
	s_xor_b32 exec_lo, exec_lo, s30
	s_cbranch_execnz .LBB4_4931
.LBB4_4764:                             ;   in Loop: Header=BB4_4582 Depth=3
	s_or_b32 exec_lo, exec_lo, s30
	s_and_saveexec_b32 s29, s14
	s_cbranch_execz .LBB4_4766
.LBB4_4765:                             ;   in Loop: Header=BB4_4582 Depth=3
	v_bfe_u32 v160, v10, 24, 3
	s_delay_alu instid0(VALU_DEP_1) | instskip(NEXT) | instid1(VALU_DEP_1)
	v_clz_i32_u32_e32 v161, v160
	v_min_u32_e32 v161, 32, v161
	s_delay_alu instid0(VALU_DEP_1) | instskip(SKIP_1) | instid1(VALU_DEP_2)
	v_subrev_nc_u32_e32 v162, 28, v161
	v_sub_nc_u32_e32 v161, 29, v161
	v_lshlrev_b32_e32 v14, v162, v14
	v_bfe_u32 v162, v10, 27, 4
	v_and_b32_e32 v10, 0x80000000, v10
	s_delay_alu instid0(VALU_DEP_3) | instskip(NEXT) | instid1(VALU_DEP_3)
	v_and_b32_e32 v14, 7, v14
	v_cmp_eq_u32_e64 s13, 0, v162
	s_delay_alu instid0(VALU_DEP_1) | instskip(NEXT) | instid1(VALU_DEP_3)
	v_cndmask_b32_e64 v161, v162, v161, s13
	v_cndmask_b32_e64 v14, v160, v14, s13
	s_delay_alu instid0(VALU_DEP_2) | instskip(NEXT) | instid1(VALU_DEP_2)
	v_lshl_add_u32 v160, v161, 23, 0x3b800000
	v_lshlrev_b32_e32 v14, 20, v14
	s_delay_alu instid0(VALU_DEP_1)
	v_or3_b32 v160, v10, v160, v14
.LBB4_4766:                             ;   in Loop: Header=BB4_4582 Depth=3
	s_or_b32 exec_lo, exec_lo, s29
	s_delay_alu instid0(VALU_DEP_1) | instskip(NEXT) | instid1(VALU_DEP_1)
	v_add_f32_e32 v14, v151, v160
	v_and_b32_e32 v10, 0x7f800000, v14
	s_delay_alu instid0(VALU_DEP_1) | instskip(SKIP_1) | instid1(VALU_DEP_2)
	v_cmp_ne_u32_e64 s13, 0x7f800000, v10
	v_mov_b32_e32 v10, 0x80
	s_and_saveexec_b32 s29, s13
	s_cbranch_execz .LBB4_4774
; %bb.4767:                             ;   in Loop: Header=BB4_4582 Depth=3
	v_mov_b32_e32 v10, 0
	s_mov_b32 s30, exec_lo
	v_cmpx_ne_u32_e32 0, v14
	s_cbranch_execz .LBB4_4773
; %bb.4768:                             ;   in Loop: Header=BB4_4582 Depth=3
	v_bfe_u32 v10, v14, 23, 8
	v_and_b32_e32 v151, 0x7fffff, v14
	s_delay_alu instid0(VALU_DEP_2) | instskip(SKIP_1) | instid1(VALU_DEP_3)
	v_sub_nc_u32_e32 v160, 0x78, v10
	v_cmp_gt_u32_e64 s13, 0x79, v10
	v_or_b32_e32 v161, 0x800000, v151
	s_delay_alu instid0(VALU_DEP_2) | instskip(SKIP_2) | instid1(VALU_DEP_2)
	v_cndmask_b32_e64 v160, 0, v160, s13
	v_cmp_eq_u32_e64 s13, 0, v10
	v_add_nc_u32_e32 v10, 0xffffff89, v10
	v_cndmask_b32_e64 v160, v160, 0x77, s13
	v_cndmask_b32_e64 v151, v161, v151, s13
	s_delay_alu instid0(VALU_DEP_3) | instskip(NEXT) | instid1(VALU_DEP_3)
	v_cndmask_b32_e64 v10, v10, 0xffffff8a, s13
	v_lshl_add_u32 v161, 0x100000, v160, -1
	s_delay_alu instid0(VALU_DEP_3) | instskip(SKIP_1) | instid1(VALU_DEP_4)
	v_lshrrev_b32_e32 v162, v160, v151
	v_lshlrev_b32_e64 v164, v160, 0x80000
	v_add_nc_u32_e32 v160, v160, v10
	s_delay_alu instid0(VALU_DEP_4) | instskip(NEXT) | instid1(VALU_DEP_4)
	v_and_b32_e32 v151, v161, v151
	v_bfe_u32 v163, v162, 20, 1
	s_delay_alu instid0(VALU_DEP_2) | instskip(NEXT) | instid1(VALU_DEP_2)
	v_cmp_eq_u32_e64 s14, v151, v164
	v_add_nc_u32_e32 v161, -1, v163
	s_delay_alu instid0(VALU_DEP_1) | instskip(SKIP_2) | instid1(VALU_DEP_2)
	v_cndmask_b32_e64 v151, 0, v161, s14
	v_lshrrev_b32_e32 v161, 23, v162
	s_mov_b32 s14, exec_lo
	v_add_nc_u32_e32 v151, v151, v162
	s_delay_alu instid0(VALU_DEP_2) | instskip(NEXT) | instid1(VALU_DEP_2)
	v_xor_b32_e32 v161, 1, v161
	v_and_b32_e32 v10, 0xfffff, v151
	s_delay_alu instid0(VALU_DEP_1) | instskip(NEXT) | instid1(VALU_DEP_3)
	v_add_nc_u32_e32 v151, v10, v162
                                        ; implicit-def: $vgpr10
	v_cmpx_ne_u32_e64 v160, v161
	s_xor_b32 s14, exec_lo, s14
; %bb.4769:                             ;   in Loop: Header=BB4_4582 Depth=3
	s_delay_alu instid0(VALU_DEP_2) | instskip(SKIP_1) | instid1(VALU_DEP_2)
	v_cmp_lt_u32_e64 s13, 0xffffff, v151
	v_sub_nc_u32_e32 v10, v160, v161
	v_cndmask_b32_e64 v160, 0, 1, s13
	s_delay_alu instid0(VALU_DEP_2) | instskip(NEXT) | instid1(VALU_DEP_2)
	v_add_co_ci_u32_e64 v10, s13, 0, v10, s13
	v_lshrrev_b32_e32 v151, v160, v151
; %bb.4770:                             ;   in Loop: Header=BB4_4582 Depth=3
	s_and_not1_saveexec_b32 s13, s14
; %bb.4771:                             ;   in Loop: Header=BB4_4582 Depth=3
	s_delay_alu instid0(VALU_DEP_1)
	v_bfe_u32 v10, v151, 23, 1
; %bb.4772:                             ;   in Loop: Header=BB4_4582 Depth=3
	s_or_b32 exec_lo, exec_lo, s13
	v_lshrrev_b32_e32 v151, 20, v151
	s_delay_alu instid0(VALU_DEP_2) | instskip(SKIP_2) | instid1(VALU_DEP_3)
	v_cmp_gt_i32_e64 s13, 16, v10
	v_lshrrev_b32_e32 v14, 24, v14
	v_min_i32_e32 v160, 15, v10
	v_cndmask_b32_e64 v151, 7, v151, s13
	s_delay_alu instid0(VALU_DEP_3) | instskip(NEXT) | instid1(VALU_DEP_3)
	v_and_b32_e32 v14, 0x80, v14
	v_lshlrev_b32_e32 v160, 3, v160
	s_delay_alu instid0(VALU_DEP_3) | instskip(SKIP_1) | instid1(VALU_DEP_2)
	v_and_b32_e32 v161, 7, v151
	v_or_b32_e32 v10, v10, v151
	v_or3_b32 v14, v160, v14, v161
	s_delay_alu instid0(VALU_DEP_2) | instskip(NEXT) | instid1(VALU_DEP_1)
	v_cmp_ne_u32_e64 s13, 0, v10
	v_cndmask_b32_e64 v10, 0, v14, s13
.LBB4_4773:                             ;   in Loop: Header=BB4_4582 Depth=3
	s_or_b32 exec_lo, exec_lo, s30
.LBB4_4774:                             ;   in Loop: Header=BB4_4582 Depth=3
	s_delay_alu instid0(SALU_CYCLE_1) | instskip(SKIP_3) | instid1(VALU_DEP_1)
	s_or_b32 exec_lo, exec_lo, s29
	v_and_b32_e32 v151, 0xff, v15
	s_mov_b32 s14, 0
	s_mov_b32 s30, exec_lo
                                        ; implicit-def: $sgpr29
	v_cmpx_lt_i16_e64 0x7f, v151
	s_xor_b32 s30, exec_lo, s30
	s_cbranch_execnz .LBB4_4932
; %bb.4775:                             ;   in Loop: Header=BB4_4582 Depth=3
	s_or_saveexec_b32 s30, s30
	v_mov_b32_e32 v14, s29
	s_xor_b32 exec_lo, exec_lo, s30
	s_cbranch_execnz .LBB4_4935
.LBB4_4776:                             ;   in Loop: Header=BB4_4582 Depth=3
	s_or_b32 exec_lo, exec_lo, s30
	s_and_saveexec_b32 s29, s14
	s_cbranch_execz .LBB4_4778
.LBB4_4777:                             ;   in Loop: Header=BB4_4582 Depth=3
	v_and_b32_e32 v14, 7, v15
	v_bfe_u32 v161, v15, 3, 4
	v_lshlrev_b32_e32 v162, 24, v15
	s_delay_alu instid0(VALU_DEP_3) | instskip(NEXT) | instid1(VALU_DEP_3)
	v_clz_i32_u32_e32 v151, v14
	v_cmp_eq_u32_e64 s13, 0, v161
	s_delay_alu instid0(VALU_DEP_2) | instskip(NEXT) | instid1(VALU_DEP_1)
	v_min_u32_e32 v151, 32, v151
	v_subrev_nc_u32_e32 v160, 28, v151
	v_sub_nc_u32_e32 v151, 29, v151
	s_delay_alu instid0(VALU_DEP_2) | instskip(NEXT) | instid1(VALU_DEP_2)
	v_lshlrev_b32_e32 v160, v160, v15
	v_cndmask_b32_e64 v151, v161, v151, s13
	s_delay_alu instid0(VALU_DEP_2) | instskip(NEXT) | instid1(VALU_DEP_2)
	v_and_b32_e32 v160, 7, v160
	v_lshl_add_u32 v151, v151, 23, 0x3b800000
	s_delay_alu instid0(VALU_DEP_2) | instskip(SKIP_1) | instid1(VALU_DEP_2)
	v_cndmask_b32_e64 v14, v14, v160, s13
	v_and_b32_e32 v160, 0x80000000, v162
	v_lshlrev_b32_e32 v14, 20, v14
	s_delay_alu instid0(VALU_DEP_1)
	v_or3_b32 v14, v160, v151, v14
.LBB4_4778:                             ;   in Loop: Header=BB4_4582 Depth=3
	s_or_b32 exec_lo, exec_lo, s29
	v_and_b32_e32 v160, 0xff, v11
	s_mov_b32 s14, 0
	s_mov_b32 s30, exec_lo
                                        ; implicit-def: $sgpr29
	s_delay_alu instid0(VALU_DEP_1)
	v_cmpx_lt_i16_e64 0x7f, v160
	s_xor_b32 s30, exec_lo, s30
	s_cbranch_execnz .LBB4_4936
; %bb.4779:                             ;   in Loop: Header=BB4_4582 Depth=3
	s_or_saveexec_b32 s30, s30
	v_mov_b32_e32 v151, s29
	s_xor_b32 exec_lo, exec_lo, s30
	s_cbranch_execnz .LBB4_4939
.LBB4_4780:                             ;   in Loop: Header=BB4_4582 Depth=3
	s_or_b32 exec_lo, exec_lo, s30
	s_and_saveexec_b32 s29, s14
	s_cbranch_execz .LBB4_4782
.LBB4_4781:                             ;   in Loop: Header=BB4_4582 Depth=3
	v_and_b32_e32 v151, 7, v11
	v_bfe_u32 v162, v11, 3, 4
	v_lshlrev_b32_e32 v163, 24, v11
	s_delay_alu instid0(VALU_DEP_3) | instskip(NEXT) | instid1(VALU_DEP_3)
	v_clz_i32_u32_e32 v160, v151
	v_cmp_eq_u32_e64 s13, 0, v162
	s_delay_alu instid0(VALU_DEP_2) | instskip(NEXT) | instid1(VALU_DEP_1)
	v_min_u32_e32 v160, 32, v160
	v_subrev_nc_u32_e32 v161, 28, v160
	v_sub_nc_u32_e32 v160, 29, v160
	s_delay_alu instid0(VALU_DEP_2) | instskip(NEXT) | instid1(VALU_DEP_2)
	v_lshlrev_b32_e32 v161, v161, v11
	v_cndmask_b32_e64 v160, v162, v160, s13
	s_delay_alu instid0(VALU_DEP_2) | instskip(NEXT) | instid1(VALU_DEP_2)
	v_and_b32_e32 v161, 7, v161
	v_lshl_add_u32 v160, v160, 23, 0x3b800000
	s_delay_alu instid0(VALU_DEP_2) | instskip(SKIP_1) | instid1(VALU_DEP_2)
	v_cndmask_b32_e64 v151, v151, v161, s13
	v_and_b32_e32 v161, 0x80000000, v163
	v_lshlrev_b32_e32 v151, 20, v151
	s_delay_alu instid0(VALU_DEP_1)
	v_or3_b32 v151, v161, v160, v151
.LBB4_4782:                             ;   in Loop: Header=BB4_4582 Depth=3
	s_or_b32 exec_lo, exec_lo, s29
	s_delay_alu instid0(VALU_DEP_1) | instskip(NEXT) | instid1(VALU_DEP_1)
	v_add_f32_e32 v151, v14, v151
	v_and_b32_e32 v14, 0x7f800000, v151
	s_delay_alu instid0(VALU_DEP_1) | instskip(SKIP_1) | instid1(VALU_DEP_2)
	v_cmp_ne_u32_e64 s13, 0x7f800000, v14
	v_mov_b32_e32 v14, 0x80
	s_and_saveexec_b32 s29, s13
	s_cbranch_execz .LBB4_4790
; %bb.4783:                             ;   in Loop: Header=BB4_4582 Depth=3
	v_mov_b32_e32 v14, 0
	s_mov_b32 s30, exec_lo
	v_cmpx_ne_u32_e32 0, v151
	s_cbranch_execz .LBB4_4789
; %bb.4784:                             ;   in Loop: Header=BB4_4582 Depth=3
	v_bfe_u32 v14, v151, 23, 8
	v_and_b32_e32 v160, 0x7fffff, v151
	s_delay_alu instid0(VALU_DEP_2) | instskip(SKIP_1) | instid1(VALU_DEP_3)
	v_sub_nc_u32_e32 v161, 0x78, v14
	v_cmp_gt_u32_e64 s13, 0x79, v14
	v_or_b32_e32 v162, 0x800000, v160
	s_delay_alu instid0(VALU_DEP_2) | instskip(SKIP_2) | instid1(VALU_DEP_2)
	v_cndmask_b32_e64 v161, 0, v161, s13
	v_cmp_eq_u32_e64 s13, 0, v14
	v_add_nc_u32_e32 v14, 0xffffff89, v14
	v_cndmask_b32_e64 v161, v161, 0x77, s13
	v_cndmask_b32_e64 v160, v162, v160, s13
	s_delay_alu instid0(VALU_DEP_3) | instskip(NEXT) | instid1(VALU_DEP_3)
	v_cndmask_b32_e64 v14, v14, 0xffffff8a, s13
	v_lshl_add_u32 v162, 0x100000, v161, -1
	s_delay_alu instid0(VALU_DEP_3) | instskip(SKIP_1) | instid1(VALU_DEP_4)
	v_lshrrev_b32_e32 v163, v161, v160
	v_lshlrev_b32_e64 v165, v161, 0x80000
	v_add_nc_u32_e32 v161, v161, v14
	s_delay_alu instid0(VALU_DEP_4) | instskip(NEXT) | instid1(VALU_DEP_4)
	v_and_b32_e32 v160, v162, v160
	v_bfe_u32 v164, v163, 20, 1
	s_delay_alu instid0(VALU_DEP_2) | instskip(NEXT) | instid1(VALU_DEP_2)
	v_cmp_eq_u32_e64 s14, v160, v165
	v_add_nc_u32_e32 v162, -1, v164
	s_delay_alu instid0(VALU_DEP_1) | instskip(SKIP_2) | instid1(VALU_DEP_2)
	v_cndmask_b32_e64 v160, 0, v162, s14
	v_lshrrev_b32_e32 v162, 23, v163
	s_mov_b32 s14, exec_lo
	v_add_nc_u32_e32 v160, v160, v163
	s_delay_alu instid0(VALU_DEP_2) | instskip(NEXT) | instid1(VALU_DEP_2)
	v_xor_b32_e32 v162, 1, v162
	v_and_b32_e32 v14, 0xfffff, v160
	s_delay_alu instid0(VALU_DEP_1) | instskip(NEXT) | instid1(VALU_DEP_3)
	v_add_nc_u32_e32 v160, v14, v163
                                        ; implicit-def: $vgpr14
	v_cmpx_ne_u32_e64 v161, v162
	s_xor_b32 s14, exec_lo, s14
; %bb.4785:                             ;   in Loop: Header=BB4_4582 Depth=3
	s_delay_alu instid0(VALU_DEP_2) | instskip(SKIP_1) | instid1(VALU_DEP_2)
	v_cmp_lt_u32_e64 s13, 0xffffff, v160
	v_sub_nc_u32_e32 v14, v161, v162
	v_cndmask_b32_e64 v161, 0, 1, s13
	s_delay_alu instid0(VALU_DEP_2) | instskip(NEXT) | instid1(VALU_DEP_2)
	v_add_co_ci_u32_e64 v14, s13, 0, v14, s13
	v_lshrrev_b32_e32 v160, v161, v160
; %bb.4786:                             ;   in Loop: Header=BB4_4582 Depth=3
	s_and_not1_saveexec_b32 s13, s14
; %bb.4787:                             ;   in Loop: Header=BB4_4582 Depth=3
	s_delay_alu instid0(VALU_DEP_1)
	v_bfe_u32 v14, v160, 23, 1
; %bb.4788:                             ;   in Loop: Header=BB4_4582 Depth=3
	s_or_b32 exec_lo, exec_lo, s13
	v_lshrrev_b32_e32 v160, 20, v160
	s_delay_alu instid0(VALU_DEP_2) | instskip(SKIP_2) | instid1(VALU_DEP_3)
	v_cmp_gt_i32_e64 s13, 16, v14
	v_lshrrev_b32_e32 v151, 24, v151
	v_min_i32_e32 v161, 15, v14
	v_cndmask_b32_e64 v160, 7, v160, s13
	s_delay_alu instid0(VALU_DEP_3) | instskip(NEXT) | instid1(VALU_DEP_3)
	v_and_b32_e32 v151, 0x80, v151
	v_lshlrev_b32_e32 v161, 3, v161
	s_delay_alu instid0(VALU_DEP_3) | instskip(SKIP_1) | instid1(VALU_DEP_2)
	v_and_b32_e32 v162, 7, v160
	v_or_b32_e32 v14, v14, v160
	v_or3_b32 v151, v161, v151, v162
	s_delay_alu instid0(VALU_DEP_2) | instskip(NEXT) | instid1(VALU_DEP_1)
	v_cmp_ne_u32_e64 s13, 0, v14
	v_cndmask_b32_e64 v14, 0, v151, s13
.LBB4_4789:                             ;   in Loop: Header=BB4_4582 Depth=3
	s_or_b32 exec_lo, exec_lo, s30
.LBB4_4790:                             ;   in Loop: Header=BB4_4582 Depth=3
	s_delay_alu instid0(SALU_CYCLE_1) | instskip(SKIP_3) | instid1(VALU_DEP_1)
	s_or_b32 exec_lo, exec_lo, s29
	v_lshrrev_b16 v160, 8, v15
	s_mov_b32 s14, 0
	s_mov_b32 s30, exec_lo
                                        ; implicit-def: $sgpr29
	v_cmpx_lt_i16_e64 0x7f, v160
	s_xor_b32 s30, exec_lo, s30
	s_cbranch_execnz .LBB4_4940
; %bb.4791:                             ;   in Loop: Header=BB4_4582 Depth=3
	s_or_saveexec_b32 s30, s30
	v_mov_b32_e32 v151, s29
	s_xor_b32 exec_lo, exec_lo, s30
	s_cbranch_execnz .LBB4_4943
.LBB4_4792:                             ;   in Loop: Header=BB4_4582 Depth=3
	s_or_b32 exec_lo, exec_lo, s30
	s_and_saveexec_b32 s29, s14
	s_cbranch_execz .LBB4_4794
.LBB4_4793:                             ;   in Loop: Header=BB4_4582 Depth=3
	v_and_b32_e32 v151, 0xffff, v160
	v_lshlrev_b32_e32 v160, 24, v160
	s_delay_alu instid0(VALU_DEP_2) | instskip(NEXT) | instid1(VALU_DEP_2)
	v_and_b32_e32 v161, 7, v151
	v_and_b32_e32 v160, 0x80000000, v160
	s_delay_alu instid0(VALU_DEP_2) | instskip(NEXT) | instid1(VALU_DEP_1)
	v_clz_i32_u32_e32 v162, v161
	v_min_u32_e32 v162, 32, v162
	s_delay_alu instid0(VALU_DEP_1) | instskip(SKIP_1) | instid1(VALU_DEP_2)
	v_subrev_nc_u32_e32 v163, 28, v162
	v_sub_nc_u32_e32 v162, 29, v162
	v_lshlrev_b32_e32 v163, v163, v151
	v_bfe_u32 v151, v151, 3, 4
	s_delay_alu instid0(VALU_DEP_2) | instskip(NEXT) | instid1(VALU_DEP_2)
	v_and_b32_e32 v163, 7, v163
	v_cmp_eq_u32_e64 s13, 0, v151
	s_delay_alu instid0(VALU_DEP_1) | instskip(NEXT) | instid1(VALU_DEP_3)
	v_cndmask_b32_e64 v151, v151, v162, s13
	v_cndmask_b32_e64 v161, v161, v163, s13
	s_delay_alu instid0(VALU_DEP_2) | instskip(NEXT) | instid1(VALU_DEP_2)
	v_lshl_add_u32 v151, v151, 23, 0x3b800000
	v_lshlrev_b32_e32 v161, 20, v161
	s_delay_alu instid0(VALU_DEP_1)
	v_or3_b32 v151, v160, v151, v161
.LBB4_4794:                             ;   in Loop: Header=BB4_4582 Depth=3
	s_or_b32 exec_lo, exec_lo, s29
	v_lshrrev_b16 v160, 8, v11
	s_mov_b32 s14, 0
	s_mov_b32 s30, exec_lo
                                        ; implicit-def: $sgpr29
	s_delay_alu instid0(VALU_DEP_1)
	v_cmpx_lt_i16_e64 0x7f, v160
	s_xor_b32 s30, exec_lo, s30
	s_cbranch_execnz .LBB4_4944
; %bb.4795:                             ;   in Loop: Header=BB4_4582 Depth=3
	s_or_saveexec_b32 s30, s30
	v_mov_b32_e32 v161, s29
	s_xor_b32 exec_lo, exec_lo, s30
	s_cbranch_execnz .LBB4_4947
.LBB4_4796:                             ;   in Loop: Header=BB4_4582 Depth=3
	s_or_b32 exec_lo, exec_lo, s30
	s_and_saveexec_b32 s29, s14
	s_cbranch_execz .LBB4_4798
.LBB4_4797:                             ;   in Loop: Header=BB4_4582 Depth=3
	v_and_b32_e32 v161, 0xffff, v160
	v_lshlrev_b32_e32 v160, 24, v160
	s_delay_alu instid0(VALU_DEP_2) | instskip(NEXT) | instid1(VALU_DEP_2)
	v_and_b32_e32 v162, 7, v161
	v_and_b32_e32 v160, 0x80000000, v160
	s_delay_alu instid0(VALU_DEP_2) | instskip(NEXT) | instid1(VALU_DEP_1)
	v_clz_i32_u32_e32 v163, v162
	v_min_u32_e32 v163, 32, v163
	s_delay_alu instid0(VALU_DEP_1) | instskip(SKIP_1) | instid1(VALU_DEP_2)
	v_subrev_nc_u32_e32 v164, 28, v163
	v_sub_nc_u32_e32 v163, 29, v163
	v_lshlrev_b32_e32 v164, v164, v161
	v_bfe_u32 v161, v161, 3, 4
	s_delay_alu instid0(VALU_DEP_2) | instskip(NEXT) | instid1(VALU_DEP_2)
	v_and_b32_e32 v164, 7, v164
	v_cmp_eq_u32_e64 s13, 0, v161
	s_delay_alu instid0(VALU_DEP_1) | instskip(NEXT) | instid1(VALU_DEP_3)
	v_cndmask_b32_e64 v161, v161, v163, s13
	v_cndmask_b32_e64 v162, v162, v164, s13
	s_delay_alu instid0(VALU_DEP_2) | instskip(NEXT) | instid1(VALU_DEP_2)
	v_lshl_add_u32 v161, v161, 23, 0x3b800000
	v_lshlrev_b32_e32 v162, 20, v162
	s_delay_alu instid0(VALU_DEP_1)
	v_or3_b32 v161, v160, v161, v162
.LBB4_4798:                             ;   in Loop: Header=BB4_4582 Depth=3
	s_or_b32 exec_lo, exec_lo, s29
	s_delay_alu instid0(VALU_DEP_1) | instskip(NEXT) | instid1(VALU_DEP_1)
	v_add_f32_e32 v160, v151, v161
	v_and_b32_e32 v151, 0x7f800000, v160
	s_delay_alu instid0(VALU_DEP_1) | instskip(SKIP_1) | instid1(VALU_DEP_2)
	v_cmp_ne_u32_e64 s13, 0x7f800000, v151
	v_mov_b32_e32 v151, 0x8000
	s_and_saveexec_b32 s29, s13
	s_cbranch_execz .LBB4_4806
; %bb.4799:                             ;   in Loop: Header=BB4_4582 Depth=3
	v_mov_b32_e32 v151, 0
	s_mov_b32 s30, exec_lo
	v_cmpx_ne_u32_e32 0, v160
	s_cbranch_execz .LBB4_4805
; %bb.4800:                             ;   in Loop: Header=BB4_4582 Depth=3
	v_bfe_u32 v151, v160, 23, 8
	v_and_b32_e32 v161, 0x7fffff, v160
	s_delay_alu instid0(VALU_DEP_2) | instskip(SKIP_1) | instid1(VALU_DEP_3)
	v_sub_nc_u32_e32 v162, 0x78, v151
	v_cmp_gt_u32_e64 s13, 0x79, v151
	v_or_b32_e32 v163, 0x800000, v161
	s_delay_alu instid0(VALU_DEP_2) | instskip(SKIP_2) | instid1(VALU_DEP_2)
	v_cndmask_b32_e64 v162, 0, v162, s13
	v_cmp_eq_u32_e64 s13, 0, v151
	v_add_nc_u32_e32 v151, 0xffffff89, v151
	v_cndmask_b32_e64 v162, v162, 0x77, s13
	v_cndmask_b32_e64 v161, v163, v161, s13
	s_delay_alu instid0(VALU_DEP_3) | instskip(NEXT) | instid1(VALU_DEP_3)
	v_cndmask_b32_e64 v151, v151, 0xffffff8a, s13
	v_lshl_add_u32 v163, 0x100000, v162, -1
	s_delay_alu instid0(VALU_DEP_3) | instskip(SKIP_1) | instid1(VALU_DEP_4)
	v_lshrrev_b32_e32 v164, v162, v161
	v_lshlrev_b32_e64 v166, v162, 0x80000
	v_add_nc_u32_e32 v162, v162, v151
	s_delay_alu instid0(VALU_DEP_4) | instskip(NEXT) | instid1(VALU_DEP_4)
	v_and_b32_e32 v161, v163, v161
	v_bfe_u32 v165, v164, 20, 1
	s_delay_alu instid0(VALU_DEP_2) | instskip(NEXT) | instid1(VALU_DEP_2)
	v_cmp_eq_u32_e64 s14, v161, v166
	v_add_nc_u32_e32 v163, -1, v165
	s_delay_alu instid0(VALU_DEP_1) | instskip(SKIP_2) | instid1(VALU_DEP_2)
	v_cndmask_b32_e64 v161, 0, v163, s14
	v_lshrrev_b32_e32 v163, 23, v164
	s_mov_b32 s14, exec_lo
	v_add_nc_u32_e32 v161, v161, v164
	s_delay_alu instid0(VALU_DEP_2) | instskip(NEXT) | instid1(VALU_DEP_2)
	v_xor_b32_e32 v163, 1, v163
	v_and_b32_e32 v151, 0xfffff, v161
	s_delay_alu instid0(VALU_DEP_1) | instskip(NEXT) | instid1(VALU_DEP_3)
	v_add_nc_u32_e32 v161, v151, v164
                                        ; implicit-def: $vgpr151
	v_cmpx_ne_u32_e64 v162, v163
	s_xor_b32 s14, exec_lo, s14
; %bb.4801:                             ;   in Loop: Header=BB4_4582 Depth=3
	s_delay_alu instid0(VALU_DEP_2) | instskip(SKIP_1) | instid1(VALU_DEP_2)
	v_cmp_lt_u32_e64 s13, 0xffffff, v161
	v_sub_nc_u32_e32 v151, v162, v163
	v_cndmask_b32_e64 v162, 0, 1, s13
	s_delay_alu instid0(VALU_DEP_2) | instskip(NEXT) | instid1(VALU_DEP_2)
	v_add_co_ci_u32_e64 v151, s13, 0, v151, s13
	v_lshrrev_b32_e32 v161, v162, v161
; %bb.4802:                             ;   in Loop: Header=BB4_4582 Depth=3
	s_and_not1_saveexec_b32 s13, s14
; %bb.4803:                             ;   in Loop: Header=BB4_4582 Depth=3
	s_delay_alu instid0(VALU_DEP_1)
	v_bfe_u32 v151, v161, 23, 1
; %bb.4804:                             ;   in Loop: Header=BB4_4582 Depth=3
	s_or_b32 exec_lo, exec_lo, s13
	v_lshrrev_b32_e32 v161, 20, v161
	s_delay_alu instid0(VALU_DEP_2) | instskip(SKIP_2) | instid1(VALU_DEP_3)
	v_min_i32_e32 v162, 15, v151
	v_cmp_gt_i32_e64 s13, 16, v151
	v_lshrrev_b32_e32 v160, 24, v160
	v_lshlrev_b32_e32 v162, 3, v162
	s_delay_alu instid0(VALU_DEP_3) | instskip(NEXT) | instid1(VALU_DEP_3)
	v_cndmask_b32_e64 v161, 7, v161, s13
	v_and_b32_e32 v160, 0x80, v160
	s_delay_alu instid0(VALU_DEP_3) | instskip(NEXT) | instid1(VALU_DEP_3)
	v_and_b32_e32 v162, 0xf8, v162
	v_and_b32_e32 v163, 7, v161
	v_or_b32_e32 v151, v151, v161
	s_delay_alu instid0(VALU_DEP_2) | instskip(NEXT) | instid1(VALU_DEP_2)
	v_or3_b32 v160, v160, v162, v163
	v_cmp_ne_u32_e64 s13, 0, v151
	s_delay_alu instid0(VALU_DEP_2) | instskip(NEXT) | instid1(VALU_DEP_1)
	v_lshlrev_b32_e32 v160, 8, v160
	v_cndmask_b32_e64 v151, 0, v160, s13
.LBB4_4805:                             ;   in Loop: Header=BB4_4582 Depth=3
	s_or_b32 exec_lo, exec_lo, s30
.LBB4_4806:                             ;   in Loop: Header=BB4_4582 Depth=3
	s_delay_alu instid0(SALU_CYCLE_1) | instskip(SKIP_3) | instid1(VALU_DEP_1)
	s_or_b32 exec_lo, exec_lo, s29
	v_lshrrev_b32_e32 v161, 16, v15
	s_mov_b32 s14, 0
	s_mov_b32 s30, exec_lo
                                        ; implicit-def: $sgpr29
	v_and_b32_e32 v162, 0xff, v161
	s_delay_alu instid0(VALU_DEP_1)
	v_cmpx_lt_i16_e64 0x7f, v162
	s_xor_b32 s30, exec_lo, s30
	s_cbranch_execnz .LBB4_4948
; %bb.4807:                             ;   in Loop: Header=BB4_4582 Depth=3
	s_or_saveexec_b32 s30, s30
	v_mov_b32_e32 v160, s29
	s_xor_b32 exec_lo, exec_lo, s30
	s_cbranch_execnz .LBB4_4951
.LBB4_4808:                             ;   in Loop: Header=BB4_4582 Depth=3
	s_or_b32 exec_lo, exec_lo, s30
	s_and_saveexec_b32 s29, s14
	s_cbranch_execz .LBB4_4810
.LBB4_4809:                             ;   in Loop: Header=BB4_4582 Depth=3
	v_bfe_u32 v160, v15, 16, 3
	v_lshlrev_b32_e32 v164, 8, v15
	s_delay_alu instid0(VALU_DEP_2) | instskip(NEXT) | instid1(VALU_DEP_1)
	v_clz_i32_u32_e32 v162, v160
	v_min_u32_e32 v162, 32, v162
	s_delay_alu instid0(VALU_DEP_1) | instskip(SKIP_1) | instid1(VALU_DEP_2)
	v_subrev_nc_u32_e32 v163, 28, v162
	v_sub_nc_u32_e32 v162, 29, v162
	v_lshlrev_b32_e32 v161, v163, v161
	v_bfe_u32 v163, v15, 19, 4
	s_delay_alu instid0(VALU_DEP_2) | instskip(NEXT) | instid1(VALU_DEP_2)
	v_and_b32_e32 v161, 7, v161
	v_cmp_eq_u32_e64 s13, 0, v163
	s_delay_alu instid0(VALU_DEP_1) | instskip(NEXT) | instid1(VALU_DEP_3)
	v_cndmask_b32_e64 v162, v163, v162, s13
	v_cndmask_b32_e64 v160, v160, v161, s13
	v_and_b32_e32 v161, 0x80000000, v164
	s_delay_alu instid0(VALU_DEP_3) | instskip(NEXT) | instid1(VALU_DEP_3)
	v_lshl_add_u32 v162, v162, 23, 0x3b800000
	v_lshlrev_b32_e32 v160, 20, v160
	s_delay_alu instid0(VALU_DEP_1)
	v_or3_b32 v160, v161, v162, v160
.LBB4_4810:                             ;   in Loop: Header=BB4_4582 Depth=3
	s_or_b32 exec_lo, exec_lo, s29
	v_lshrrev_b32_e32 v161, 16, v11
	s_mov_b32 s14, 0
	s_mov_b32 s30, exec_lo
                                        ; implicit-def: $sgpr29
	s_delay_alu instid0(VALU_DEP_1) | instskip(NEXT) | instid1(VALU_DEP_1)
	v_and_b32_e32 v163, 0xff, v161
	v_cmpx_lt_i16_e64 0x7f, v163
	s_xor_b32 s30, exec_lo, s30
	s_cbranch_execnz .LBB4_4952
; %bb.4811:                             ;   in Loop: Header=BB4_4582 Depth=3
	s_or_saveexec_b32 s30, s30
	v_mov_b32_e32 v162, s29
	s_xor_b32 exec_lo, exec_lo, s30
	s_cbranch_execnz .LBB4_4955
.LBB4_4812:                             ;   in Loop: Header=BB4_4582 Depth=3
	s_or_b32 exec_lo, exec_lo, s30
	s_and_saveexec_b32 s29, s14
	s_cbranch_execz .LBB4_4814
.LBB4_4813:                             ;   in Loop: Header=BB4_4582 Depth=3
	v_bfe_u32 v162, v11, 16, 3
	v_lshlrev_b32_e32 v165, 8, v11
	s_delay_alu instid0(VALU_DEP_2) | instskip(NEXT) | instid1(VALU_DEP_1)
	v_clz_i32_u32_e32 v163, v162
	v_min_u32_e32 v163, 32, v163
	s_delay_alu instid0(VALU_DEP_1) | instskip(SKIP_1) | instid1(VALU_DEP_2)
	v_subrev_nc_u32_e32 v164, 28, v163
	v_sub_nc_u32_e32 v163, 29, v163
	v_lshlrev_b32_e32 v161, v164, v161
	v_bfe_u32 v164, v11, 19, 4
	s_delay_alu instid0(VALU_DEP_2) | instskip(NEXT) | instid1(VALU_DEP_2)
	v_and_b32_e32 v161, 7, v161
	v_cmp_eq_u32_e64 s13, 0, v164
	s_delay_alu instid0(VALU_DEP_1) | instskip(NEXT) | instid1(VALU_DEP_3)
	v_cndmask_b32_e64 v163, v164, v163, s13
	v_cndmask_b32_e64 v161, v162, v161, s13
	v_and_b32_e32 v162, 0x80000000, v165
	s_delay_alu instid0(VALU_DEP_3) | instskip(NEXT) | instid1(VALU_DEP_3)
	v_lshl_add_u32 v163, v163, 23, 0x3b800000
	v_lshlrev_b32_e32 v161, 20, v161
	s_delay_alu instid0(VALU_DEP_1)
	v_or3_b32 v162, v162, v163, v161
.LBB4_4814:                             ;   in Loop: Header=BB4_4582 Depth=3
	s_or_b32 exec_lo, exec_lo, s29
	s_delay_alu instid0(VALU_DEP_1) | instskip(NEXT) | instid1(VALU_DEP_1)
	v_add_f32_e32 v161, v160, v162
	v_and_b32_e32 v160, 0x7f800000, v161
	s_delay_alu instid0(VALU_DEP_1) | instskip(SKIP_1) | instid1(VALU_DEP_2)
	v_cmp_ne_u32_e64 s13, 0x7f800000, v160
	v_mov_b32_e32 v160, 0x80
	s_and_saveexec_b32 s29, s13
	s_cbranch_execz .LBB4_4822
; %bb.4815:                             ;   in Loop: Header=BB4_4582 Depth=3
	v_mov_b32_e32 v160, 0
	s_mov_b32 s30, exec_lo
	v_cmpx_ne_u32_e32 0, v161
	s_cbranch_execz .LBB4_4821
; %bb.4816:                             ;   in Loop: Header=BB4_4582 Depth=3
	v_bfe_u32 v160, v161, 23, 8
	v_and_b32_e32 v162, 0x7fffff, v161
	s_delay_alu instid0(VALU_DEP_2) | instskip(SKIP_1) | instid1(VALU_DEP_3)
	v_sub_nc_u32_e32 v163, 0x78, v160
	v_cmp_gt_u32_e64 s13, 0x79, v160
	v_or_b32_e32 v164, 0x800000, v162
	s_delay_alu instid0(VALU_DEP_2) | instskip(SKIP_2) | instid1(VALU_DEP_2)
	v_cndmask_b32_e64 v163, 0, v163, s13
	v_cmp_eq_u32_e64 s13, 0, v160
	v_add_nc_u32_e32 v160, 0xffffff89, v160
	v_cndmask_b32_e64 v163, v163, 0x77, s13
	v_cndmask_b32_e64 v162, v164, v162, s13
	s_delay_alu instid0(VALU_DEP_3) | instskip(NEXT) | instid1(VALU_DEP_3)
	v_cndmask_b32_e64 v160, v160, 0xffffff8a, s13
	v_lshl_add_u32 v164, 0x100000, v163, -1
	s_delay_alu instid0(VALU_DEP_3) | instskip(SKIP_1) | instid1(VALU_DEP_4)
	v_lshrrev_b32_e32 v165, v163, v162
	v_lshlrev_b32_e64 v167, v163, 0x80000
	v_add_nc_u32_e32 v163, v163, v160
	s_delay_alu instid0(VALU_DEP_4) | instskip(NEXT) | instid1(VALU_DEP_4)
	v_and_b32_e32 v162, v164, v162
	v_bfe_u32 v166, v165, 20, 1
	s_delay_alu instid0(VALU_DEP_2) | instskip(NEXT) | instid1(VALU_DEP_2)
	v_cmp_eq_u32_e64 s14, v162, v167
	v_add_nc_u32_e32 v164, -1, v166
	s_delay_alu instid0(VALU_DEP_1) | instskip(SKIP_2) | instid1(VALU_DEP_2)
	v_cndmask_b32_e64 v162, 0, v164, s14
	v_lshrrev_b32_e32 v164, 23, v165
	s_mov_b32 s14, exec_lo
	v_add_nc_u32_e32 v162, v162, v165
	s_delay_alu instid0(VALU_DEP_2) | instskip(NEXT) | instid1(VALU_DEP_2)
	v_xor_b32_e32 v164, 1, v164
	v_and_b32_e32 v160, 0xfffff, v162
	s_delay_alu instid0(VALU_DEP_1) | instskip(NEXT) | instid1(VALU_DEP_3)
	v_add_nc_u32_e32 v162, v160, v165
                                        ; implicit-def: $vgpr160
	v_cmpx_ne_u32_e64 v163, v164
	s_xor_b32 s14, exec_lo, s14
; %bb.4817:                             ;   in Loop: Header=BB4_4582 Depth=3
	s_delay_alu instid0(VALU_DEP_2) | instskip(SKIP_1) | instid1(VALU_DEP_2)
	v_cmp_lt_u32_e64 s13, 0xffffff, v162
	v_sub_nc_u32_e32 v160, v163, v164
	v_cndmask_b32_e64 v163, 0, 1, s13
	s_delay_alu instid0(VALU_DEP_2) | instskip(NEXT) | instid1(VALU_DEP_2)
	v_add_co_ci_u32_e64 v160, s13, 0, v160, s13
	v_lshrrev_b32_e32 v162, v163, v162
; %bb.4818:                             ;   in Loop: Header=BB4_4582 Depth=3
	s_and_not1_saveexec_b32 s13, s14
; %bb.4819:                             ;   in Loop: Header=BB4_4582 Depth=3
	s_delay_alu instid0(VALU_DEP_1)
	v_bfe_u32 v160, v162, 23, 1
; %bb.4820:                             ;   in Loop: Header=BB4_4582 Depth=3
	s_or_b32 exec_lo, exec_lo, s13
	v_lshrrev_b32_e32 v162, 20, v162
	s_delay_alu instid0(VALU_DEP_2) | instskip(SKIP_2) | instid1(VALU_DEP_3)
	v_min_i32_e32 v163, 15, v160
	v_cmp_gt_i32_e64 s13, 16, v160
	v_lshrrev_b32_e32 v161, 24, v161
	v_lshlrev_b32_e32 v163, 3, v163
	s_delay_alu instid0(VALU_DEP_3) | instskip(NEXT) | instid1(VALU_DEP_3)
	v_cndmask_b32_e64 v162, 7, v162, s13
	v_and_b32_e32 v161, 0x80, v161
	s_delay_alu instid0(VALU_DEP_3) | instskip(NEXT) | instid1(VALU_DEP_3)
	v_and_b32_e32 v163, 0xf8, v163
	v_and_b32_e32 v164, 7, v162
	v_or_b32_e32 v160, v160, v162
	s_delay_alu instid0(VALU_DEP_2) | instskip(NEXT) | instid1(VALU_DEP_2)
	v_or3_b32 v161, v163, v161, v164
	v_cmp_ne_u32_e64 s13, 0, v160
	s_delay_alu instid0(VALU_DEP_1)
	v_cndmask_b32_e64 v160, 0, v161, s13
.LBB4_4821:                             ;   in Loop: Header=BB4_4582 Depth=3
	s_or_b32 exec_lo, exec_lo, s30
.LBB4_4822:                             ;   in Loop: Header=BB4_4582 Depth=3
	s_delay_alu instid0(SALU_CYCLE_1) | instskip(SKIP_3) | instid1(VALU_DEP_1)
	s_or_b32 exec_lo, exec_lo, s29
	v_lshrrev_b32_e32 v162, 24, v15
	s_mov_b32 s14, 0
	s_mov_b32 s30, exec_lo
                                        ; implicit-def: $sgpr29
	v_cmpx_lt_i16_e64 0x7f, v162
	s_xor_b32 s30, exec_lo, s30
	s_cbranch_execnz .LBB4_4956
; %bb.4823:                             ;   in Loop: Header=BB4_4582 Depth=3
	s_or_saveexec_b32 s30, s30
	v_mov_b32_e32 v161, s29
	s_xor_b32 exec_lo, exec_lo, s30
	s_cbranch_execnz .LBB4_4959
.LBB4_4824:                             ;   in Loop: Header=BB4_4582 Depth=3
	s_or_b32 exec_lo, exec_lo, s30
	s_and_saveexec_b32 s29, s14
	s_cbranch_execz .LBB4_4826
.LBB4_4825:                             ;   in Loop: Header=BB4_4582 Depth=3
	v_bfe_u32 v161, v15, 24, 3
	s_delay_alu instid0(VALU_DEP_1) | instskip(NEXT) | instid1(VALU_DEP_1)
	v_clz_i32_u32_e32 v163, v161
	v_min_u32_e32 v163, 32, v163
	s_delay_alu instid0(VALU_DEP_1) | instskip(SKIP_1) | instid1(VALU_DEP_2)
	v_subrev_nc_u32_e32 v164, 28, v163
	v_sub_nc_u32_e32 v163, 29, v163
	v_lshlrev_b32_e32 v162, v164, v162
	v_bfe_u32 v164, v15, 27, 4
	v_and_b32_e32 v15, 0x80000000, v15
	s_delay_alu instid0(VALU_DEP_3) | instskip(NEXT) | instid1(VALU_DEP_3)
	v_and_b32_e32 v162, 7, v162
	v_cmp_eq_u32_e64 s13, 0, v164
	s_delay_alu instid0(VALU_DEP_1) | instskip(NEXT) | instid1(VALU_DEP_3)
	v_cndmask_b32_e64 v163, v164, v163, s13
	v_cndmask_b32_e64 v161, v161, v162, s13
	s_delay_alu instid0(VALU_DEP_2) | instskip(NEXT) | instid1(VALU_DEP_2)
	v_lshl_add_u32 v162, v163, 23, 0x3b800000
	v_lshlrev_b32_e32 v161, 20, v161
	s_delay_alu instid0(VALU_DEP_1)
	v_or3_b32 v161, v15, v162, v161
.LBB4_4826:                             ;   in Loop: Header=BB4_4582 Depth=3
	s_or_b32 exec_lo, exec_lo, s29
	v_lshrrev_b32_e32 v15, 24, v11
	s_mov_b32 s14, 0
	s_mov_b32 s30, exec_lo
                                        ; implicit-def: $sgpr29
	s_delay_alu instid0(VALU_DEP_1)
	v_cmpx_lt_i16_e32 0x7f, v15
	s_xor_b32 s30, exec_lo, s30
	s_cbranch_execnz .LBB4_4960
; %bb.4827:                             ;   in Loop: Header=BB4_4582 Depth=3
	s_or_saveexec_b32 s30, s30
	v_mov_b32_e32 v162, s29
	s_xor_b32 exec_lo, exec_lo, s30
	s_cbranch_execnz .LBB4_4963
.LBB4_4828:                             ;   in Loop: Header=BB4_4582 Depth=3
	s_or_b32 exec_lo, exec_lo, s30
	s_and_saveexec_b32 s29, s14
	s_cbranch_execz .LBB4_4830
.LBB4_4829:                             ;   in Loop: Header=BB4_4582 Depth=3
	v_bfe_u32 v162, v11, 24, 3
	s_delay_alu instid0(VALU_DEP_1) | instskip(NEXT) | instid1(VALU_DEP_1)
	v_clz_i32_u32_e32 v163, v162
	v_min_u32_e32 v163, 32, v163
	s_delay_alu instid0(VALU_DEP_1) | instskip(SKIP_1) | instid1(VALU_DEP_2)
	v_subrev_nc_u32_e32 v164, 28, v163
	v_sub_nc_u32_e32 v163, 29, v163
	v_lshlrev_b32_e32 v15, v164, v15
	v_bfe_u32 v164, v11, 27, 4
	v_and_b32_e32 v11, 0x80000000, v11
	s_delay_alu instid0(VALU_DEP_3) | instskip(NEXT) | instid1(VALU_DEP_3)
	v_and_b32_e32 v15, 7, v15
	v_cmp_eq_u32_e64 s13, 0, v164
	s_delay_alu instid0(VALU_DEP_1) | instskip(NEXT) | instid1(VALU_DEP_3)
	v_cndmask_b32_e64 v163, v164, v163, s13
	v_cndmask_b32_e64 v15, v162, v15, s13
	s_delay_alu instid0(VALU_DEP_2) | instskip(NEXT) | instid1(VALU_DEP_2)
	v_lshl_add_u32 v162, v163, 23, 0x3b800000
	v_lshlrev_b32_e32 v15, 20, v15
	s_delay_alu instid0(VALU_DEP_1)
	v_or3_b32 v162, v11, v162, v15
.LBB4_4830:                             ;   in Loop: Header=BB4_4582 Depth=3
	s_or_b32 exec_lo, exec_lo, s29
	s_delay_alu instid0(VALU_DEP_1) | instskip(NEXT) | instid1(VALU_DEP_1)
	v_add_f32_e32 v11, v161, v162
	v_and_b32_e32 v15, 0x7f800000, v11
	s_delay_alu instid0(VALU_DEP_1) | instskip(SKIP_1) | instid1(VALU_DEP_2)
	v_cmp_ne_u32_e64 s13, 0x7f800000, v15
	v_mov_b32_e32 v15, 0x8000
	s_and_saveexec_b32 s29, s13
	s_cbranch_execz .LBB4_4581
; %bb.4831:                             ;   in Loop: Header=BB4_4582 Depth=3
	v_mov_b32_e32 v15, 0
	s_mov_b32 s30, exec_lo
	v_cmpx_ne_u32_e32 0, v11
	s_cbranch_execz .LBB4_4580
; %bb.4832:                             ;   in Loop: Header=BB4_4582 Depth=3
	v_bfe_u32 v15, v11, 23, 8
	v_and_b32_e32 v161, 0x7fffff, v11
	s_delay_alu instid0(VALU_DEP_2) | instskip(SKIP_1) | instid1(VALU_DEP_3)
	v_sub_nc_u32_e32 v162, 0x78, v15
	v_cmp_gt_u32_e64 s13, 0x79, v15
	v_or_b32_e32 v163, 0x800000, v161
	s_delay_alu instid0(VALU_DEP_2) | instskip(SKIP_2) | instid1(VALU_DEP_2)
	v_cndmask_b32_e64 v162, 0, v162, s13
	v_cmp_eq_u32_e64 s13, 0, v15
	v_add_nc_u32_e32 v15, 0xffffff89, v15
	v_cndmask_b32_e64 v162, v162, 0x77, s13
	v_cndmask_b32_e64 v161, v163, v161, s13
	s_delay_alu instid0(VALU_DEP_3) | instskip(NEXT) | instid1(VALU_DEP_3)
	v_cndmask_b32_e64 v15, v15, 0xffffff8a, s13
	v_lshl_add_u32 v163, 0x100000, v162, -1
	s_delay_alu instid0(VALU_DEP_3) | instskip(SKIP_1) | instid1(VALU_DEP_4)
	v_lshrrev_b32_e32 v164, v162, v161
	v_lshlrev_b32_e64 v166, v162, 0x80000
	v_add_nc_u32_e32 v162, v162, v15
	s_delay_alu instid0(VALU_DEP_4) | instskip(NEXT) | instid1(VALU_DEP_4)
	v_and_b32_e32 v161, v163, v161
	v_bfe_u32 v165, v164, 20, 1
	s_delay_alu instid0(VALU_DEP_2) | instskip(NEXT) | instid1(VALU_DEP_2)
	v_cmp_eq_u32_e64 s14, v161, v166
	v_add_nc_u32_e32 v163, -1, v165
	s_delay_alu instid0(VALU_DEP_1) | instskip(SKIP_2) | instid1(VALU_DEP_2)
	v_cndmask_b32_e64 v161, 0, v163, s14
	v_lshrrev_b32_e32 v163, 23, v164
	s_mov_b32 s14, exec_lo
	v_add_nc_u32_e32 v161, v161, v164
	s_delay_alu instid0(VALU_DEP_2) | instskip(NEXT) | instid1(VALU_DEP_2)
	v_xor_b32_e32 v163, 1, v163
	v_and_b32_e32 v15, 0xfffff, v161
	s_delay_alu instid0(VALU_DEP_1) | instskip(NEXT) | instid1(VALU_DEP_3)
	v_add_nc_u32_e32 v161, v15, v164
                                        ; implicit-def: $vgpr15
	v_cmpx_ne_u32_e64 v162, v163
	s_xor_b32 s14, exec_lo, s14
; %bb.4833:                             ;   in Loop: Header=BB4_4582 Depth=3
	s_delay_alu instid0(VALU_DEP_2) | instskip(SKIP_1) | instid1(VALU_DEP_2)
	v_cmp_lt_u32_e64 s13, 0xffffff, v161
	v_sub_nc_u32_e32 v15, v162, v163
	v_cndmask_b32_e64 v162, 0, 1, s13
	s_delay_alu instid0(VALU_DEP_2) | instskip(NEXT) | instid1(VALU_DEP_2)
	v_add_co_ci_u32_e64 v15, s13, 0, v15, s13
	v_lshrrev_b32_e32 v161, v162, v161
; %bb.4834:                             ;   in Loop: Header=BB4_4582 Depth=3
	s_and_not1_saveexec_b32 s13, s14
	s_cbranch_execz .LBB4_4579
; %bb.4835:                             ;   in Loop: Header=BB4_4582 Depth=3
	s_delay_alu instid0(VALU_DEP_1)
	v_bfe_u32 v15, v161, 23, 1
	s_branch .LBB4_4579
.LBB4_4836:                             ;   in Loop: Header=BB4_4582 Depth=3
	s_mov_b32 s14, -1
	s_mov_b32 s31, exec_lo
                                        ; implicit-def: $sgpr29
	v_cmpx_eq_u16_e32 0x80, v82
; %bb.4837:                             ;   in Loop: Header=BB4_4582 Depth=3
	s_mov_b32 s29, 0x7f800001
	s_xor_b32 s14, exec_lo, -1
; %bb.4838:                             ;   in Loop: Header=BB4_4582 Depth=3
	s_or_b32 exec_lo, exec_lo, s31
	s_delay_alu instid0(SALU_CYCLE_1)
	s_and_b32 s14, s14, exec_lo
                                        ; implicit-def: $vgpr82
	s_or_saveexec_b32 s30, s30
	v_mov_b32_e32 v81, s29
	s_xor_b32 exec_lo, exec_lo, s30
	s_cbranch_execz .LBB4_4584
.LBB4_4839:                             ;   in Loop: Header=BB4_4582 Depth=3
	v_cmp_ne_u16_e64 s13, 0, v82
	v_mov_b32_e32 v81, 0
	s_and_not1_b32 s14, s14, exec_lo
	s_delay_alu instid0(VALU_DEP_2) | instskip(NEXT) | instid1(SALU_CYCLE_1)
	s_and_b32 s13, s13, exec_lo
	s_or_b32 s14, s14, s13
	s_or_b32 exec_lo, exec_lo, s30
	s_and_saveexec_b32 s29, s14
	s_cbranch_execnz .LBB4_4585
	s_branch .LBB4_4586
.LBB4_4840:                             ;   in Loop: Header=BB4_4582 Depth=3
	s_mov_b32 s14, -1
	s_mov_b32 s31, exec_lo
                                        ; implicit-def: $sgpr29
	v_cmpx_eq_u16_e32 0x80, v83
; %bb.4841:                             ;   in Loop: Header=BB4_4582 Depth=3
	s_mov_b32 s29, 0x7f800001
	s_xor_b32 s14, exec_lo, -1
; %bb.4842:                             ;   in Loop: Header=BB4_4582 Depth=3
	s_or_b32 exec_lo, exec_lo, s31
	s_delay_alu instid0(SALU_CYCLE_1)
	s_and_b32 s14, s14, exec_lo
                                        ; implicit-def: $vgpr83
	s_or_saveexec_b32 s30, s30
	v_mov_b32_e32 v82, s29
	s_xor_b32 exec_lo, exec_lo, s30
	s_cbranch_execz .LBB4_4588
.LBB4_4843:                             ;   in Loop: Header=BB4_4582 Depth=3
	v_cmp_ne_u16_e64 s13, 0, v83
	v_mov_b32_e32 v82, 0
	s_and_not1_b32 s14, s14, exec_lo
	s_delay_alu instid0(VALU_DEP_2) | instskip(NEXT) | instid1(SALU_CYCLE_1)
	s_and_b32 s13, s13, exec_lo
	s_or_b32 s14, s14, s13
	s_or_b32 exec_lo, exec_lo, s30
	s_and_saveexec_b32 s29, s14
	s_cbranch_execnz .LBB4_4589
	s_branch .LBB4_4590
.LBB4_4844:                             ;   in Loop: Header=BB4_4582 Depth=3
	s_mov_b32 s14, -1
	s_mov_b32 s31, exec_lo
                                        ; implicit-def: $sgpr29
	v_cmpx_eq_u16_e32 0x80, v83
; %bb.4845:                             ;   in Loop: Header=BB4_4582 Depth=3
	s_mov_b32 s29, 0x7f800001
	s_xor_b32 s14, exec_lo, -1
; %bb.4846:                             ;   in Loop: Header=BB4_4582 Depth=3
	s_or_b32 exec_lo, exec_lo, s31
	s_delay_alu instid0(SALU_CYCLE_1)
	s_and_b32 s14, s14, exec_lo
	s_or_saveexec_b32 s30, s30
	v_mov_b32_e32 v82, s29
	s_xor_b32 exec_lo, exec_lo, s30
	s_cbranch_execz .LBB4_4600
.LBB4_4847:                             ;   in Loop: Header=BB4_4582 Depth=3
	v_cmp_ne_u16_e64 s13, 0, v83
	v_mov_b32_e32 v82, 0
	s_and_not1_b32 s14, s14, exec_lo
	s_delay_alu instid0(VALU_DEP_2) | instskip(NEXT) | instid1(SALU_CYCLE_1)
	s_and_b32 s13, s13, exec_lo
	s_or_b32 s14, s14, s13
	s_or_b32 exec_lo, exec_lo, s30
	s_and_saveexec_b32 s29, s14
	s_cbranch_execnz .LBB4_4601
	s_branch .LBB4_4602
.LBB4_4848:                             ;   in Loop: Header=BB4_4582 Depth=3
	s_mov_b32 s14, -1
	s_mov_b32 s31, exec_lo
                                        ; implicit-def: $sgpr29
	v_cmpx_eq_u16_e32 0x80, v83
; %bb.4849:                             ;   in Loop: Header=BB4_4582 Depth=3
	s_mov_b32 s29, 0x7f800001
	s_xor_b32 s14, exec_lo, -1
; %bb.4850:                             ;   in Loop: Header=BB4_4582 Depth=3
	s_or_b32 exec_lo, exec_lo, s31
	s_delay_alu instid0(SALU_CYCLE_1)
	s_and_b32 s14, s14, exec_lo
	s_or_saveexec_b32 s30, s30
	v_mov_b32_e32 v84, s29
	s_xor_b32 exec_lo, exec_lo, s30
	s_cbranch_execz .LBB4_4604
.LBB4_4851:                             ;   in Loop: Header=BB4_4582 Depth=3
	v_cmp_ne_u16_e64 s13, 0, v83
	v_mov_b32_e32 v84, 0
	s_and_not1_b32 s14, s14, exec_lo
	s_delay_alu instid0(VALU_DEP_2) | instskip(NEXT) | instid1(SALU_CYCLE_1)
	s_and_b32 s13, s13, exec_lo
	s_or_b32 s14, s14, s13
	s_or_b32 exec_lo, exec_lo, s30
	s_and_saveexec_b32 s29, s14
	s_cbranch_execnz .LBB4_4605
	s_branch .LBB4_4606
.LBB4_4852:                             ;   in Loop: Header=BB4_4582 Depth=3
	s_mov_b32 s14, -1
	s_mov_b32 s31, exec_lo
                                        ; implicit-def: $sgpr29
	v_cmpx_eq_u16_e32 0x80, v85
; %bb.4853:                             ;   in Loop: Header=BB4_4582 Depth=3
	s_mov_b32 s29, 0x7f800001
	s_xor_b32 s14, exec_lo, -1
; %bb.4854:                             ;   in Loop: Header=BB4_4582 Depth=3
	s_or_b32 exec_lo, exec_lo, s31
	s_delay_alu instid0(SALU_CYCLE_1)
	s_and_b32 s14, s14, exec_lo
                                        ; implicit-def: $vgpr85
	s_or_saveexec_b32 s30, s30
	v_mov_b32_e32 v83, s29
	s_xor_b32 exec_lo, exec_lo, s30
	s_cbranch_execz .LBB4_4616
.LBB4_4855:                             ;   in Loop: Header=BB4_4582 Depth=3
	v_cmp_ne_u16_e64 s13, 0, v85
	v_mov_b32_e32 v83, 0
	s_and_not1_b32 s14, s14, exec_lo
	s_delay_alu instid0(VALU_DEP_2) | instskip(NEXT) | instid1(SALU_CYCLE_1)
	s_and_b32 s13, s13, exec_lo
	s_or_b32 s14, s14, s13
	s_or_b32 exec_lo, exec_lo, s30
	s_and_saveexec_b32 s29, s14
	s_cbranch_execnz .LBB4_4617
	s_branch .LBB4_4618
.LBB4_4856:                             ;   in Loop: Header=BB4_4582 Depth=3
	s_mov_b32 s14, -1
	s_mov_b32 s31, exec_lo
                                        ; implicit-def: $sgpr29
	v_cmpx_eq_u16_e64 0x80, v149
; %bb.4857:                             ;   in Loop: Header=BB4_4582 Depth=3
	s_mov_b32 s29, 0x7f800001
	s_xor_b32 s14, exec_lo, -1
; %bb.4858:                             ;   in Loop: Header=BB4_4582 Depth=3
	s_or_b32 exec_lo, exec_lo, s31
	s_delay_alu instid0(SALU_CYCLE_1)
	s_and_b32 s14, s14, exec_lo
                                        ; implicit-def: $vgpr149
	s_or_saveexec_b32 s30, s30
	v_mov_b32_e32 v85, s29
	s_xor_b32 exec_lo, exec_lo, s30
	s_cbranch_execz .LBB4_4620
.LBB4_4859:                             ;   in Loop: Header=BB4_4582 Depth=3
	v_cmp_ne_u16_e64 s13, 0, v149
	v_mov_b32_e32 v85, 0
	s_and_not1_b32 s14, s14, exec_lo
	s_delay_alu instid0(VALU_DEP_2) | instskip(NEXT) | instid1(SALU_CYCLE_1)
	s_and_b32 s13, s13, exec_lo
	s_or_b32 s14, s14, s13
	s_or_b32 exec_lo, exec_lo, s30
	s_and_saveexec_b32 s29, s14
	s_cbranch_execnz .LBB4_4621
	s_branch .LBB4_4622
.LBB4_4860:                             ;   in Loop: Header=BB4_4582 Depth=3
	s_mov_b32 s14, -1
	s_mov_b32 s31, exec_lo
                                        ; implicit-def: $sgpr29
	v_cmpx_eq_u16_e32 0x80, v85
; %bb.4861:                             ;   in Loop: Header=BB4_4582 Depth=3
	s_mov_b32 s29, 0x7f800001
	s_xor_b32 s14, exec_lo, -1
; %bb.4862:                             ;   in Loop: Header=BB4_4582 Depth=3
	s_or_b32 exec_lo, exec_lo, s31
	s_delay_alu instid0(SALU_CYCLE_1)
	s_and_b32 s14, s14, exec_lo
	s_or_saveexec_b32 s30, s30
	v_mov_b32_e32 v84, s29
	s_xor_b32 exec_lo, exec_lo, s30
	s_cbranch_execz .LBB4_4632
.LBB4_4863:                             ;   in Loop: Header=BB4_4582 Depth=3
	v_cmp_ne_u16_e64 s13, 0, v85
	v_mov_b32_e32 v84, 0
	s_and_not1_b32 s14, s14, exec_lo
	s_delay_alu instid0(VALU_DEP_2) | instskip(NEXT) | instid1(SALU_CYCLE_1)
	s_and_b32 s13, s13, exec_lo
	s_or_b32 s14, s14, s13
	s_or_b32 exec_lo, exec_lo, s30
	s_and_saveexec_b32 s29, s14
	s_cbranch_execnz .LBB4_4633
	s_branch .LBB4_4634
.LBB4_4864:                             ;   in Loop: Header=BB4_4582 Depth=3
	s_mov_b32 s14, -1
	s_mov_b32 s31, exec_lo
                                        ; implicit-def: $sgpr29
	v_cmpx_eq_u16_e32 0x80, v12
; %bb.4865:                             ;   in Loop: Header=BB4_4582 Depth=3
	s_mov_b32 s29, 0x7f800001
	s_xor_b32 s14, exec_lo, -1
; %bb.4866:                             ;   in Loop: Header=BB4_4582 Depth=3
	s_or_b32 exec_lo, exec_lo, s31
	s_delay_alu instid0(SALU_CYCLE_1)
	s_and_b32 s14, s14, exec_lo
	s_or_saveexec_b32 s30, s30
	v_mov_b32_e32 v85, s29
	s_xor_b32 exec_lo, exec_lo, s30
	s_cbranch_execz .LBB4_4636
.LBB4_4867:                             ;   in Loop: Header=BB4_4582 Depth=3
	v_cmp_ne_u16_e64 s13, 0, v12
	v_mov_b32_e32 v85, 0
	s_and_not1_b32 s14, s14, exec_lo
	s_delay_alu instid0(VALU_DEP_2) | instskip(NEXT) | instid1(SALU_CYCLE_1)
	s_and_b32 s13, s13, exec_lo
	s_or_b32 s14, s14, s13
	s_or_b32 exec_lo, exec_lo, s30
	s_and_saveexec_b32 s29, s14
	s_cbranch_execnz .LBB4_4637
	s_branch .LBB4_4638
.LBB4_4868:                             ;   in Loop: Header=BB4_4582 Depth=3
	s_mov_b32 s14, -1
	s_mov_b32 s31, exec_lo
                                        ; implicit-def: $sgpr29
	v_cmpx_eq_u16_e32 0x80, v84
; %bb.4869:                             ;   in Loop: Header=BB4_4582 Depth=3
	s_mov_b32 s29, 0x7f800001
	s_xor_b32 s14, exec_lo, -1
; %bb.4870:                             ;   in Loop: Header=BB4_4582 Depth=3
	s_or_b32 exec_lo, exec_lo, s31
	s_delay_alu instid0(SALU_CYCLE_1)
	s_and_b32 s14, s14, exec_lo
                                        ; implicit-def: $vgpr84
	s_or_saveexec_b32 s30, s30
	v_mov_b32_e32 v12, s29
	s_xor_b32 exec_lo, exec_lo, s30
	s_cbranch_execz .LBB4_4648
.LBB4_4871:                             ;   in Loop: Header=BB4_4582 Depth=3
	v_cmp_ne_u16_e64 s13, 0, v84
	v_mov_b32_e32 v12, 0
	s_and_not1_b32 s14, s14, exec_lo
	s_delay_alu instid0(VALU_DEP_2) | instskip(NEXT) | instid1(SALU_CYCLE_1)
	s_and_b32 s13, s13, exec_lo
	s_or_b32 s14, s14, s13
	s_or_b32 exec_lo, exec_lo, s30
	s_and_saveexec_b32 s29, s14
	s_cbranch_execnz .LBB4_4649
	s_branch .LBB4_4650
.LBB4_4872:                             ;   in Loop: Header=BB4_4582 Depth=3
	s_mov_b32 s14, -1
	s_mov_b32 s31, exec_lo
                                        ; implicit-def: $sgpr29
	v_cmpx_eq_u16_e32 0x80, v85
; %bb.4873:                             ;   in Loop: Header=BB4_4582 Depth=3
	s_mov_b32 s29, 0x7f800001
	s_xor_b32 s14, exec_lo, -1
; %bb.4874:                             ;   in Loop: Header=BB4_4582 Depth=3
	s_or_b32 exec_lo, exec_lo, s31
	s_delay_alu instid0(SALU_CYCLE_1)
	s_and_b32 s14, s14, exec_lo
                                        ; implicit-def: $vgpr85
	s_or_saveexec_b32 s30, s30
	v_mov_b32_e32 v84, s29
	s_xor_b32 exec_lo, exec_lo, s30
	s_cbranch_execz .LBB4_4652
.LBB4_4875:                             ;   in Loop: Header=BB4_4582 Depth=3
	v_cmp_ne_u16_e64 s13, 0, v85
	v_mov_b32_e32 v84, 0
	s_and_not1_b32 s14, s14, exec_lo
	s_delay_alu instid0(VALU_DEP_2) | instskip(NEXT) | instid1(SALU_CYCLE_1)
	s_and_b32 s13, s13, exec_lo
	s_or_b32 s14, s14, s13
	s_or_b32 exec_lo, exec_lo, s30
	s_and_saveexec_b32 s29, s14
	s_cbranch_execnz .LBB4_4653
	s_branch .LBB4_4654
.LBB4_4876:                             ;   in Loop: Header=BB4_4582 Depth=3
	s_mov_b32 s14, -1
	s_mov_b32 s31, exec_lo
                                        ; implicit-def: $sgpr29
	v_cmpx_eq_u16_e32 0x80, v85
; %bb.4877:                             ;   in Loop: Header=BB4_4582 Depth=3
	s_mov_b32 s29, 0x7f800001
	s_xor_b32 s14, exec_lo, -1
; %bb.4878:                             ;   in Loop: Header=BB4_4582 Depth=3
	s_or_b32 exec_lo, exec_lo, s31
	s_delay_alu instid0(SALU_CYCLE_1)
	s_and_b32 s14, s14, exec_lo
	s_or_saveexec_b32 s30, s30
	v_mov_b32_e32 v84, s29
	s_xor_b32 exec_lo, exec_lo, s30
	s_cbranch_execz .LBB4_4664
.LBB4_4879:                             ;   in Loop: Header=BB4_4582 Depth=3
	v_cmp_ne_u16_e64 s13, 0, v85
	v_mov_b32_e32 v84, 0
	s_and_not1_b32 s14, s14, exec_lo
	s_delay_alu instid0(VALU_DEP_2) | instskip(NEXT) | instid1(SALU_CYCLE_1)
	s_and_b32 s13, s13, exec_lo
	s_or_b32 s14, s14, s13
	s_or_b32 exec_lo, exec_lo, s30
	s_and_saveexec_b32 s29, s14
	s_cbranch_execnz .LBB4_4665
	s_branch .LBB4_4666
.LBB4_4880:                             ;   in Loop: Header=BB4_4582 Depth=3
	s_mov_b32 s14, -1
	s_mov_b32 s31, exec_lo
                                        ; implicit-def: $sgpr29
	v_cmpx_eq_u16_e32 0x80, v85
; %bb.4881:                             ;   in Loop: Header=BB4_4582 Depth=3
	s_mov_b32 s29, 0x7f800001
	s_xor_b32 s14, exec_lo, -1
; %bb.4882:                             ;   in Loop: Header=BB4_4582 Depth=3
	s_or_b32 exec_lo, exec_lo, s31
	s_delay_alu instid0(SALU_CYCLE_1)
	s_and_b32 s14, s14, exec_lo
	s_or_saveexec_b32 s30, s30
	v_mov_b32_e32 v149, s29
	s_xor_b32 exec_lo, exec_lo, s30
	s_cbranch_execz .LBB4_4668
.LBB4_4883:                             ;   in Loop: Header=BB4_4582 Depth=3
	v_cmp_ne_u16_e64 s13, 0, v85
	v_mov_b32_e32 v149, 0
	s_and_not1_b32 s14, s14, exec_lo
	s_delay_alu instid0(VALU_DEP_2) | instskip(NEXT) | instid1(SALU_CYCLE_1)
	s_and_b32 s13, s13, exec_lo
	s_or_b32 s14, s14, s13
	s_or_b32 exec_lo, exec_lo, s30
	s_and_saveexec_b32 s29, s14
	s_cbranch_execnz .LBB4_4669
	s_branch .LBB4_4670
.LBB4_4884:                             ;   in Loop: Header=BB4_4582 Depth=3
	s_mov_b32 s14, -1
	s_mov_b32 s31, exec_lo
                                        ; implicit-def: $sgpr29
	v_cmpx_eq_u16_e64 0x80, v150
; %bb.4885:                             ;   in Loop: Header=BB4_4582 Depth=3
	s_mov_b32 s29, 0x7f800001
	s_xor_b32 s14, exec_lo, -1
; %bb.4886:                             ;   in Loop: Header=BB4_4582 Depth=3
	s_or_b32 exec_lo, exec_lo, s31
	s_delay_alu instid0(SALU_CYCLE_1)
	s_and_b32 s14, s14, exec_lo
                                        ; implicit-def: $vgpr150
	s_or_saveexec_b32 s30, s30
	v_mov_b32_e32 v85, s29
	s_xor_b32 exec_lo, exec_lo, s30
	s_cbranch_execz .LBB4_4680
.LBB4_4887:                             ;   in Loop: Header=BB4_4582 Depth=3
	v_cmp_ne_u16_e64 s13, 0, v150
	v_mov_b32_e32 v85, 0
	s_and_not1_b32 s14, s14, exec_lo
	s_delay_alu instid0(VALU_DEP_2) | instskip(NEXT) | instid1(SALU_CYCLE_1)
	s_and_b32 s13, s13, exec_lo
	s_or_b32 s14, s14, s13
	s_or_b32 exec_lo, exec_lo, s30
	s_and_saveexec_b32 s29, s14
	s_cbranch_execnz .LBB4_4681
	s_branch .LBB4_4682
.LBB4_4888:                             ;   in Loop: Header=BB4_4582 Depth=3
	s_mov_b32 s14, -1
	s_mov_b32 s31, exec_lo
                                        ; implicit-def: $sgpr29
	v_cmpx_eq_u16_e64 0x80, v151
; %bb.4889:                             ;   in Loop: Header=BB4_4582 Depth=3
	s_mov_b32 s29, 0x7f800001
	s_xor_b32 s14, exec_lo, -1
; %bb.4890:                             ;   in Loop: Header=BB4_4582 Depth=3
	s_or_b32 exec_lo, exec_lo, s31
	s_delay_alu instid0(SALU_CYCLE_1)
	s_and_b32 s14, s14, exec_lo
                                        ; implicit-def: $vgpr151
	s_or_saveexec_b32 s30, s30
	v_mov_b32_e32 v150, s29
	s_xor_b32 exec_lo, exec_lo, s30
	s_cbranch_execz .LBB4_4684
.LBB4_4891:                             ;   in Loop: Header=BB4_4582 Depth=3
	v_cmp_ne_u16_e64 s13, 0, v151
	v_mov_b32_e32 v150, 0
	s_and_not1_b32 s14, s14, exec_lo
	s_delay_alu instid0(VALU_DEP_2) | instskip(NEXT) | instid1(SALU_CYCLE_1)
	s_and_b32 s13, s13, exec_lo
	s_or_b32 s14, s14, s13
	s_or_b32 exec_lo, exec_lo, s30
	s_and_saveexec_b32 s29, s14
	s_cbranch_execnz .LBB4_4685
	s_branch .LBB4_4686
.LBB4_4892:                             ;   in Loop: Header=BB4_4582 Depth=3
	s_mov_b32 s14, -1
	s_mov_b32 s31, exec_lo
                                        ; implicit-def: $sgpr29
	v_cmpx_eq_u16_e64 0x80, v150
; %bb.4893:                             ;   in Loop: Header=BB4_4582 Depth=3
	s_mov_b32 s29, 0x7f800001
	s_xor_b32 s14, exec_lo, -1
; %bb.4894:                             ;   in Loop: Header=BB4_4582 Depth=3
	s_or_b32 exec_lo, exec_lo, s31
	s_delay_alu instid0(SALU_CYCLE_1)
	s_and_b32 s14, s14, exec_lo
	s_or_saveexec_b32 s30, s30
	v_mov_b32_e32 v149, s29
	s_xor_b32 exec_lo, exec_lo, s30
	s_cbranch_execz .LBB4_4696
.LBB4_4895:                             ;   in Loop: Header=BB4_4582 Depth=3
	v_cmp_ne_u16_e64 s13, 0, v150
	v_mov_b32_e32 v149, 0
	s_and_not1_b32 s14, s14, exec_lo
	s_delay_alu instid0(VALU_DEP_2) | instskip(NEXT) | instid1(SALU_CYCLE_1)
	s_and_b32 s13, s13, exec_lo
	s_or_b32 s14, s14, s13
	s_or_b32 exec_lo, exec_lo, s30
	s_and_saveexec_b32 s29, s14
	s_cbranch_execnz .LBB4_4697
	s_branch .LBB4_4698
.LBB4_4896:                             ;   in Loop: Header=BB4_4582 Depth=3
	s_mov_b32 s14, -1
	s_mov_b32 s31, exec_lo
                                        ; implicit-def: $sgpr29
	v_cmpx_eq_u16_e32 0x80, v13
; %bb.4897:                             ;   in Loop: Header=BB4_4582 Depth=3
	s_mov_b32 s29, 0x7f800001
	s_xor_b32 s14, exec_lo, -1
; %bb.4898:                             ;   in Loop: Header=BB4_4582 Depth=3
	s_or_b32 exec_lo, exec_lo, s31
	s_delay_alu instid0(SALU_CYCLE_1)
	s_and_b32 s14, s14, exec_lo
	s_or_saveexec_b32 s30, s30
	v_mov_b32_e32 v150, s29
	s_xor_b32 exec_lo, exec_lo, s30
	s_cbranch_execz .LBB4_4700
.LBB4_4899:                             ;   in Loop: Header=BB4_4582 Depth=3
	v_cmp_ne_u16_e64 s13, 0, v13
	v_mov_b32_e32 v150, 0
	s_and_not1_b32 s14, s14, exec_lo
	s_delay_alu instid0(VALU_DEP_2) | instskip(NEXT) | instid1(SALU_CYCLE_1)
	s_and_b32 s13, s13, exec_lo
	s_or_b32 s14, s14, s13
	s_or_b32 exec_lo, exec_lo, s30
	s_and_saveexec_b32 s29, s14
	s_cbranch_execnz .LBB4_4701
	s_branch .LBB4_4702
.LBB4_4900:                             ;   in Loop: Header=BB4_4582 Depth=3
	s_mov_b32 s14, -1
	s_mov_b32 s31, exec_lo
                                        ; implicit-def: $sgpr29
	v_cmpx_eq_u16_e64 0x80, v149
; %bb.4901:                             ;   in Loop: Header=BB4_4582 Depth=3
	s_mov_b32 s29, 0x7f800001
	s_xor_b32 s14, exec_lo, -1
; %bb.4902:                             ;   in Loop: Header=BB4_4582 Depth=3
	s_or_b32 exec_lo, exec_lo, s31
	s_delay_alu instid0(SALU_CYCLE_1)
	s_and_b32 s14, s14, exec_lo
                                        ; implicit-def: $vgpr149
	s_or_saveexec_b32 s30, s30
	v_mov_b32_e32 v13, s29
	s_xor_b32 exec_lo, exec_lo, s30
	s_cbranch_execz .LBB4_4712
.LBB4_4903:                             ;   in Loop: Header=BB4_4582 Depth=3
	v_cmp_ne_u16_e64 s13, 0, v149
	v_mov_b32_e32 v13, 0
	s_and_not1_b32 s14, s14, exec_lo
	s_delay_alu instid0(VALU_DEP_2) | instskip(NEXT) | instid1(SALU_CYCLE_1)
	s_and_b32 s13, s13, exec_lo
	s_or_b32 s14, s14, s13
	s_or_b32 exec_lo, exec_lo, s30
	s_and_saveexec_b32 s29, s14
	s_cbranch_execnz .LBB4_4713
	s_branch .LBB4_4714
.LBB4_4904:                             ;   in Loop: Header=BB4_4582 Depth=3
	s_mov_b32 s14, -1
	s_mov_b32 s31, exec_lo
                                        ; implicit-def: $sgpr29
	v_cmpx_eq_u16_e64 0x80, v150
; %bb.4905:                             ;   in Loop: Header=BB4_4582 Depth=3
	s_mov_b32 s29, 0x7f800001
	s_xor_b32 s14, exec_lo, -1
; %bb.4906:                             ;   in Loop: Header=BB4_4582 Depth=3
	s_or_b32 exec_lo, exec_lo, s31
	s_delay_alu instid0(SALU_CYCLE_1)
	s_and_b32 s14, s14, exec_lo
                                        ; implicit-def: $vgpr150
	s_or_saveexec_b32 s30, s30
	v_mov_b32_e32 v149, s29
	s_xor_b32 exec_lo, exec_lo, s30
	s_cbranch_execz .LBB4_4716
.LBB4_4907:                             ;   in Loop: Header=BB4_4582 Depth=3
	v_cmp_ne_u16_e64 s13, 0, v150
	v_mov_b32_e32 v149, 0
	s_and_not1_b32 s14, s14, exec_lo
	s_delay_alu instid0(VALU_DEP_2) | instskip(NEXT) | instid1(SALU_CYCLE_1)
	s_and_b32 s13, s13, exec_lo
	s_or_b32 s14, s14, s13
	s_or_b32 exec_lo, exec_lo, s30
	s_and_saveexec_b32 s29, s14
	s_cbranch_execnz .LBB4_4717
	s_branch .LBB4_4718
.LBB4_4908:                             ;   in Loop: Header=BB4_4582 Depth=3
	s_mov_b32 s14, -1
	s_mov_b32 s31, exec_lo
                                        ; implicit-def: $sgpr29
	v_cmpx_eq_u16_e64 0x80, v150
; %bb.4909:                             ;   in Loop: Header=BB4_4582 Depth=3
	s_mov_b32 s29, 0x7f800001
	s_xor_b32 s14, exec_lo, -1
; %bb.4910:                             ;   in Loop: Header=BB4_4582 Depth=3
	s_or_b32 exec_lo, exec_lo, s31
	s_delay_alu instid0(SALU_CYCLE_1)
	s_and_b32 s14, s14, exec_lo
	s_or_saveexec_b32 s30, s30
	v_mov_b32_e32 v149, s29
	s_xor_b32 exec_lo, exec_lo, s30
	s_cbranch_execz .LBB4_4728
.LBB4_4911:                             ;   in Loop: Header=BB4_4582 Depth=3
	v_cmp_ne_u16_e64 s13, 0, v150
	v_mov_b32_e32 v149, 0
	s_and_not1_b32 s14, s14, exec_lo
	s_delay_alu instid0(VALU_DEP_2) | instskip(NEXT) | instid1(SALU_CYCLE_1)
	s_and_b32 s13, s13, exec_lo
	s_or_b32 s14, s14, s13
	s_or_b32 exec_lo, exec_lo, s30
	s_and_saveexec_b32 s29, s14
	s_cbranch_execnz .LBB4_4729
	s_branch .LBB4_4730
.LBB4_4912:                             ;   in Loop: Header=BB4_4582 Depth=3
	s_mov_b32 s14, -1
	s_mov_b32 s31, exec_lo
                                        ; implicit-def: $sgpr29
	v_cmpx_eq_u16_e64 0x80, v150
; %bb.4913:                             ;   in Loop: Header=BB4_4582 Depth=3
	s_mov_b32 s29, 0x7f800001
	s_xor_b32 s14, exec_lo, -1
; %bb.4914:                             ;   in Loop: Header=BB4_4582 Depth=3
	s_or_b32 exec_lo, exec_lo, s31
	s_delay_alu instid0(SALU_CYCLE_1)
	s_and_b32 s14, s14, exec_lo
	s_or_saveexec_b32 s30, s30
	v_mov_b32_e32 v151, s29
	s_xor_b32 exec_lo, exec_lo, s30
	s_cbranch_execz .LBB4_4732
.LBB4_4915:                             ;   in Loop: Header=BB4_4582 Depth=3
	v_cmp_ne_u16_e64 s13, 0, v150
	v_mov_b32_e32 v151, 0
	s_and_not1_b32 s14, s14, exec_lo
	s_delay_alu instid0(VALU_DEP_2) | instskip(NEXT) | instid1(SALU_CYCLE_1)
	s_and_b32 s13, s13, exec_lo
	s_or_b32 s14, s14, s13
	s_or_b32 exec_lo, exec_lo, s30
	s_and_saveexec_b32 s29, s14
	s_cbranch_execnz .LBB4_4733
	s_branch .LBB4_4734
.LBB4_4916:                             ;   in Loop: Header=BB4_4582 Depth=3
	s_mov_b32 s14, -1
	s_mov_b32 s31, exec_lo
                                        ; implicit-def: $sgpr29
	v_cmpx_eq_u16_e64 0x80, v160
; %bb.4917:                             ;   in Loop: Header=BB4_4582 Depth=3
	s_mov_b32 s29, 0x7f800001
	s_xor_b32 s14, exec_lo, -1
; %bb.4918:                             ;   in Loop: Header=BB4_4582 Depth=3
	s_or_b32 exec_lo, exec_lo, s31
	s_delay_alu instid0(SALU_CYCLE_1)
	s_and_b32 s14, s14, exec_lo
                                        ; implicit-def: $vgpr160
	s_or_saveexec_b32 s30, s30
	v_mov_b32_e32 v150, s29
	s_xor_b32 exec_lo, exec_lo, s30
	s_cbranch_execz .LBB4_4744
.LBB4_4919:                             ;   in Loop: Header=BB4_4582 Depth=3
	v_cmp_ne_u16_e64 s13, 0, v160
	v_mov_b32_e32 v150, 0
	s_and_not1_b32 s14, s14, exec_lo
	s_delay_alu instid0(VALU_DEP_2) | instskip(NEXT) | instid1(SALU_CYCLE_1)
	s_and_b32 s13, s13, exec_lo
	s_or_b32 s14, s14, s13
	s_or_b32 exec_lo, exec_lo, s30
	s_and_saveexec_b32 s29, s14
	s_cbranch_execnz .LBB4_4745
	s_branch .LBB4_4746
.LBB4_4920:                             ;   in Loop: Header=BB4_4582 Depth=3
	s_mov_b32 s14, -1
	s_mov_b32 s31, exec_lo
                                        ; implicit-def: $sgpr29
	v_cmpx_eq_u16_e64 0x80, v161
; %bb.4921:                             ;   in Loop: Header=BB4_4582 Depth=3
	s_mov_b32 s29, 0x7f800001
	s_xor_b32 s14, exec_lo, -1
; %bb.4922:                             ;   in Loop: Header=BB4_4582 Depth=3
	s_or_b32 exec_lo, exec_lo, s31
	s_delay_alu instid0(SALU_CYCLE_1)
	s_and_b32 s14, s14, exec_lo
                                        ; implicit-def: $vgpr161
	s_or_saveexec_b32 s30, s30
	v_mov_b32_e32 v160, s29
	s_xor_b32 exec_lo, exec_lo, s30
	s_cbranch_execz .LBB4_4748
.LBB4_4923:                             ;   in Loop: Header=BB4_4582 Depth=3
	v_cmp_ne_u16_e64 s13, 0, v161
	v_mov_b32_e32 v160, 0
	s_and_not1_b32 s14, s14, exec_lo
	s_delay_alu instid0(VALU_DEP_2) | instskip(NEXT) | instid1(SALU_CYCLE_1)
	s_and_b32 s13, s13, exec_lo
	s_or_b32 s14, s14, s13
	s_or_b32 exec_lo, exec_lo, s30
	s_and_saveexec_b32 s29, s14
	s_cbranch_execnz .LBB4_4749
	s_branch .LBB4_4750
.LBB4_4924:                             ;   in Loop: Header=BB4_4582 Depth=3
	s_mov_b32 s14, -1
	s_mov_b32 s31, exec_lo
                                        ; implicit-def: $sgpr29
	v_cmpx_eq_u16_e64 0x80, v160
; %bb.4925:                             ;   in Loop: Header=BB4_4582 Depth=3
	s_mov_b32 s29, 0x7f800001
	s_xor_b32 s14, exec_lo, -1
; %bb.4926:                             ;   in Loop: Header=BB4_4582 Depth=3
	s_or_b32 exec_lo, exec_lo, s31
	s_delay_alu instid0(SALU_CYCLE_1)
	s_and_b32 s14, s14, exec_lo
	s_or_saveexec_b32 s30, s30
	v_mov_b32_e32 v151, s29
	s_xor_b32 exec_lo, exec_lo, s30
	s_cbranch_execz .LBB4_4760
.LBB4_4927:                             ;   in Loop: Header=BB4_4582 Depth=3
	v_cmp_ne_u16_e64 s13, 0, v160
	v_mov_b32_e32 v151, 0
	s_and_not1_b32 s14, s14, exec_lo
	s_delay_alu instid0(VALU_DEP_2) | instskip(NEXT) | instid1(SALU_CYCLE_1)
	s_and_b32 s13, s13, exec_lo
	s_or_b32 s14, s14, s13
	s_or_b32 exec_lo, exec_lo, s30
	s_and_saveexec_b32 s29, s14
	s_cbranch_execnz .LBB4_4761
	s_branch .LBB4_4762
.LBB4_4928:                             ;   in Loop: Header=BB4_4582 Depth=3
	s_mov_b32 s14, -1
	s_mov_b32 s31, exec_lo
                                        ; implicit-def: $sgpr29
	v_cmpx_eq_u16_e32 0x80, v14
; %bb.4929:                             ;   in Loop: Header=BB4_4582 Depth=3
	s_mov_b32 s29, 0x7f800001
	s_xor_b32 s14, exec_lo, -1
; %bb.4930:                             ;   in Loop: Header=BB4_4582 Depth=3
	s_or_b32 exec_lo, exec_lo, s31
	s_delay_alu instid0(SALU_CYCLE_1)
	s_and_b32 s14, s14, exec_lo
	s_or_saveexec_b32 s30, s30
	v_mov_b32_e32 v160, s29
	s_xor_b32 exec_lo, exec_lo, s30
	s_cbranch_execz .LBB4_4764
.LBB4_4931:                             ;   in Loop: Header=BB4_4582 Depth=3
	v_cmp_ne_u16_e64 s13, 0, v14
	v_mov_b32_e32 v160, 0
	s_and_not1_b32 s14, s14, exec_lo
	s_delay_alu instid0(VALU_DEP_2) | instskip(NEXT) | instid1(SALU_CYCLE_1)
	s_and_b32 s13, s13, exec_lo
	s_or_b32 s14, s14, s13
	s_or_b32 exec_lo, exec_lo, s30
	s_and_saveexec_b32 s29, s14
	s_cbranch_execnz .LBB4_4765
	s_branch .LBB4_4766
.LBB4_4932:                             ;   in Loop: Header=BB4_4582 Depth=3
	s_mov_b32 s14, -1
	s_mov_b32 s31, exec_lo
                                        ; implicit-def: $sgpr29
	v_cmpx_eq_u16_e64 0x80, v151
; %bb.4933:                             ;   in Loop: Header=BB4_4582 Depth=3
	s_mov_b32 s29, 0x7f800001
	s_xor_b32 s14, exec_lo, -1
; %bb.4934:                             ;   in Loop: Header=BB4_4582 Depth=3
	s_or_b32 exec_lo, exec_lo, s31
	s_delay_alu instid0(SALU_CYCLE_1)
	s_and_b32 s14, s14, exec_lo
                                        ; implicit-def: $vgpr151
	s_or_saveexec_b32 s30, s30
	v_mov_b32_e32 v14, s29
	s_xor_b32 exec_lo, exec_lo, s30
	s_cbranch_execz .LBB4_4776
.LBB4_4935:                             ;   in Loop: Header=BB4_4582 Depth=3
	v_cmp_ne_u16_e64 s13, 0, v151
	v_mov_b32_e32 v14, 0
	s_and_not1_b32 s14, s14, exec_lo
	s_delay_alu instid0(VALU_DEP_2) | instskip(NEXT) | instid1(SALU_CYCLE_1)
	s_and_b32 s13, s13, exec_lo
	s_or_b32 s14, s14, s13
	s_or_b32 exec_lo, exec_lo, s30
	s_and_saveexec_b32 s29, s14
	s_cbranch_execnz .LBB4_4777
	s_branch .LBB4_4778
.LBB4_4936:                             ;   in Loop: Header=BB4_4582 Depth=3
	s_mov_b32 s14, -1
	s_mov_b32 s31, exec_lo
                                        ; implicit-def: $sgpr29
	v_cmpx_eq_u16_e64 0x80, v160
; %bb.4937:                             ;   in Loop: Header=BB4_4582 Depth=3
	s_mov_b32 s29, 0x7f800001
	s_xor_b32 s14, exec_lo, -1
; %bb.4938:                             ;   in Loop: Header=BB4_4582 Depth=3
	s_or_b32 exec_lo, exec_lo, s31
	s_delay_alu instid0(SALU_CYCLE_1)
	s_and_b32 s14, s14, exec_lo
                                        ; implicit-def: $vgpr160
	s_or_saveexec_b32 s30, s30
	v_mov_b32_e32 v151, s29
	s_xor_b32 exec_lo, exec_lo, s30
	s_cbranch_execz .LBB4_4780
.LBB4_4939:                             ;   in Loop: Header=BB4_4582 Depth=3
	v_cmp_ne_u16_e64 s13, 0, v160
	v_mov_b32_e32 v151, 0
	s_and_not1_b32 s14, s14, exec_lo
	s_delay_alu instid0(VALU_DEP_2) | instskip(NEXT) | instid1(SALU_CYCLE_1)
	s_and_b32 s13, s13, exec_lo
	s_or_b32 s14, s14, s13
	s_or_b32 exec_lo, exec_lo, s30
	s_and_saveexec_b32 s29, s14
	s_cbranch_execnz .LBB4_4781
	s_branch .LBB4_4782
.LBB4_4940:                             ;   in Loop: Header=BB4_4582 Depth=3
	s_mov_b32 s14, -1
	s_mov_b32 s31, exec_lo
                                        ; implicit-def: $sgpr29
	v_cmpx_eq_u16_e64 0x80, v160
; %bb.4941:                             ;   in Loop: Header=BB4_4582 Depth=3
	s_mov_b32 s29, 0x7f800001
	s_xor_b32 s14, exec_lo, -1
; %bb.4942:                             ;   in Loop: Header=BB4_4582 Depth=3
	s_or_b32 exec_lo, exec_lo, s31
	s_delay_alu instid0(SALU_CYCLE_1)
	s_and_b32 s14, s14, exec_lo
	s_or_saveexec_b32 s30, s30
	v_mov_b32_e32 v151, s29
	s_xor_b32 exec_lo, exec_lo, s30
	s_cbranch_execz .LBB4_4792
.LBB4_4943:                             ;   in Loop: Header=BB4_4582 Depth=3
	v_cmp_ne_u16_e64 s13, 0, v160
	v_mov_b32_e32 v151, 0
	s_and_not1_b32 s14, s14, exec_lo
	s_delay_alu instid0(VALU_DEP_2) | instskip(NEXT) | instid1(SALU_CYCLE_1)
	s_and_b32 s13, s13, exec_lo
	s_or_b32 s14, s14, s13
	s_or_b32 exec_lo, exec_lo, s30
	s_and_saveexec_b32 s29, s14
	s_cbranch_execnz .LBB4_4793
	s_branch .LBB4_4794
.LBB4_4944:                             ;   in Loop: Header=BB4_4582 Depth=3
	s_mov_b32 s14, -1
	s_mov_b32 s31, exec_lo
                                        ; implicit-def: $sgpr29
	v_cmpx_eq_u16_e64 0x80, v160
; %bb.4945:                             ;   in Loop: Header=BB4_4582 Depth=3
	s_mov_b32 s29, 0x7f800001
	s_xor_b32 s14, exec_lo, -1
; %bb.4946:                             ;   in Loop: Header=BB4_4582 Depth=3
	s_or_b32 exec_lo, exec_lo, s31
	s_delay_alu instid0(SALU_CYCLE_1)
	s_and_b32 s14, s14, exec_lo
	s_or_saveexec_b32 s30, s30
	v_mov_b32_e32 v161, s29
	s_xor_b32 exec_lo, exec_lo, s30
	s_cbranch_execz .LBB4_4796
.LBB4_4947:                             ;   in Loop: Header=BB4_4582 Depth=3
	v_cmp_ne_u16_e64 s13, 0, v160
	v_mov_b32_e32 v161, 0
	s_and_not1_b32 s14, s14, exec_lo
	s_delay_alu instid0(VALU_DEP_2) | instskip(NEXT) | instid1(SALU_CYCLE_1)
	s_and_b32 s13, s13, exec_lo
	s_or_b32 s14, s14, s13
	s_or_b32 exec_lo, exec_lo, s30
	s_and_saveexec_b32 s29, s14
	s_cbranch_execnz .LBB4_4797
	s_branch .LBB4_4798
.LBB4_4948:                             ;   in Loop: Header=BB4_4582 Depth=3
	s_mov_b32 s14, -1
	s_mov_b32 s31, exec_lo
                                        ; implicit-def: $sgpr29
	v_cmpx_eq_u16_e64 0x80, v162
; %bb.4949:                             ;   in Loop: Header=BB4_4582 Depth=3
	s_mov_b32 s29, 0x7f800001
	s_xor_b32 s14, exec_lo, -1
; %bb.4950:                             ;   in Loop: Header=BB4_4582 Depth=3
	s_or_b32 exec_lo, exec_lo, s31
	s_delay_alu instid0(SALU_CYCLE_1)
	s_and_b32 s14, s14, exec_lo
                                        ; implicit-def: $vgpr162
	s_or_saveexec_b32 s30, s30
	v_mov_b32_e32 v160, s29
	s_xor_b32 exec_lo, exec_lo, s30
	s_cbranch_execz .LBB4_4808
.LBB4_4951:                             ;   in Loop: Header=BB4_4582 Depth=3
	v_cmp_ne_u16_e64 s13, 0, v162
	v_mov_b32_e32 v160, 0
	s_and_not1_b32 s14, s14, exec_lo
	s_delay_alu instid0(VALU_DEP_2) | instskip(NEXT) | instid1(SALU_CYCLE_1)
	s_and_b32 s13, s13, exec_lo
	s_or_b32 s14, s14, s13
	s_or_b32 exec_lo, exec_lo, s30
	s_and_saveexec_b32 s29, s14
	s_cbranch_execnz .LBB4_4809
	s_branch .LBB4_4810
.LBB4_4952:                             ;   in Loop: Header=BB4_4582 Depth=3
	s_mov_b32 s14, -1
	s_mov_b32 s31, exec_lo
                                        ; implicit-def: $sgpr29
	v_cmpx_eq_u16_e64 0x80, v163
; %bb.4953:                             ;   in Loop: Header=BB4_4582 Depth=3
	s_mov_b32 s29, 0x7f800001
	s_xor_b32 s14, exec_lo, -1
; %bb.4954:                             ;   in Loop: Header=BB4_4582 Depth=3
	s_or_b32 exec_lo, exec_lo, s31
	s_delay_alu instid0(SALU_CYCLE_1)
	s_and_b32 s14, s14, exec_lo
                                        ; implicit-def: $vgpr163
	s_or_saveexec_b32 s30, s30
	v_mov_b32_e32 v162, s29
	s_xor_b32 exec_lo, exec_lo, s30
	s_cbranch_execz .LBB4_4812
.LBB4_4955:                             ;   in Loop: Header=BB4_4582 Depth=3
	v_cmp_ne_u16_e64 s13, 0, v163
	v_mov_b32_e32 v162, 0
	s_and_not1_b32 s14, s14, exec_lo
	s_delay_alu instid0(VALU_DEP_2) | instskip(NEXT) | instid1(SALU_CYCLE_1)
	s_and_b32 s13, s13, exec_lo
	s_or_b32 s14, s14, s13
	s_or_b32 exec_lo, exec_lo, s30
	s_and_saveexec_b32 s29, s14
	s_cbranch_execnz .LBB4_4813
	s_branch .LBB4_4814
.LBB4_4956:                             ;   in Loop: Header=BB4_4582 Depth=3
	s_mov_b32 s14, -1
	s_mov_b32 s31, exec_lo
                                        ; implicit-def: $sgpr29
	v_cmpx_eq_u16_e64 0x80, v162
; %bb.4957:                             ;   in Loop: Header=BB4_4582 Depth=3
	s_mov_b32 s29, 0x7f800001
	s_xor_b32 s14, exec_lo, -1
; %bb.4958:                             ;   in Loop: Header=BB4_4582 Depth=3
	s_or_b32 exec_lo, exec_lo, s31
	s_delay_alu instid0(SALU_CYCLE_1)
	s_and_b32 s14, s14, exec_lo
	s_or_saveexec_b32 s30, s30
	v_mov_b32_e32 v161, s29
	s_xor_b32 exec_lo, exec_lo, s30
	s_cbranch_execz .LBB4_4824
.LBB4_4959:                             ;   in Loop: Header=BB4_4582 Depth=3
	v_cmp_ne_u16_e64 s13, 0, v162
	v_mov_b32_e32 v161, 0
	s_and_not1_b32 s14, s14, exec_lo
	s_delay_alu instid0(VALU_DEP_2) | instskip(NEXT) | instid1(SALU_CYCLE_1)
	s_and_b32 s13, s13, exec_lo
	s_or_b32 s14, s14, s13
	s_or_b32 exec_lo, exec_lo, s30
	s_and_saveexec_b32 s29, s14
	s_cbranch_execnz .LBB4_4825
	s_branch .LBB4_4826
.LBB4_4960:                             ;   in Loop: Header=BB4_4582 Depth=3
	s_mov_b32 s14, -1
	s_mov_b32 s31, exec_lo
                                        ; implicit-def: $sgpr29
	v_cmpx_eq_u16_e32 0x80, v15
; %bb.4961:                             ;   in Loop: Header=BB4_4582 Depth=3
	s_mov_b32 s29, 0x7f800001
	s_xor_b32 s14, exec_lo, -1
; %bb.4962:                             ;   in Loop: Header=BB4_4582 Depth=3
	s_or_b32 exec_lo, exec_lo, s31
	s_delay_alu instid0(SALU_CYCLE_1)
	s_and_b32 s14, s14, exec_lo
	s_or_saveexec_b32 s30, s30
	v_mov_b32_e32 v162, s29
	s_xor_b32 exec_lo, exec_lo, s30
	s_cbranch_execz .LBB4_4828
.LBB4_4963:                             ;   in Loop: Header=BB4_4582 Depth=3
	v_cmp_ne_u16_e64 s13, 0, v15
	v_mov_b32_e32 v162, 0
	s_and_not1_b32 s14, s14, exec_lo
	s_delay_alu instid0(VALU_DEP_2) | instskip(NEXT) | instid1(SALU_CYCLE_1)
	s_and_b32 s13, s13, exec_lo
	s_or_b32 s14, s14, s13
	s_or_b32 exec_lo, exec_lo, s30
	s_and_saveexec_b32 s29, s14
	s_cbranch_execnz .LBB4_4829
	s_branch .LBB4_4830
.LBB4_4964:                             ;   in Loop: Header=BB4_2119 Depth=2
	s_or_b32 exec_lo, exec_lo, s17
.LBB4_4965:                             ;   in Loop: Header=BB4_2119 Depth=2
	s_delay_alu instid0(SALU_CYCLE_1) | instskip(SKIP_3) | instid1(VALU_DEP_1)
	s_or_b32 exec_lo, exec_lo, s16
	v_dual_mov_b32 v14, 0 :: v_dual_and_b32 v9, 15, v148
	s_mov_b32 s14, 0
	s_mov_b32 s16, exec_lo
                                        ; implicit-def: $vgpr16
                                        ; implicit-def: $vgpr8
	v_cndmask_b32_e32 v15, v69, v9, vcc_lo
	s_delay_alu instid0(VALU_DEP_1)
	v_cmpx_ne_u32_e32 0, v15
; %bb.4966:                             ;   in Loop: Header=BB4_2119 Depth=2
	v_cmp_lt_i32_e64 s13, 0, v70
	v_sub_nc_u32_e32 v9, v69, v9
	s_mov_b32 s14, exec_lo
	s_delay_alu instid0(VALU_DEP_2) | instskip(NEXT) | instid1(VALU_DEP_1)
	v_cndmask_b32_e64 v8, 0, v97, s13
	v_sub_nc_u32_e32 v8, v8, v70
	s_delay_alu instid0(VALU_DEP_1) | instskip(NEXT) | instid1(VALU_DEP_1)
	v_lshl_add_u32 v16, v8, 5, v23
	v_ashrrev_i32_e32 v8, 31, v16
	s_delay_alu instid0(VALU_DEP_1) | instskip(NEXT) | instid1(VALU_DEP_1)
	v_lshrrev_b32_e32 v8, 27, v8
	v_dual_cndmask_b32 v9, 0, v9 :: v_dual_add_nc_u32 v8, v16, v8
	s_delay_alu instid0(VALU_DEP_1) | instskip(NEXT) | instid1(VALU_DEP_2)
	v_add3_u32 v14, v2, v22, v9
	v_ashrrev_i32_e32 v8, 5, v8
; %bb.4967:                             ;   in Loop: Header=BB4_2119 Depth=2
	s_or_b32 exec_lo, exec_lo, s16
	s_delay_alu instid0(SALU_CYCLE_1)
	s_and_b32 s13, s14, exec_lo
.LBB4_4968:                             ;   in Loop: Header=BB4_2119 Depth=2
	s_or_b32 exec_lo, exec_lo, s15
.LBB4_4969:                             ;   in Loop: Header=BB4_2119 Depth=2
	s_and_saveexec_b32 s14, s13
	s_cbranch_execz .LBB4_5389
; %bb.4970:                             ;   in Loop: Header=BB4_2119 Depth=2
	v_ashrrev_i32_e32 v2, 31, v15
	s_mov_b32 s15, exec_lo
	s_delay_alu instid0(VALU_DEP_1) | instskip(NEXT) | instid1(VALU_DEP_1)
	v_lshrrev_b32_e32 v2, 23, v2
	v_add_nc_u32_e32 v2, v15, v2
	s_delay_alu instid0(VALU_DEP_1) | instskip(NEXT) | instid1(VALU_DEP_1)
	v_ashrrev_i32_e32 v17, 9, v2
	v_sub_nc_u32_e32 v2, v17, v8
	s_delay_alu instid0(VALU_DEP_1)
	v_cmpx_lt_i32_e32 0, v2
	s_cbranch_execz .LBB4_5359
; %bb.4971:                             ;   in Loop: Header=BB4_2119 Depth=2
	s_cbranch_execnz .LBB4_6451
; %bb.4972:                             ;   in Loop: Header=BB4_2119 Depth=2
	v_ashrrev_i32_e32 v9, 31, v16
	ds_load_b64 v[18:19], v0
	v_lshlrev_b32_e32 v8, 9, v8
	s_mov_b32 s16, 0
	v_lshrrev_b32_e32 v9, 27, v9
	s_delay_alu instid0(VALU_DEP_1) | instskip(NEXT) | instid1(VALU_DEP_1)
	v_add_nc_u32_e32 v9, v16, v9
	v_and_b32_e32 v13, 0xffffffe0, v9
	ds_load_b128 v[9:12], v0
	v_sub_nc_u32_e32 v13, v16, v13
	s_waitcnt lgkmcnt(1)
	v_add_co_u32 v18, vcc_lo, 0x1e0, v18
	v_add_co_ci_u32_e32 v19, vcc_lo, 0, v19, vcc_lo
	s_delay_alu instid0(VALU_DEP_3) | instskip(NEXT) | instid1(VALU_DEP_1)
	v_add3_u32 v13, v14, v13, v8
	v_ashrrev_i32_e32 v20, 31, v13
	s_waitcnt lgkmcnt(0)
	v_add_co_u32 v8, vcc_lo, v9, v13
	s_delay_alu instid0(VALU_DEP_2)
	v_add_co_ci_u32_e32 v9, vcc_lo, v10, v20, vcc_lo
	v_add_co_u32 v10, vcc_lo, v11, v13
	v_add_co_ci_u32_e32 v11, vcc_lo, v12, v20, vcc_lo
	v_add_co_u32 v12, vcc_lo, v18, v13
	v_add_co_ci_u32_e32 v13, vcc_lo, v19, v20, vcc_lo
	s_branch .LBB4_4976
.LBB4_4973:                             ;   in Loop: Header=BB4_4976 Depth=3
	s_or_b32 exec_lo, exec_lo, s13
	s_delay_alu instid0(VALU_DEP_1) | instskip(NEXT) | instid1(VALU_DEP_2)
	v_lshrrev_b32_e32 v22, 20, v22
	v_cmp_gt_i32_e32 vcc_lo, 16, v18
	v_lshrrev_b32_e32 v19, 24, v19
	v_min_i32_e32 v70, 15, v18
	s_delay_alu instid0(VALU_DEP_2) | instskip(NEXT) | instid1(VALU_DEP_2)
	v_dual_cndmask_b32 v22, 7, v22 :: v_dual_and_b32 v19, 0x80, v19
	v_lshlrev_b32_e32 v70, 3, v70
	s_delay_alu instid0(VALU_DEP_2) | instskip(SKIP_1) | instid1(VALU_DEP_2)
	v_and_b32_e32 v82, 7, v22
	v_or_b32_e32 v18, v18, v22
	v_or3_b32 v19, v70, v19, v82
	s_delay_alu instid0(VALU_DEP_2) | instskip(NEXT) | instid1(VALU_DEP_2)
	v_cmp_ne_u32_e32 vcc_lo, 0, v18
	v_cndmask_b32_e32 v18, 0, v19, vcc_lo
.LBB4_4974:                             ;   in Loop: Header=BB4_4976 Depth=3
	s_or_b32 exec_lo, exec_lo, s29
.LBB4_4975:                             ;   in Loop: Header=BB4_4976 Depth=3
	s_delay_alu instid0(SALU_CYCLE_1)
	s_or_b32 exec_lo, exec_lo, s17
	v_add_co_u32 v176, vcc_lo, 0xfffffe20, v12
	v_add_co_ci_u32_e32 v177, vcc_lo, -1, v13, vcc_lo
	v_add_co_u32 v178, vcc_lo, 0xfffffe40, v12
	v_add_co_ci_u32_e32 v179, vcc_lo, -1, v13, vcc_lo
	;; [unrolled: 2-line block ×5, first 2 shown]
	v_add_co_u32 v19, vcc_lo, 0xfffffec0, v12
	flat_store_b8 v[176:177], v20 glc slc dlc
	flat_store_b8 v[178:179], v23 glc slc dlc
	;; [unrolled: 1-line block ×5, first 2 shown]
	v_add_co_ci_u32_e32 v20, vcc_lo, -1, v13, vcc_lo
	v_add_co_u32 v22, vcc_lo, 0xfffffee0, v12
	v_add_co_ci_u32_e32 v23, vcc_lo, -1, v13, vcc_lo
	v_add_co_u32 v82, vcc_lo, 0xffffff00, v12
	;; [unrolled: 2-line block ×4, first 2 shown]
	v_add_co_ci_u32_e32 v179, vcc_lo, -1, v13, vcc_lo
	flat_store_b8 v[19:20], v160 glc slc dlc
	flat_store_b8 v[22:23], v163 glc slc dlc
	;; [unrolled: 1-line block ×5, first 2 shown]
	v_add_co_u32 v19, vcc_lo, 0xffffff60, v12
	v_add_co_ci_u32_e32 v20, vcc_lo, -1, v13, vcc_lo
	v_add_co_u32 v22, vcc_lo, 0xffffff80, v12
	v_add_co_ci_u32_e32 v23, vcc_lo, -1, v13, vcc_lo
	;; [unrolled: 2-line block ×5, first 2 shown]
	v_add_co_u32 v8, vcc_lo, v8, v117
	v_sub_nc_u32_e32 v2, v2, v97
	v_add_co_ci_u32_e32 v9, vcc_lo, v9, v118, vcc_lo
	v_add_co_u32 v10, vcc_lo, v10, v117
	v_add_co_ci_u32_e32 v11, vcc_lo, v11, v118, vcc_lo
	flat_store_b8 v[19:20], v150 glc slc dlc
	flat_store_b8 v[22:23], v84 glc slc dlc
	;; [unrolled: 1-line block ×6, first 2 shown]
	v_cmp_gt_i32_e32 vcc_lo, 1, v2
	v_add_co_u32 v12, s13, v12, v117
	s_delay_alu instid0(VALU_DEP_1) | instskip(SKIP_1) | instid1(SALU_CYCLE_1)
	v_add_co_ci_u32_e64 v13, s13, v13, v118, s13
	s_or_b32 s16, vcc_lo, s16
	s_and_not1_b32 exec_lo, exec_lo, s16
	s_cbranch_execz .LBB4_5358
.LBB4_4976:                             ;   Parent Loop BB4_51 Depth=1
                                        ;     Parent Loop BB4_2119 Depth=2
                                        ; =>    This Inner Loop Header: Depth=3
	s_clause 0xf
	flat_load_u8 v183, v[8:9] slc dlc
	flat_load_u8 v181, v[8:9] offset:32 slc dlc
	flat_load_u8 v180, v[8:9] offset:64 slc dlc
	;; [unrolled: 1-line block ×15, first 2 shown]
	s_clause 0xf
	flat_load_u8 v20, v[10:11] slc dlc
	flat_load_u8 v23, v[10:11] offset:32 slc dlc
	flat_load_u8 v80, v[10:11] offset:64 slc dlc
	;; [unrolled: 1-line block ×15, first 2 shown]
	s_mov_b32 s13, 0
	s_mov_b32 s29, exec_lo
                                        ; implicit-def: $sgpr17
	s_waitcnt vmcnt(31) lgkmcnt(31)
	v_cmpx_lt_i16_e64 0x7f, v183
	s_xor_b32 s29, exec_lo, s29
	s_cbranch_execnz .LBB4_5230
; %bb.4977:                             ;   in Loop: Header=BB4_4976 Depth=3
	s_or_saveexec_b32 s29, s29
	v_mov_b32_e32 v182, s17
	s_xor_b32 exec_lo, exec_lo, s29
	s_cbranch_execnz .LBB4_5233
.LBB4_4978:                             ;   in Loop: Header=BB4_4976 Depth=3
	s_or_b32 exec_lo, exec_lo, s29
	s_and_saveexec_b32 s17, s13
	s_cbranch_execz .LBB4_4980
.LBB4_4979:                             ;   in Loop: Header=BB4_4976 Depth=3
	v_and_b32_e32 v182, 0xffff, v183
	s_delay_alu instid0(VALU_DEP_1) | instskip(NEXT) | instid1(VALU_DEP_1)
	v_and_b32_e32 v40, 7, v182
	v_clz_i32_u32_e32 v41, v40
	s_delay_alu instid0(VALU_DEP_1) | instskip(NEXT) | instid1(VALU_DEP_1)
	v_min_u32_e32 v41, 32, v41
	v_subrev_nc_u32_e32 v42, 28, v41
	v_sub_nc_u32_e32 v41, 29, v41
	s_delay_alu instid0(VALU_DEP_2) | instskip(SKIP_1) | instid1(VALU_DEP_2)
	v_lshlrev_b32_e32 v42, v42, v182
	v_bfe_u32 v182, v182, 3, 4
	v_and_b32_e32 v42, 7, v42
	s_delay_alu instid0(VALU_DEP_2) | instskip(SKIP_1) | instid1(VALU_DEP_1)
	v_cmp_eq_u32_e32 vcc_lo, 0, v182
	v_dual_cndmask_b32 v182, v182, v41 :: v_dual_lshlrev_b32 v183, 24, v183
	v_dual_cndmask_b32 v40, v40, v42 :: v_dual_and_b32 v183, 0x80000000, v183
	s_delay_alu instid0(VALU_DEP_2) | instskip(NEXT) | instid1(VALU_DEP_2)
	v_lshl_add_u32 v182, v182, 23, 0x3b800000
	v_lshlrev_b32_e32 v40, 20, v40
	s_delay_alu instid0(VALU_DEP_1)
	v_or3_b32 v182, v183, v182, v40
.LBB4_4980:                             ;   in Loop: Header=BB4_4976 Depth=3
	s_or_b32 exec_lo, exec_lo, s17
	s_waitcnt vmcnt(15) lgkmcnt(15)
	v_and_b32_e32 v40, 0xff, v20
	s_mov_b32 s13, 0
	s_mov_b32 s29, exec_lo
                                        ; implicit-def: $sgpr17
	s_delay_alu instid0(VALU_DEP_1)
	v_cmpx_lt_i16_e32 0x7f, v40
	s_xor_b32 s29, exec_lo, s29
	s_cbranch_execnz .LBB4_5234
; %bb.4981:                             ;   in Loop: Header=BB4_4976 Depth=3
	s_or_saveexec_b32 s29, s29
	v_mov_b32_e32 v183, s17
	s_xor_b32 exec_lo, exec_lo, s29
	s_cbranch_execnz .LBB4_5237
.LBB4_4982:                             ;   in Loop: Header=BB4_4976 Depth=3
	s_or_b32 exec_lo, exec_lo, s29
	s_and_saveexec_b32 s17, s13
	s_cbranch_execz .LBB4_4984
.LBB4_4983:                             ;   in Loop: Header=BB4_4976 Depth=3
	v_and_b32_e32 v183, 7, v20
	v_lshrrev_b16 v42, 3, v20
	s_delay_alu instid0(VALU_DEP_2) | instskip(NEXT) | instid1(VALU_DEP_1)
	v_clz_i32_u32_e32 v40, v183
	v_min_u32_e32 v40, 32, v40
	s_delay_alu instid0(VALU_DEP_1) | instskip(SKIP_1) | instid1(VALU_DEP_2)
	v_subrev_nc_u32_e32 v41, 28, v40
	v_sub_nc_u32_e32 v40, 29, v40
	v_lshlrev_b32_e32 v41, v41, v20
	v_lshlrev_b32_e32 v20, 24, v20
	s_delay_alu instid0(VALU_DEP_2) | instskip(SKIP_1) | instid1(VALU_DEP_3)
	v_and_b32_e32 v41, 7, v41
	v_and_b32_e32 v42, 15, v42
	;; [unrolled: 1-line block ×3, first 2 shown]
	s_delay_alu instid0(VALU_DEP_2) | instskip(NEXT) | instid1(VALU_DEP_4)
	v_cmp_eq_u32_e32 vcc_lo, 0, v42
	v_dual_cndmask_b32 v183, v183, v41 :: v_dual_cndmask_b32 v40, v42, v40
	s_delay_alu instid0(VALU_DEP_1) | instskip(NEXT) | instid1(VALU_DEP_2)
	v_lshlrev_b32_e32 v183, 20, v183
	v_lshl_add_u32 v40, v40, 23, 0x3b800000
	s_delay_alu instid0(VALU_DEP_1)
	v_or3_b32 v183, v20, v40, v183
.LBB4_4984:                             ;   in Loop: Header=BB4_4976 Depth=3
	s_or_b32 exec_lo, exec_lo, s17
	s_delay_alu instid0(VALU_DEP_1) | instskip(NEXT) | instid1(VALU_DEP_1)
	v_add_f32_e32 v182, v182, v183
	v_and_b32_e32 v20, 0x7f800000, v182
	s_delay_alu instid0(VALU_DEP_1)
	v_cmp_ne_u32_e32 vcc_lo, 0x7f800000, v20
	v_mov_b32_e32 v20, 0x80
	s_and_saveexec_b32 s17, vcc_lo
	s_cbranch_execz .LBB4_4992
; %bb.4985:                             ;   in Loop: Header=BB4_4976 Depth=3
	v_mov_b32_e32 v20, 0
	s_mov_b32 s29, exec_lo
	v_cmpx_ne_u32_e32 0, v182
	s_cbranch_execz .LBB4_4991
; %bb.4986:                             ;   in Loop: Header=BB4_4976 Depth=3
	v_bfe_u32 v20, v182, 23, 8
	s_delay_alu instid0(VALU_DEP_1) | instskip(SKIP_1) | instid1(VALU_DEP_2)
	v_sub_nc_u32_e32 v40, 0x78, v20
	v_cmp_gt_u32_e32 vcc_lo, 0x79, v20
	v_dual_cndmask_b32 v40, 0, v40 :: v_dual_and_b32 v183, 0x7fffff, v182
	s_delay_alu instid0(VALU_DEP_1) | instskip(SKIP_2) | instid1(VALU_DEP_4)
	v_or_b32_e32 v41, 0x800000, v183
	v_cmp_eq_u32_e32 vcc_lo, 0, v20
	v_add_nc_u32_e32 v20, 0xffffff89, v20
	v_cndmask_b32_e64 v40, v40, 0x77, vcc_lo
	s_delay_alu instid0(VALU_DEP_4) | instskip(NEXT) | instid1(VALU_DEP_3)
	v_cndmask_b32_e32 v183, v41, v183, vcc_lo
	v_cndmask_b32_e64 v20, v20, 0xffffff8a, vcc_lo
	s_delay_alu instid0(VALU_DEP_3) | instskip(NEXT) | instid1(VALU_DEP_3)
	v_lshl_add_u32 v41, 0x100000, v40, -1
	v_lshrrev_b32_e32 v42, v40, v183
	v_lshlrev_b32_e64 v44, v40, 0x80000
	s_delay_alu instid0(VALU_DEP_4) | instskip(NEXT) | instid1(VALU_DEP_4)
	v_add_nc_u32_e32 v40, v40, v20
	v_and_b32_e32 v183, v41, v183
	s_delay_alu instid0(VALU_DEP_4) | instskip(NEXT) | instid1(VALU_DEP_2)
	v_bfe_u32 v43, v42, 20, 1
	v_cmp_eq_u32_e64 s13, v183, v44
	s_delay_alu instid0(VALU_DEP_2) | instskip(NEXT) | instid1(VALU_DEP_1)
	v_add_nc_u32_e32 v41, -1, v43
	v_cndmask_b32_e64 v183, 0, v41, s13
	v_lshrrev_b32_e32 v41, 23, v42
	s_mov_b32 s13, exec_lo
	s_delay_alu instid0(VALU_DEP_2) | instskip(NEXT) | instid1(VALU_DEP_2)
	v_add_nc_u32_e32 v183, v183, v42
	v_xor_b32_e32 v41, 1, v41
	s_delay_alu instid0(VALU_DEP_2) | instskip(NEXT) | instid1(VALU_DEP_1)
	v_and_b32_e32 v20, 0xfffff, v183
	v_add_nc_u32_e32 v183, v20, v42
                                        ; implicit-def: $vgpr20
	s_delay_alu instid0(VALU_DEP_3)
	v_cmpx_ne_u32_e64 v40, v41
	s_xor_b32 s13, exec_lo, s13
; %bb.4987:                             ;   in Loop: Header=BB4_4976 Depth=3
	s_delay_alu instid0(VALU_DEP_2) | instskip(SKIP_2) | instid1(VALU_DEP_2)
	v_cmp_lt_u32_e32 vcc_lo, 0xffffff, v183
	v_sub_nc_u32_e32 v20, v40, v41
	v_cndmask_b32_e64 v40, 0, 1, vcc_lo
	v_add_co_ci_u32_e32 v20, vcc_lo, 0, v20, vcc_lo
	s_delay_alu instid0(VALU_DEP_2)
	v_lshrrev_b32_e32 v183, v40, v183
; %bb.4988:                             ;   in Loop: Header=BB4_4976 Depth=3
	s_and_not1_saveexec_b32 s13, s13
; %bb.4989:                             ;   in Loop: Header=BB4_4976 Depth=3
	s_delay_alu instid0(VALU_DEP_1)
	v_bfe_u32 v20, v183, 23, 1
; %bb.4990:                             ;   in Loop: Header=BB4_4976 Depth=3
	s_or_b32 exec_lo, exec_lo, s13
	v_lshrrev_b32_e32 v183, 20, v183
	s_delay_alu instid0(VALU_DEP_2) | instskip(SKIP_2) | instid1(VALU_DEP_2)
	v_cmp_gt_i32_e32 vcc_lo, 16, v20
	v_lshrrev_b32_e32 v182, 24, v182
	v_min_i32_e32 v40, 15, v20
	v_dual_cndmask_b32 v183, 7, v183 :: v_dual_and_b32 v182, 0x80, v182
	s_delay_alu instid0(VALU_DEP_2) | instskip(NEXT) | instid1(VALU_DEP_2)
	v_lshlrev_b32_e32 v40, 3, v40
	v_or_b32_e32 v20, v20, v183
	s_delay_alu instid0(VALU_DEP_1) | instskip(SKIP_1) | instid1(VALU_DEP_1)
	v_cmp_ne_u32_e32 vcc_lo, 0, v20
	v_and_b32_e32 v41, 7, v183
	v_or3_b32 v182, v40, v182, v41
	s_delay_alu instid0(VALU_DEP_1)
	v_cndmask_b32_e32 v20, 0, v182, vcc_lo
.LBB4_4991:                             ;   in Loop: Header=BB4_4976 Depth=3
	s_or_b32 exec_lo, exec_lo, s29
.LBB4_4992:                             ;   in Loop: Header=BB4_4976 Depth=3
	s_delay_alu instid0(SALU_CYCLE_1) | instskip(SKIP_3) | instid1(VALU_DEP_1)
	s_or_b32 exec_lo, exec_lo, s17
	v_and_b32_e32 v183, 0xff, v181
	s_mov_b32 s13, 0
	s_mov_b32 s29, exec_lo
                                        ; implicit-def: $sgpr17
	v_cmpx_lt_i16_e64 0x7f, v183
	s_xor_b32 s29, exec_lo, s29
	s_cbranch_execnz .LBB4_5238
; %bb.4993:                             ;   in Loop: Header=BB4_4976 Depth=3
	s_or_saveexec_b32 s29, s29
	v_mov_b32_e32 v182, s17
	s_xor_b32 exec_lo, exec_lo, s29
	s_cbranch_execnz .LBB4_5241
.LBB4_4994:                             ;   in Loop: Header=BB4_4976 Depth=3
	s_or_b32 exec_lo, exec_lo, s29
	s_and_saveexec_b32 s17, s13
	s_cbranch_execz .LBB4_4996
.LBB4_4995:                             ;   in Loop: Header=BB4_4976 Depth=3
	v_lshrrev_b16 v41, 3, v181
	s_delay_alu instid0(VALU_DEP_1) | instskip(NEXT) | instid1(VALU_DEP_1)
	v_and_b32_e32 v41, 15, v41
	v_cmp_eq_u32_e32 vcc_lo, 0, v41
	v_and_b32_e32 v182, 7, v181
	s_delay_alu instid0(VALU_DEP_1) | instskip(NEXT) | instid1(VALU_DEP_1)
	v_clz_i32_u32_e32 v183, v182
	v_min_u32_e32 v183, 32, v183
	s_delay_alu instid0(VALU_DEP_1) | instskip(SKIP_1) | instid1(VALU_DEP_1)
	v_subrev_nc_u32_e32 v40, 28, v183
	v_sub_nc_u32_e32 v183, 29, v183
	v_dual_cndmask_b32 v183, v41, v183 :: v_dual_lshlrev_b32 v40, v40, v181
	v_lshlrev_b32_e32 v181, 24, v181
	s_delay_alu instid0(VALU_DEP_2) | instskip(NEXT) | instid1(VALU_DEP_3)
	v_and_b32_e32 v40, 7, v40
	v_lshl_add_u32 v183, v183, 23, 0x3b800000
	s_delay_alu instid0(VALU_DEP_2) | instskip(NEXT) | instid1(VALU_DEP_1)
	v_dual_cndmask_b32 v182, v182, v40 :: v_dual_and_b32 v181, 0x80000000, v181
	v_lshlrev_b32_e32 v182, 20, v182
	s_delay_alu instid0(VALU_DEP_1)
	v_or3_b32 v182, v181, v183, v182
.LBB4_4996:                             ;   in Loop: Header=BB4_4976 Depth=3
	s_or_b32 exec_lo, exec_lo, s17
	s_waitcnt vmcnt(14) lgkmcnt(14)
	v_and_b32_e32 v183, 0xff, v23
	s_mov_b32 s13, 0
	s_mov_b32 s29, exec_lo
                                        ; implicit-def: $sgpr17
	s_delay_alu instid0(VALU_DEP_1)
	v_cmpx_lt_i16_e64 0x7f, v183
	s_xor_b32 s29, exec_lo, s29
	s_cbranch_execnz .LBB4_5242
; %bb.4997:                             ;   in Loop: Header=BB4_4976 Depth=3
	s_or_saveexec_b32 s29, s29
	v_mov_b32_e32 v181, s17
	s_xor_b32 exec_lo, exec_lo, s29
	s_cbranch_execnz .LBB4_5245
.LBB4_4998:                             ;   in Loop: Header=BB4_4976 Depth=3
	s_or_b32 exec_lo, exec_lo, s29
	s_and_saveexec_b32 s17, s13
	s_cbranch_execz .LBB4_5000
.LBB4_4999:                             ;   in Loop: Header=BB4_4976 Depth=3
	v_and_b32_e32 v181, 7, v23
	v_lshrrev_b16 v41, 3, v23
	s_delay_alu instid0(VALU_DEP_2) | instskip(NEXT) | instid1(VALU_DEP_2)
	v_clz_i32_u32_e32 v183, v181
	v_and_b32_e32 v41, 15, v41
	s_delay_alu instid0(VALU_DEP_2) | instskip(NEXT) | instid1(VALU_DEP_2)
	v_min_u32_e32 v183, 32, v183
	v_cmp_eq_u32_e32 vcc_lo, 0, v41
	s_delay_alu instid0(VALU_DEP_2) | instskip(SKIP_1) | instid1(VALU_DEP_2)
	v_subrev_nc_u32_e32 v40, 28, v183
	v_sub_nc_u32_e32 v183, 29, v183
	v_lshlrev_b32_e32 v40, v40, v23
	v_lshlrev_b32_e32 v23, 24, v23
	s_delay_alu instid0(VALU_DEP_2) | instskip(NEXT) | instid1(VALU_DEP_2)
	v_dual_cndmask_b32 v183, v41, v183 :: v_dual_and_b32 v40, 7, v40
	v_and_b32_e32 v23, 0x80000000, v23
	s_delay_alu instid0(VALU_DEP_2) | instskip(NEXT) | instid1(VALU_DEP_3)
	v_lshl_add_u32 v183, v183, 23, 0x3b800000
	v_cndmask_b32_e32 v181, v181, v40, vcc_lo
	s_delay_alu instid0(VALU_DEP_1) | instskip(NEXT) | instid1(VALU_DEP_1)
	v_lshlrev_b32_e32 v181, 20, v181
	v_or3_b32 v181, v23, v183, v181
.LBB4_5000:                             ;   in Loop: Header=BB4_4976 Depth=3
	s_or_b32 exec_lo, exec_lo, s17
	s_delay_alu instid0(VALU_DEP_1) | instskip(NEXT) | instid1(VALU_DEP_1)
	v_add_f32_e32 v181, v182, v181
	v_and_b32_e32 v23, 0x7f800000, v181
	s_delay_alu instid0(VALU_DEP_1)
	v_cmp_ne_u32_e32 vcc_lo, 0x7f800000, v23
	v_mov_b32_e32 v23, 0x80
	s_and_saveexec_b32 s17, vcc_lo
	s_cbranch_execz .LBB4_5008
; %bb.5001:                             ;   in Loop: Header=BB4_4976 Depth=3
	v_mov_b32_e32 v23, 0
	s_mov_b32 s29, exec_lo
	v_cmpx_ne_u32_e32 0, v181
	s_cbranch_execz .LBB4_5007
; %bb.5002:                             ;   in Loop: Header=BB4_4976 Depth=3
	v_bfe_u32 v23, v181, 23, 8
	s_delay_alu instid0(VALU_DEP_1) | instskip(SKIP_1) | instid1(VALU_DEP_2)
	v_sub_nc_u32_e32 v183, 0x78, v23
	v_cmp_gt_u32_e32 vcc_lo, 0x79, v23
	v_dual_cndmask_b32 v183, 0, v183 :: v_dual_and_b32 v182, 0x7fffff, v181
	s_delay_alu instid0(VALU_DEP_1) | instskip(SKIP_2) | instid1(VALU_DEP_4)
	v_or_b32_e32 v40, 0x800000, v182
	v_cmp_eq_u32_e32 vcc_lo, 0, v23
	v_add_nc_u32_e32 v23, 0xffffff89, v23
	v_cndmask_b32_e64 v183, v183, 0x77, vcc_lo
	s_delay_alu instid0(VALU_DEP_4) | instskip(NEXT) | instid1(VALU_DEP_3)
	v_cndmask_b32_e32 v182, v40, v182, vcc_lo
	v_cndmask_b32_e64 v23, v23, 0xffffff8a, vcc_lo
	s_delay_alu instid0(VALU_DEP_3) | instskip(NEXT) | instid1(VALU_DEP_3)
	v_lshl_add_u32 v40, 0x100000, v183, -1
	v_lshrrev_b32_e32 v41, v183, v182
	v_lshlrev_b32_e64 v43, v183, 0x80000
	s_delay_alu instid0(VALU_DEP_4) | instskip(NEXT) | instid1(VALU_DEP_4)
	v_add_nc_u32_e32 v183, v183, v23
	v_and_b32_e32 v182, v40, v182
	s_delay_alu instid0(VALU_DEP_4) | instskip(NEXT) | instid1(VALU_DEP_2)
	v_bfe_u32 v42, v41, 20, 1
	v_cmp_eq_u32_e64 s13, v182, v43
	s_delay_alu instid0(VALU_DEP_2) | instskip(NEXT) | instid1(VALU_DEP_1)
	v_add_nc_u32_e32 v40, -1, v42
	v_cndmask_b32_e64 v182, 0, v40, s13
	v_lshrrev_b32_e32 v40, 23, v41
	s_mov_b32 s13, exec_lo
	s_delay_alu instid0(VALU_DEP_2) | instskip(NEXT) | instid1(VALU_DEP_2)
	v_add_nc_u32_e32 v182, v182, v41
	v_xor_b32_e32 v40, 1, v40
	s_delay_alu instid0(VALU_DEP_2) | instskip(NEXT) | instid1(VALU_DEP_1)
	v_and_b32_e32 v23, 0xfffff, v182
	v_add_nc_u32_e32 v182, v23, v41
                                        ; implicit-def: $vgpr23
	s_delay_alu instid0(VALU_DEP_3)
	v_cmpx_ne_u32_e64 v183, v40
	s_xor_b32 s13, exec_lo, s13
; %bb.5003:                             ;   in Loop: Header=BB4_4976 Depth=3
	s_delay_alu instid0(VALU_DEP_2) | instskip(SKIP_2) | instid1(VALU_DEP_2)
	v_cmp_lt_u32_e32 vcc_lo, 0xffffff, v182
	v_sub_nc_u32_e32 v23, v183, v40
	v_cndmask_b32_e64 v183, 0, 1, vcc_lo
	v_add_co_ci_u32_e32 v23, vcc_lo, 0, v23, vcc_lo
	s_delay_alu instid0(VALU_DEP_2)
	v_lshrrev_b32_e32 v182, v183, v182
; %bb.5004:                             ;   in Loop: Header=BB4_4976 Depth=3
	s_and_not1_saveexec_b32 s13, s13
; %bb.5005:                             ;   in Loop: Header=BB4_4976 Depth=3
	s_delay_alu instid0(VALU_DEP_1)
	v_bfe_u32 v23, v182, 23, 1
; %bb.5006:                             ;   in Loop: Header=BB4_4976 Depth=3
	s_or_b32 exec_lo, exec_lo, s13
	v_lshrrev_b32_e32 v182, 20, v182
	s_delay_alu instid0(VALU_DEP_2) | instskip(SKIP_2) | instid1(VALU_DEP_2)
	v_cmp_gt_i32_e32 vcc_lo, 16, v23
	v_lshrrev_b32_e32 v181, 24, v181
	v_min_i32_e32 v183, 15, v23
	v_dual_cndmask_b32 v182, 7, v182 :: v_dual_and_b32 v181, 0x80, v181
	s_delay_alu instid0(VALU_DEP_2) | instskip(NEXT) | instid1(VALU_DEP_2)
	v_lshlrev_b32_e32 v183, 3, v183
	v_or_b32_e32 v23, v23, v182
	s_delay_alu instid0(VALU_DEP_1) | instskip(SKIP_1) | instid1(VALU_DEP_1)
	v_cmp_ne_u32_e32 vcc_lo, 0, v23
	v_and_b32_e32 v40, 7, v182
	v_or3_b32 v181, v183, v181, v40
	s_delay_alu instid0(VALU_DEP_1)
	v_cndmask_b32_e32 v23, 0, v181, vcc_lo
.LBB4_5007:                             ;   in Loop: Header=BB4_4976 Depth=3
	s_or_b32 exec_lo, exec_lo, s29
.LBB4_5008:                             ;   in Loop: Header=BB4_4976 Depth=3
	s_delay_alu instid0(SALU_CYCLE_1) | instskip(SKIP_3) | instid1(VALU_DEP_1)
	s_or_b32 exec_lo, exec_lo, s17
	v_and_b32_e32 v182, 0xff, v180
	s_mov_b32 s13, 0
	s_mov_b32 s29, exec_lo
                                        ; implicit-def: $sgpr17
	v_cmpx_lt_i16_e64 0x7f, v182
	s_xor_b32 s29, exec_lo, s29
	s_cbranch_execnz .LBB4_5246
; %bb.5009:                             ;   in Loop: Header=BB4_4976 Depth=3
	s_or_saveexec_b32 s29, s29
	v_mov_b32_e32 v181, s17
	s_xor_b32 exec_lo, exec_lo, s29
	s_cbranch_execnz .LBB4_5249
.LBB4_5010:                             ;   in Loop: Header=BB4_4976 Depth=3
	s_or_b32 exec_lo, exec_lo, s29
	s_and_saveexec_b32 s17, s13
	s_cbranch_execz .LBB4_5012
.LBB4_5011:                             ;   in Loop: Header=BB4_4976 Depth=3
	v_lshrrev_b16 v40, 3, v180
	s_delay_alu instid0(VALU_DEP_1) | instskip(NEXT) | instid1(VALU_DEP_1)
	v_and_b32_e32 v40, 15, v40
	v_cmp_eq_u32_e32 vcc_lo, 0, v40
	v_and_b32_e32 v181, 7, v180
	s_delay_alu instid0(VALU_DEP_1) | instskip(NEXT) | instid1(VALU_DEP_1)
	v_clz_i32_u32_e32 v182, v181
	v_min_u32_e32 v182, 32, v182
	s_delay_alu instid0(VALU_DEP_1) | instskip(SKIP_1) | instid1(VALU_DEP_1)
	v_subrev_nc_u32_e32 v183, 28, v182
	v_sub_nc_u32_e32 v182, 29, v182
	v_dual_cndmask_b32 v182, v40, v182 :: v_dual_lshlrev_b32 v183, v183, v180
	v_lshlrev_b32_e32 v180, 24, v180
	s_delay_alu instid0(VALU_DEP_2) | instskip(NEXT) | instid1(VALU_DEP_3)
	v_and_b32_e32 v183, 7, v183
	v_lshl_add_u32 v182, v182, 23, 0x3b800000
	s_delay_alu instid0(VALU_DEP_2) | instskip(NEXT) | instid1(VALU_DEP_1)
	v_dual_cndmask_b32 v181, v181, v183 :: v_dual_and_b32 v180, 0x80000000, v180
	v_lshlrev_b32_e32 v181, 20, v181
	s_delay_alu instid0(VALU_DEP_1)
	v_or3_b32 v181, v180, v182, v181
.LBB4_5012:                             ;   in Loop: Header=BB4_4976 Depth=3
	s_or_b32 exec_lo, exec_lo, s17
	s_waitcnt vmcnt(13) lgkmcnt(13)
	v_and_b32_e32 v182, 0xff, v80
	s_mov_b32 s13, 0
	s_mov_b32 s29, exec_lo
                                        ; implicit-def: $sgpr17
	s_delay_alu instid0(VALU_DEP_1)
	v_cmpx_lt_i16_e64 0x7f, v182
	s_xor_b32 s29, exec_lo, s29
	s_cbranch_execnz .LBB4_5250
; %bb.5013:                             ;   in Loop: Header=BB4_4976 Depth=3
	s_or_saveexec_b32 s29, s29
	v_mov_b32_e32 v180, s17
	s_xor_b32 exec_lo, exec_lo, s29
	s_cbranch_execnz .LBB4_5253
.LBB4_5014:                             ;   in Loop: Header=BB4_4976 Depth=3
	s_or_b32 exec_lo, exec_lo, s29
	s_and_saveexec_b32 s17, s13
	s_cbranch_execz .LBB4_5016
.LBB4_5015:                             ;   in Loop: Header=BB4_4976 Depth=3
	v_and_b32_e32 v180, 7, v80
	v_lshrrev_b16 v40, 3, v80
	s_delay_alu instid0(VALU_DEP_2) | instskip(NEXT) | instid1(VALU_DEP_2)
	v_clz_i32_u32_e32 v182, v180
	v_and_b32_e32 v40, 15, v40
	s_delay_alu instid0(VALU_DEP_2) | instskip(NEXT) | instid1(VALU_DEP_2)
	v_min_u32_e32 v182, 32, v182
	v_cmp_eq_u32_e32 vcc_lo, 0, v40
	s_delay_alu instid0(VALU_DEP_2) | instskip(SKIP_1) | instid1(VALU_DEP_1)
	v_subrev_nc_u32_e32 v183, 28, v182
	v_sub_nc_u32_e32 v182, 29, v182
	v_dual_cndmask_b32 v182, v40, v182 :: v_dual_lshlrev_b32 v183, v183, v80
	v_lshlrev_b32_e32 v80, 24, v80
	s_delay_alu instid0(VALU_DEP_2) | instskip(NEXT) | instid1(VALU_DEP_3)
	v_and_b32_e32 v183, 7, v183
	v_lshl_add_u32 v182, v182, 23, 0x3b800000
	s_delay_alu instid0(VALU_DEP_3) | instskip(NEXT) | instid1(VALU_DEP_3)
	v_and_b32_e32 v80, 0x80000000, v80
	v_cndmask_b32_e32 v180, v180, v183, vcc_lo
	s_delay_alu instid0(VALU_DEP_1) | instskip(NEXT) | instid1(VALU_DEP_1)
	v_lshlrev_b32_e32 v180, 20, v180
	v_or3_b32 v180, v80, v182, v180
.LBB4_5016:                             ;   in Loop: Header=BB4_4976 Depth=3
	s_or_b32 exec_lo, exec_lo, s17
	s_delay_alu instid0(VALU_DEP_1) | instskip(NEXT) | instid1(VALU_DEP_1)
	v_add_f32_e32 v180, v181, v180
	v_and_b32_e32 v80, 0x7f800000, v180
	s_delay_alu instid0(VALU_DEP_1)
	v_cmp_ne_u32_e32 vcc_lo, 0x7f800000, v80
	v_mov_b32_e32 v80, 0x80
	s_and_saveexec_b32 s17, vcc_lo
	s_cbranch_execz .LBB4_5024
; %bb.5017:                             ;   in Loop: Header=BB4_4976 Depth=3
	v_mov_b32_e32 v80, 0
	s_mov_b32 s29, exec_lo
	v_cmpx_ne_u32_e32 0, v180
	s_cbranch_execz .LBB4_5023
; %bb.5018:                             ;   in Loop: Header=BB4_4976 Depth=3
	v_bfe_u32 v80, v180, 23, 8
	s_delay_alu instid0(VALU_DEP_1) | instskip(SKIP_1) | instid1(VALU_DEP_2)
	v_sub_nc_u32_e32 v182, 0x78, v80
	v_cmp_gt_u32_e32 vcc_lo, 0x79, v80
	v_dual_cndmask_b32 v182, 0, v182 :: v_dual_and_b32 v181, 0x7fffff, v180
	s_delay_alu instid0(VALU_DEP_1) | instskip(SKIP_2) | instid1(VALU_DEP_4)
	v_or_b32_e32 v183, 0x800000, v181
	v_cmp_eq_u32_e32 vcc_lo, 0, v80
	v_add_nc_u32_e32 v80, 0xffffff89, v80
	v_cndmask_b32_e64 v182, v182, 0x77, vcc_lo
	s_delay_alu instid0(VALU_DEP_4) | instskip(NEXT) | instid1(VALU_DEP_3)
	v_cndmask_b32_e32 v181, v183, v181, vcc_lo
	v_cndmask_b32_e64 v80, v80, 0xffffff8a, vcc_lo
	s_delay_alu instid0(VALU_DEP_3) | instskip(NEXT) | instid1(VALU_DEP_3)
	v_lshl_add_u32 v183, 0x100000, v182, -1
	v_lshrrev_b32_e32 v40, v182, v181
	v_lshlrev_b32_e64 v42, v182, 0x80000
	s_delay_alu instid0(VALU_DEP_4) | instskip(NEXT) | instid1(VALU_DEP_4)
	v_add_nc_u32_e32 v182, v182, v80
	v_and_b32_e32 v181, v183, v181
	s_delay_alu instid0(VALU_DEP_4) | instskip(NEXT) | instid1(VALU_DEP_2)
	v_bfe_u32 v41, v40, 20, 1
	v_cmp_eq_u32_e64 s13, v181, v42
	s_delay_alu instid0(VALU_DEP_2) | instskip(NEXT) | instid1(VALU_DEP_1)
	v_add_nc_u32_e32 v183, -1, v41
	v_cndmask_b32_e64 v181, 0, v183, s13
	v_lshrrev_b32_e32 v183, 23, v40
	s_mov_b32 s13, exec_lo
	s_delay_alu instid0(VALU_DEP_2) | instskip(NEXT) | instid1(VALU_DEP_2)
	v_add_nc_u32_e32 v181, v181, v40
	v_xor_b32_e32 v183, 1, v183
	s_delay_alu instid0(VALU_DEP_2) | instskip(NEXT) | instid1(VALU_DEP_1)
	v_and_b32_e32 v80, 0xfffff, v181
	v_add_nc_u32_e32 v181, v80, v40
                                        ; implicit-def: $vgpr80
	s_delay_alu instid0(VALU_DEP_3)
	v_cmpx_ne_u32_e64 v182, v183
	s_xor_b32 s13, exec_lo, s13
; %bb.5019:                             ;   in Loop: Header=BB4_4976 Depth=3
	s_delay_alu instid0(VALU_DEP_2) | instskip(SKIP_2) | instid1(VALU_DEP_2)
	v_cmp_lt_u32_e32 vcc_lo, 0xffffff, v181
	v_sub_nc_u32_e32 v80, v182, v183
	v_cndmask_b32_e64 v182, 0, 1, vcc_lo
	v_add_co_ci_u32_e32 v80, vcc_lo, 0, v80, vcc_lo
	s_delay_alu instid0(VALU_DEP_2)
	v_lshrrev_b32_e32 v181, v182, v181
; %bb.5020:                             ;   in Loop: Header=BB4_4976 Depth=3
	s_and_not1_saveexec_b32 s13, s13
; %bb.5021:                             ;   in Loop: Header=BB4_4976 Depth=3
	s_delay_alu instid0(VALU_DEP_1)
	v_bfe_u32 v80, v181, 23, 1
; %bb.5022:                             ;   in Loop: Header=BB4_4976 Depth=3
	s_or_b32 exec_lo, exec_lo, s13
	v_lshrrev_b32_e32 v181, 20, v181
	s_delay_alu instid0(VALU_DEP_2) | instskip(SKIP_2) | instid1(VALU_DEP_2)
	v_cmp_gt_i32_e32 vcc_lo, 16, v80
	v_lshrrev_b32_e32 v180, 24, v180
	v_min_i32_e32 v182, 15, v80
	v_dual_cndmask_b32 v181, 7, v181 :: v_dual_and_b32 v180, 0x80, v180
	s_delay_alu instid0(VALU_DEP_2) | instskip(NEXT) | instid1(VALU_DEP_2)
	v_lshlrev_b32_e32 v182, 3, v182
	v_or_b32_e32 v80, v80, v181
	s_delay_alu instid0(VALU_DEP_1) | instskip(SKIP_1) | instid1(VALU_DEP_1)
	v_cmp_ne_u32_e32 vcc_lo, 0, v80
	v_and_b32_e32 v183, 7, v181
	v_or3_b32 v180, v182, v180, v183
	s_delay_alu instid0(VALU_DEP_1)
	v_cndmask_b32_e32 v80, 0, v180, vcc_lo
.LBB4_5023:                             ;   in Loop: Header=BB4_4976 Depth=3
	s_or_b32 exec_lo, exec_lo, s29
.LBB4_5024:                             ;   in Loop: Header=BB4_4976 Depth=3
	s_delay_alu instid0(SALU_CYCLE_1) | instskip(SKIP_3) | instid1(VALU_DEP_1)
	s_or_b32 exec_lo, exec_lo, s17
	v_and_b32_e32 v181, 0xff, v179
	s_mov_b32 s13, 0
	s_mov_b32 s29, exec_lo
                                        ; implicit-def: $sgpr17
	v_cmpx_lt_i16_e64 0x7f, v181
	s_xor_b32 s29, exec_lo, s29
	s_cbranch_execnz .LBB4_5254
; %bb.5025:                             ;   in Loop: Header=BB4_4976 Depth=3
	s_or_saveexec_b32 s29, s29
	v_mov_b32_e32 v180, s17
	s_xor_b32 exec_lo, exec_lo, s29
	s_cbranch_execnz .LBB4_5257
.LBB4_5026:                             ;   in Loop: Header=BB4_4976 Depth=3
	s_or_b32 exec_lo, exec_lo, s29
	s_and_saveexec_b32 s17, s13
	s_cbranch_execz .LBB4_5028
.LBB4_5027:                             ;   in Loop: Header=BB4_4976 Depth=3
	v_lshrrev_b16 v183, 3, v179
	s_delay_alu instid0(VALU_DEP_1) | instskip(NEXT) | instid1(VALU_DEP_1)
	v_and_b32_e32 v183, 15, v183
	v_cmp_eq_u32_e32 vcc_lo, 0, v183
	v_and_b32_e32 v180, 7, v179
	s_delay_alu instid0(VALU_DEP_1) | instskip(NEXT) | instid1(VALU_DEP_1)
	v_clz_i32_u32_e32 v181, v180
	v_min_u32_e32 v181, 32, v181
	s_delay_alu instid0(VALU_DEP_1) | instskip(SKIP_1) | instid1(VALU_DEP_1)
	v_subrev_nc_u32_e32 v182, 28, v181
	v_sub_nc_u32_e32 v181, 29, v181
	v_dual_cndmask_b32 v181, v183, v181 :: v_dual_lshlrev_b32 v182, v182, v179
	v_lshlrev_b32_e32 v179, 24, v179
	s_delay_alu instid0(VALU_DEP_2) | instskip(NEXT) | instid1(VALU_DEP_3)
	v_and_b32_e32 v182, 7, v182
	v_lshl_add_u32 v181, v181, 23, 0x3b800000
	s_delay_alu instid0(VALU_DEP_2) | instskip(NEXT) | instid1(VALU_DEP_1)
	v_dual_cndmask_b32 v180, v180, v182 :: v_dual_and_b32 v179, 0x80000000, v179
	v_lshlrev_b32_e32 v180, 20, v180
	s_delay_alu instid0(VALU_DEP_1)
	v_or3_b32 v180, v179, v181, v180
.LBB4_5028:                             ;   in Loop: Header=BB4_4976 Depth=3
	s_or_b32 exec_lo, exec_lo, s17
	s_waitcnt vmcnt(12) lgkmcnt(12)
	v_and_b32_e32 v181, 0xff, v83
	s_mov_b32 s13, 0
	s_mov_b32 s29, exec_lo
                                        ; implicit-def: $sgpr17
	s_delay_alu instid0(VALU_DEP_1)
	v_cmpx_lt_i16_e64 0x7f, v181
	s_xor_b32 s29, exec_lo, s29
	s_cbranch_execnz .LBB4_5258
; %bb.5029:                             ;   in Loop: Header=BB4_4976 Depth=3
	s_or_saveexec_b32 s29, s29
	v_mov_b32_e32 v179, s17
	s_xor_b32 exec_lo, exec_lo, s29
	s_cbranch_execnz .LBB4_5261
.LBB4_5030:                             ;   in Loop: Header=BB4_4976 Depth=3
	s_or_b32 exec_lo, exec_lo, s29
	s_and_saveexec_b32 s17, s13
	s_cbranch_execz .LBB4_5032
.LBB4_5031:                             ;   in Loop: Header=BB4_4976 Depth=3
	v_and_b32_e32 v179, 7, v83
	v_lshrrev_b16 v183, 3, v83
	s_delay_alu instid0(VALU_DEP_2) | instskip(NEXT) | instid1(VALU_DEP_2)
	v_clz_i32_u32_e32 v181, v179
	v_and_b32_e32 v183, 15, v183
	s_delay_alu instid0(VALU_DEP_2) | instskip(NEXT) | instid1(VALU_DEP_2)
	v_min_u32_e32 v181, 32, v181
	v_cmp_eq_u32_e32 vcc_lo, 0, v183
	s_delay_alu instid0(VALU_DEP_2) | instskip(SKIP_1) | instid1(VALU_DEP_1)
	v_subrev_nc_u32_e32 v182, 28, v181
	v_sub_nc_u32_e32 v181, 29, v181
	v_dual_cndmask_b32 v181, v183, v181 :: v_dual_lshlrev_b32 v182, v182, v83
	v_lshlrev_b32_e32 v83, 24, v83
	s_delay_alu instid0(VALU_DEP_2) | instskip(NEXT) | instid1(VALU_DEP_3)
	v_and_b32_e32 v182, 7, v182
	v_lshl_add_u32 v181, v181, 23, 0x3b800000
	s_delay_alu instid0(VALU_DEP_3) | instskip(NEXT) | instid1(VALU_DEP_3)
	v_and_b32_e32 v83, 0x80000000, v83
	v_cndmask_b32_e32 v179, v179, v182, vcc_lo
	s_delay_alu instid0(VALU_DEP_1) | instskip(NEXT) | instid1(VALU_DEP_1)
	v_lshlrev_b32_e32 v179, 20, v179
	v_or3_b32 v179, v83, v181, v179
.LBB4_5032:                             ;   in Loop: Header=BB4_4976 Depth=3
	s_or_b32 exec_lo, exec_lo, s17
	s_delay_alu instid0(VALU_DEP_1) | instskip(NEXT) | instid1(VALU_DEP_1)
	v_add_f32_e32 v179, v180, v179
	v_and_b32_e32 v83, 0x7f800000, v179
	s_delay_alu instid0(VALU_DEP_1)
	v_cmp_ne_u32_e32 vcc_lo, 0x7f800000, v83
	v_mov_b32_e32 v83, 0x80
	s_and_saveexec_b32 s17, vcc_lo
	s_cbranch_execz .LBB4_5040
; %bb.5033:                             ;   in Loop: Header=BB4_4976 Depth=3
	v_mov_b32_e32 v83, 0
	s_mov_b32 s29, exec_lo
	v_cmpx_ne_u32_e32 0, v179
	s_cbranch_execz .LBB4_5039
; %bb.5034:                             ;   in Loop: Header=BB4_4976 Depth=3
	v_bfe_u32 v83, v179, 23, 8
	s_delay_alu instid0(VALU_DEP_1) | instskip(SKIP_1) | instid1(VALU_DEP_2)
	v_sub_nc_u32_e32 v181, 0x78, v83
	v_cmp_gt_u32_e32 vcc_lo, 0x79, v83
	v_dual_cndmask_b32 v181, 0, v181 :: v_dual_and_b32 v180, 0x7fffff, v179
	s_delay_alu instid0(VALU_DEP_1) | instskip(SKIP_2) | instid1(VALU_DEP_4)
	v_or_b32_e32 v182, 0x800000, v180
	v_cmp_eq_u32_e32 vcc_lo, 0, v83
	v_add_nc_u32_e32 v83, 0xffffff89, v83
	v_cndmask_b32_e64 v181, v181, 0x77, vcc_lo
	s_delay_alu instid0(VALU_DEP_4) | instskip(NEXT) | instid1(VALU_DEP_3)
	v_cndmask_b32_e32 v180, v182, v180, vcc_lo
	v_cndmask_b32_e64 v83, v83, 0xffffff8a, vcc_lo
	s_delay_alu instid0(VALU_DEP_3) | instskip(NEXT) | instid1(VALU_DEP_3)
	v_lshl_add_u32 v182, 0x100000, v181, -1
	v_lshrrev_b32_e32 v183, v181, v180
	v_lshlrev_b32_e64 v41, v181, 0x80000
	s_delay_alu instid0(VALU_DEP_4) | instskip(NEXT) | instid1(VALU_DEP_4)
	v_add_nc_u32_e32 v181, v181, v83
	v_and_b32_e32 v180, v182, v180
	s_delay_alu instid0(VALU_DEP_4) | instskip(NEXT) | instid1(VALU_DEP_2)
	v_bfe_u32 v40, v183, 20, 1
	v_cmp_eq_u32_e64 s13, v180, v41
	s_delay_alu instid0(VALU_DEP_2) | instskip(NEXT) | instid1(VALU_DEP_1)
	v_add_nc_u32_e32 v182, -1, v40
	v_cndmask_b32_e64 v180, 0, v182, s13
	v_lshrrev_b32_e32 v182, 23, v183
	s_mov_b32 s13, exec_lo
	s_delay_alu instid0(VALU_DEP_2) | instskip(NEXT) | instid1(VALU_DEP_2)
	v_add_nc_u32_e32 v180, v180, v183
	v_xor_b32_e32 v182, 1, v182
	s_delay_alu instid0(VALU_DEP_2) | instskip(NEXT) | instid1(VALU_DEP_1)
	v_and_b32_e32 v83, 0xfffff, v180
	v_add_nc_u32_e32 v180, v83, v183
                                        ; implicit-def: $vgpr83
	s_delay_alu instid0(VALU_DEP_3)
	v_cmpx_ne_u32_e64 v181, v182
	s_xor_b32 s13, exec_lo, s13
; %bb.5035:                             ;   in Loop: Header=BB4_4976 Depth=3
	s_delay_alu instid0(VALU_DEP_2) | instskip(SKIP_2) | instid1(VALU_DEP_2)
	v_cmp_lt_u32_e32 vcc_lo, 0xffffff, v180
	v_sub_nc_u32_e32 v83, v181, v182
	v_cndmask_b32_e64 v181, 0, 1, vcc_lo
	v_add_co_ci_u32_e32 v83, vcc_lo, 0, v83, vcc_lo
	s_delay_alu instid0(VALU_DEP_2)
	v_lshrrev_b32_e32 v180, v181, v180
; %bb.5036:                             ;   in Loop: Header=BB4_4976 Depth=3
	s_and_not1_saveexec_b32 s13, s13
; %bb.5037:                             ;   in Loop: Header=BB4_4976 Depth=3
	s_delay_alu instid0(VALU_DEP_1)
	v_bfe_u32 v83, v180, 23, 1
; %bb.5038:                             ;   in Loop: Header=BB4_4976 Depth=3
	s_or_b32 exec_lo, exec_lo, s13
	v_lshrrev_b32_e32 v180, 20, v180
	s_delay_alu instid0(VALU_DEP_2) | instskip(SKIP_2) | instid1(VALU_DEP_2)
	v_cmp_gt_i32_e32 vcc_lo, 16, v83
	v_lshrrev_b32_e32 v179, 24, v179
	v_min_i32_e32 v181, 15, v83
	v_dual_cndmask_b32 v180, 7, v180 :: v_dual_and_b32 v179, 0x80, v179
	s_delay_alu instid0(VALU_DEP_2) | instskip(NEXT) | instid1(VALU_DEP_2)
	v_lshlrev_b32_e32 v181, 3, v181
	v_or_b32_e32 v83, v83, v180
	s_delay_alu instid0(VALU_DEP_1) | instskip(SKIP_1) | instid1(VALU_DEP_1)
	v_cmp_ne_u32_e32 vcc_lo, 0, v83
	v_and_b32_e32 v182, 7, v180
	v_or3_b32 v179, v181, v179, v182
	s_delay_alu instid0(VALU_DEP_1)
	v_cndmask_b32_e32 v83, 0, v179, vcc_lo
.LBB4_5039:                             ;   in Loop: Header=BB4_4976 Depth=3
	s_or_b32 exec_lo, exec_lo, s29
.LBB4_5040:                             ;   in Loop: Header=BB4_4976 Depth=3
	s_delay_alu instid0(SALU_CYCLE_1) | instskip(SKIP_3) | instid1(VALU_DEP_1)
	s_or_b32 exec_lo, exec_lo, s17
	v_and_b32_e32 v180, 0xff, v178
	s_mov_b32 s13, 0
	s_mov_b32 s29, exec_lo
                                        ; implicit-def: $sgpr17
	v_cmpx_lt_i16_e64 0x7f, v180
	s_xor_b32 s29, exec_lo, s29
	s_cbranch_execnz .LBB4_5262
; %bb.5041:                             ;   in Loop: Header=BB4_4976 Depth=3
	s_or_saveexec_b32 s29, s29
	v_mov_b32_e32 v179, s17
	s_xor_b32 exec_lo, exec_lo, s29
	s_cbranch_execnz .LBB4_5265
.LBB4_5042:                             ;   in Loop: Header=BB4_4976 Depth=3
	s_or_b32 exec_lo, exec_lo, s29
	s_and_saveexec_b32 s17, s13
	s_cbranch_execz .LBB4_5044
.LBB4_5043:                             ;   in Loop: Header=BB4_4976 Depth=3
	v_lshrrev_b16 v182, 3, v178
	s_delay_alu instid0(VALU_DEP_1) | instskip(NEXT) | instid1(VALU_DEP_1)
	v_and_b32_e32 v182, 15, v182
	v_cmp_eq_u32_e32 vcc_lo, 0, v182
	v_and_b32_e32 v179, 7, v178
	s_delay_alu instid0(VALU_DEP_1) | instskip(NEXT) | instid1(VALU_DEP_1)
	v_clz_i32_u32_e32 v180, v179
	v_min_u32_e32 v180, 32, v180
	s_delay_alu instid0(VALU_DEP_1) | instskip(SKIP_1) | instid1(VALU_DEP_1)
	v_subrev_nc_u32_e32 v181, 28, v180
	v_sub_nc_u32_e32 v180, 29, v180
	v_dual_cndmask_b32 v180, v182, v180 :: v_dual_lshlrev_b32 v181, v181, v178
	v_lshlrev_b32_e32 v178, 24, v178
	s_delay_alu instid0(VALU_DEP_2) | instskip(NEXT) | instid1(VALU_DEP_3)
	v_and_b32_e32 v181, 7, v181
	v_lshl_add_u32 v180, v180, 23, 0x3b800000
	s_delay_alu instid0(VALU_DEP_2) | instskip(NEXT) | instid1(VALU_DEP_1)
	v_dual_cndmask_b32 v179, v179, v181 :: v_dual_and_b32 v178, 0x80000000, v178
	v_lshlrev_b32_e32 v179, 20, v179
	s_delay_alu instid0(VALU_DEP_1)
	v_or3_b32 v179, v178, v180, v179
.LBB4_5044:                             ;   in Loop: Header=BB4_4976 Depth=3
	s_or_b32 exec_lo, exec_lo, s17
	s_waitcnt vmcnt(11) lgkmcnt(11)
	v_and_b32_e32 v180, 0xff, v149
	s_mov_b32 s13, 0
	s_mov_b32 s29, exec_lo
                                        ; implicit-def: $sgpr17
	s_delay_alu instid0(VALU_DEP_1)
	v_cmpx_lt_i16_e64 0x7f, v180
	s_xor_b32 s29, exec_lo, s29
	s_cbranch_execnz .LBB4_5266
; %bb.5045:                             ;   in Loop: Header=BB4_4976 Depth=3
	s_or_saveexec_b32 s29, s29
	v_mov_b32_e32 v178, s17
	s_xor_b32 exec_lo, exec_lo, s29
	s_cbranch_execnz .LBB4_5269
.LBB4_5046:                             ;   in Loop: Header=BB4_4976 Depth=3
	s_or_b32 exec_lo, exec_lo, s29
	s_and_saveexec_b32 s17, s13
	s_cbranch_execz .LBB4_5048
.LBB4_5047:                             ;   in Loop: Header=BB4_4976 Depth=3
	v_and_b32_e32 v178, 7, v149
	v_lshrrev_b16 v182, 3, v149
	s_delay_alu instid0(VALU_DEP_2) | instskip(NEXT) | instid1(VALU_DEP_2)
	v_clz_i32_u32_e32 v180, v178
	v_and_b32_e32 v182, 15, v182
	s_delay_alu instid0(VALU_DEP_2) | instskip(NEXT) | instid1(VALU_DEP_2)
	v_min_u32_e32 v180, 32, v180
	v_cmp_eq_u32_e32 vcc_lo, 0, v182
	s_delay_alu instid0(VALU_DEP_2) | instskip(SKIP_1) | instid1(VALU_DEP_1)
	v_subrev_nc_u32_e32 v181, 28, v180
	v_sub_nc_u32_e32 v180, 29, v180
	v_dual_cndmask_b32 v180, v182, v180 :: v_dual_lshlrev_b32 v181, v181, v149
	v_lshlrev_b32_e32 v149, 24, v149
	s_delay_alu instid0(VALU_DEP_2) | instskip(NEXT) | instid1(VALU_DEP_3)
	v_and_b32_e32 v181, 7, v181
	v_lshl_add_u32 v180, v180, 23, 0x3b800000
	s_delay_alu instid0(VALU_DEP_3) | instskip(NEXT) | instid1(VALU_DEP_3)
	v_and_b32_e32 v149, 0x80000000, v149
	v_cndmask_b32_e32 v178, v178, v181, vcc_lo
	s_delay_alu instid0(VALU_DEP_1) | instskip(NEXT) | instid1(VALU_DEP_1)
	v_lshlrev_b32_e32 v178, 20, v178
	v_or3_b32 v178, v149, v180, v178
.LBB4_5048:                             ;   in Loop: Header=BB4_4976 Depth=3
	s_or_b32 exec_lo, exec_lo, s17
	s_delay_alu instid0(VALU_DEP_1) | instskip(NEXT) | instid1(VALU_DEP_1)
	v_add_f32_e32 v178, v179, v178
	v_and_b32_e32 v149, 0x7f800000, v178
	s_delay_alu instid0(VALU_DEP_1)
	v_cmp_ne_u32_e32 vcc_lo, 0x7f800000, v149
	v_mov_b32_e32 v149, 0x80
	s_and_saveexec_b32 s17, vcc_lo
	s_cbranch_execz .LBB4_5056
; %bb.5049:                             ;   in Loop: Header=BB4_4976 Depth=3
	v_mov_b32_e32 v149, 0
	s_mov_b32 s29, exec_lo
	v_cmpx_ne_u32_e32 0, v178
	s_cbranch_execz .LBB4_5055
; %bb.5050:                             ;   in Loop: Header=BB4_4976 Depth=3
	v_bfe_u32 v149, v178, 23, 8
	s_delay_alu instid0(VALU_DEP_1) | instskip(SKIP_1) | instid1(VALU_DEP_2)
	v_sub_nc_u32_e32 v180, 0x78, v149
	v_cmp_gt_u32_e32 vcc_lo, 0x79, v149
	v_dual_cndmask_b32 v180, 0, v180 :: v_dual_and_b32 v179, 0x7fffff, v178
	s_delay_alu instid0(VALU_DEP_1) | instskip(SKIP_2) | instid1(VALU_DEP_4)
	v_or_b32_e32 v181, 0x800000, v179
	v_cmp_eq_u32_e32 vcc_lo, 0, v149
	v_add_nc_u32_e32 v149, 0xffffff89, v149
	v_cndmask_b32_e64 v180, v180, 0x77, vcc_lo
	s_delay_alu instid0(VALU_DEP_2) | instskip(SKIP_1) | instid1(VALU_DEP_3)
	v_cndmask_b32_e64 v149, v149, 0xffffff8a, vcc_lo
	v_cndmask_b32_e32 v179, v181, v179, vcc_lo
	v_lshl_add_u32 v181, 0x100000, v180, -1
	v_lshlrev_b32_e64 v40, v180, 0x80000
	s_delay_alu instid0(VALU_DEP_3) | instskip(SKIP_1) | instid1(VALU_DEP_4)
	v_lshrrev_b32_e32 v182, v180, v179
	v_add_nc_u32_e32 v180, v180, v149
	v_and_b32_e32 v179, v181, v179
	s_delay_alu instid0(VALU_DEP_3) | instskip(NEXT) | instid1(VALU_DEP_2)
	v_bfe_u32 v183, v182, 20, 1
	v_cmp_eq_u32_e64 s13, v179, v40
	s_delay_alu instid0(VALU_DEP_2) | instskip(NEXT) | instid1(VALU_DEP_1)
	v_add_nc_u32_e32 v181, -1, v183
	v_cndmask_b32_e64 v179, 0, v181, s13
	v_lshrrev_b32_e32 v181, 23, v182
	s_mov_b32 s13, exec_lo
	s_delay_alu instid0(VALU_DEP_2) | instskip(NEXT) | instid1(VALU_DEP_2)
	v_add_nc_u32_e32 v179, v179, v182
	v_xor_b32_e32 v181, 1, v181
	s_delay_alu instid0(VALU_DEP_2) | instskip(NEXT) | instid1(VALU_DEP_1)
	v_and_b32_e32 v149, 0xfffff, v179
	v_add_nc_u32_e32 v179, v149, v182
                                        ; implicit-def: $vgpr149
	s_delay_alu instid0(VALU_DEP_3)
	v_cmpx_ne_u32_e64 v180, v181
	s_xor_b32 s13, exec_lo, s13
; %bb.5051:                             ;   in Loop: Header=BB4_4976 Depth=3
	s_delay_alu instid0(VALU_DEP_2) | instskip(SKIP_2) | instid1(VALU_DEP_2)
	v_cmp_lt_u32_e32 vcc_lo, 0xffffff, v179
	v_sub_nc_u32_e32 v149, v180, v181
	v_cndmask_b32_e64 v180, 0, 1, vcc_lo
	v_add_co_ci_u32_e32 v149, vcc_lo, 0, v149, vcc_lo
	s_delay_alu instid0(VALU_DEP_2)
	v_lshrrev_b32_e32 v179, v180, v179
; %bb.5052:                             ;   in Loop: Header=BB4_4976 Depth=3
	s_and_not1_saveexec_b32 s13, s13
; %bb.5053:                             ;   in Loop: Header=BB4_4976 Depth=3
	s_delay_alu instid0(VALU_DEP_1)
	v_bfe_u32 v149, v179, 23, 1
; %bb.5054:                             ;   in Loop: Header=BB4_4976 Depth=3
	s_or_b32 exec_lo, exec_lo, s13
	v_lshrrev_b32_e32 v179, 20, v179
	s_delay_alu instid0(VALU_DEP_2) | instskip(SKIP_2) | instid1(VALU_DEP_2)
	v_cmp_gt_i32_e32 vcc_lo, 16, v149
	v_lshrrev_b32_e32 v178, 24, v178
	v_min_i32_e32 v180, 15, v149
	v_dual_cndmask_b32 v179, 7, v179 :: v_dual_and_b32 v178, 0x80, v178
	s_delay_alu instid0(VALU_DEP_1) | instskip(SKIP_1) | instid1(VALU_DEP_2)
	v_or_b32_e32 v149, v149, v179
	v_and_b32_e32 v181, 7, v179
	v_cmp_ne_u32_e32 vcc_lo, 0, v149
	v_lshlrev_b32_e32 v180, 3, v180
	s_delay_alu instid0(VALU_DEP_1) | instskip(NEXT) | instid1(VALU_DEP_1)
	v_or3_b32 v178, v180, v178, v181
	v_cndmask_b32_e32 v149, 0, v178, vcc_lo
.LBB4_5055:                             ;   in Loop: Header=BB4_4976 Depth=3
	s_or_b32 exec_lo, exec_lo, s29
.LBB4_5056:                             ;   in Loop: Header=BB4_4976 Depth=3
	s_delay_alu instid0(SALU_CYCLE_1) | instskip(SKIP_3) | instid1(VALU_DEP_1)
	s_or_b32 exec_lo, exec_lo, s17
	v_and_b32_e32 v179, 0xff, v177
	s_mov_b32 s13, 0
	s_mov_b32 s29, exec_lo
                                        ; implicit-def: $sgpr17
	v_cmpx_lt_i16_e64 0x7f, v179
	s_xor_b32 s29, exec_lo, s29
	s_cbranch_execnz .LBB4_5270
; %bb.5057:                             ;   in Loop: Header=BB4_4976 Depth=3
	s_or_saveexec_b32 s29, s29
	v_mov_b32_e32 v178, s17
	s_xor_b32 exec_lo, exec_lo, s29
	s_cbranch_execnz .LBB4_5273
.LBB4_5058:                             ;   in Loop: Header=BB4_4976 Depth=3
	s_or_b32 exec_lo, exec_lo, s29
	s_and_saveexec_b32 s17, s13
	s_cbranch_execz .LBB4_5060
.LBB4_5059:                             ;   in Loop: Header=BB4_4976 Depth=3
	v_lshrrev_b16 v181, 3, v177
	s_delay_alu instid0(VALU_DEP_1) | instskip(NEXT) | instid1(VALU_DEP_1)
	v_and_b32_e32 v181, 15, v181
	v_cmp_eq_u32_e32 vcc_lo, 0, v181
	v_and_b32_e32 v178, 7, v177
	s_delay_alu instid0(VALU_DEP_1) | instskip(NEXT) | instid1(VALU_DEP_1)
	v_clz_i32_u32_e32 v179, v178
	v_min_u32_e32 v179, 32, v179
	s_delay_alu instid0(VALU_DEP_1) | instskip(SKIP_1) | instid1(VALU_DEP_1)
	v_subrev_nc_u32_e32 v180, 28, v179
	v_sub_nc_u32_e32 v179, 29, v179
	v_dual_cndmask_b32 v179, v181, v179 :: v_dual_lshlrev_b32 v180, v180, v177
	v_lshlrev_b32_e32 v177, 24, v177
	s_delay_alu instid0(VALU_DEP_2) | instskip(NEXT) | instid1(VALU_DEP_3)
	v_and_b32_e32 v180, 7, v180
	v_lshl_add_u32 v179, v179, 23, 0x3b800000
	s_delay_alu instid0(VALU_DEP_2) | instskip(NEXT) | instid1(VALU_DEP_1)
	v_dual_cndmask_b32 v178, v178, v180 :: v_dual_and_b32 v177, 0x80000000, v177
	v_lshlrev_b32_e32 v178, 20, v178
	s_delay_alu instid0(VALU_DEP_1)
	v_or3_b32 v178, v177, v179, v178
.LBB4_5060:                             ;   in Loop: Header=BB4_4976 Depth=3
	s_or_b32 exec_lo, exec_lo, s17
	s_waitcnt vmcnt(10) lgkmcnt(10)
	v_and_b32_e32 v179, 0xff, v160
	s_mov_b32 s13, 0
	s_mov_b32 s29, exec_lo
                                        ; implicit-def: $sgpr17
	s_delay_alu instid0(VALU_DEP_1)
	v_cmpx_lt_i16_e64 0x7f, v179
	s_xor_b32 s29, exec_lo, s29
	s_cbranch_execnz .LBB4_5274
; %bb.5061:                             ;   in Loop: Header=BB4_4976 Depth=3
	s_or_saveexec_b32 s29, s29
	v_mov_b32_e32 v177, s17
	s_xor_b32 exec_lo, exec_lo, s29
	s_cbranch_execnz .LBB4_5277
.LBB4_5062:                             ;   in Loop: Header=BB4_4976 Depth=3
	s_or_b32 exec_lo, exec_lo, s29
	s_and_saveexec_b32 s17, s13
	s_cbranch_execz .LBB4_5064
.LBB4_5063:                             ;   in Loop: Header=BB4_4976 Depth=3
	v_and_b32_e32 v177, 7, v160
	v_lshrrev_b16 v181, 3, v160
	s_delay_alu instid0(VALU_DEP_2) | instskip(NEXT) | instid1(VALU_DEP_2)
	v_clz_i32_u32_e32 v179, v177
	v_and_b32_e32 v181, 15, v181
	s_delay_alu instid0(VALU_DEP_2) | instskip(NEXT) | instid1(VALU_DEP_2)
	v_min_u32_e32 v179, 32, v179
	v_cmp_eq_u32_e32 vcc_lo, 0, v181
	s_delay_alu instid0(VALU_DEP_2) | instskip(SKIP_1) | instid1(VALU_DEP_1)
	v_subrev_nc_u32_e32 v180, 28, v179
	v_sub_nc_u32_e32 v179, 29, v179
	v_dual_cndmask_b32 v179, v181, v179 :: v_dual_lshlrev_b32 v180, v180, v160
	v_lshlrev_b32_e32 v160, 24, v160
	s_delay_alu instid0(VALU_DEP_2) | instskip(NEXT) | instid1(VALU_DEP_3)
	v_and_b32_e32 v180, 7, v180
	v_lshl_add_u32 v179, v179, 23, 0x3b800000
	s_delay_alu instid0(VALU_DEP_3) | instskip(NEXT) | instid1(VALU_DEP_3)
	v_and_b32_e32 v160, 0x80000000, v160
	v_cndmask_b32_e32 v177, v177, v180, vcc_lo
	s_delay_alu instid0(VALU_DEP_1) | instskip(NEXT) | instid1(VALU_DEP_1)
	v_lshlrev_b32_e32 v177, 20, v177
	v_or3_b32 v177, v160, v179, v177
.LBB4_5064:                             ;   in Loop: Header=BB4_4976 Depth=3
	s_or_b32 exec_lo, exec_lo, s17
	s_delay_alu instid0(VALU_DEP_1) | instskip(NEXT) | instid1(VALU_DEP_1)
	v_add_f32_e32 v177, v178, v177
	v_and_b32_e32 v160, 0x7f800000, v177
	s_delay_alu instid0(VALU_DEP_1)
	v_cmp_ne_u32_e32 vcc_lo, 0x7f800000, v160
	v_mov_b32_e32 v160, 0x80
	s_and_saveexec_b32 s17, vcc_lo
	s_cbranch_execz .LBB4_5072
; %bb.5065:                             ;   in Loop: Header=BB4_4976 Depth=3
	v_mov_b32_e32 v160, 0
	s_mov_b32 s29, exec_lo
	v_cmpx_ne_u32_e32 0, v177
	s_cbranch_execz .LBB4_5071
; %bb.5066:                             ;   in Loop: Header=BB4_4976 Depth=3
	v_bfe_u32 v160, v177, 23, 8
	s_delay_alu instid0(VALU_DEP_1) | instskip(SKIP_1) | instid1(VALU_DEP_2)
	v_sub_nc_u32_e32 v179, 0x78, v160
	v_cmp_gt_u32_e32 vcc_lo, 0x79, v160
	v_dual_cndmask_b32 v179, 0, v179 :: v_dual_and_b32 v178, 0x7fffff, v177
	s_delay_alu instid0(VALU_DEP_1) | instskip(SKIP_2) | instid1(VALU_DEP_4)
	v_or_b32_e32 v180, 0x800000, v178
	v_cmp_eq_u32_e32 vcc_lo, 0, v160
	v_add_nc_u32_e32 v160, 0xffffff89, v160
	v_cndmask_b32_e64 v179, v179, 0x77, vcc_lo
	s_delay_alu instid0(VALU_DEP_2) | instskip(SKIP_1) | instid1(VALU_DEP_3)
	v_cndmask_b32_e64 v160, v160, 0xffffff8a, vcc_lo
	v_cndmask_b32_e32 v178, v180, v178, vcc_lo
	v_lshl_add_u32 v180, 0x100000, v179, -1
	v_lshlrev_b32_e64 v183, v179, 0x80000
	s_delay_alu instid0(VALU_DEP_3) | instskip(SKIP_1) | instid1(VALU_DEP_4)
	v_lshrrev_b32_e32 v181, v179, v178
	v_add_nc_u32_e32 v179, v179, v160
	v_and_b32_e32 v178, v180, v178
	s_delay_alu instid0(VALU_DEP_3) | instskip(NEXT) | instid1(VALU_DEP_2)
	v_bfe_u32 v182, v181, 20, 1
	v_cmp_eq_u32_e64 s13, v178, v183
	s_delay_alu instid0(VALU_DEP_2) | instskip(NEXT) | instid1(VALU_DEP_1)
	v_add_nc_u32_e32 v180, -1, v182
	v_cndmask_b32_e64 v178, 0, v180, s13
	v_lshrrev_b32_e32 v180, 23, v181
	s_mov_b32 s13, exec_lo
	s_delay_alu instid0(VALU_DEP_2) | instskip(NEXT) | instid1(VALU_DEP_2)
	v_add_nc_u32_e32 v178, v178, v181
	v_xor_b32_e32 v180, 1, v180
	s_delay_alu instid0(VALU_DEP_2) | instskip(NEXT) | instid1(VALU_DEP_1)
	v_and_b32_e32 v160, 0xfffff, v178
	v_add_nc_u32_e32 v178, v160, v181
                                        ; implicit-def: $vgpr160
	s_delay_alu instid0(VALU_DEP_3)
	v_cmpx_ne_u32_e64 v179, v180
	s_xor_b32 s13, exec_lo, s13
; %bb.5067:                             ;   in Loop: Header=BB4_4976 Depth=3
	s_delay_alu instid0(VALU_DEP_2) | instskip(SKIP_2) | instid1(VALU_DEP_2)
	v_cmp_lt_u32_e32 vcc_lo, 0xffffff, v178
	v_sub_nc_u32_e32 v160, v179, v180
	v_cndmask_b32_e64 v179, 0, 1, vcc_lo
	v_add_co_ci_u32_e32 v160, vcc_lo, 0, v160, vcc_lo
	s_delay_alu instid0(VALU_DEP_2)
	v_lshrrev_b32_e32 v178, v179, v178
; %bb.5068:                             ;   in Loop: Header=BB4_4976 Depth=3
	s_and_not1_saveexec_b32 s13, s13
; %bb.5069:                             ;   in Loop: Header=BB4_4976 Depth=3
	s_delay_alu instid0(VALU_DEP_1)
	v_bfe_u32 v160, v178, 23, 1
; %bb.5070:                             ;   in Loop: Header=BB4_4976 Depth=3
	s_or_b32 exec_lo, exec_lo, s13
	v_lshrrev_b32_e32 v178, 20, v178
	s_delay_alu instid0(VALU_DEP_2) | instskip(SKIP_2) | instid1(VALU_DEP_2)
	v_cmp_gt_i32_e32 vcc_lo, 16, v160
	v_lshrrev_b32_e32 v177, 24, v177
	v_min_i32_e32 v179, 15, v160
	v_dual_cndmask_b32 v178, 7, v178 :: v_dual_and_b32 v177, 0x80, v177
	s_delay_alu instid0(VALU_DEP_1) | instskip(SKIP_1) | instid1(VALU_DEP_2)
	v_or_b32_e32 v160, v160, v178
	v_and_b32_e32 v180, 7, v178
	v_cmp_ne_u32_e32 vcc_lo, 0, v160
	v_lshlrev_b32_e32 v179, 3, v179
	s_delay_alu instid0(VALU_DEP_1) | instskip(NEXT) | instid1(VALU_DEP_1)
	v_or3_b32 v177, v179, v177, v180
	v_cndmask_b32_e32 v160, 0, v177, vcc_lo
.LBB4_5071:                             ;   in Loop: Header=BB4_4976 Depth=3
	s_or_b32 exec_lo, exec_lo, s29
.LBB4_5072:                             ;   in Loop: Header=BB4_4976 Depth=3
	s_delay_alu instid0(SALU_CYCLE_1) | instskip(SKIP_3) | instid1(VALU_DEP_1)
	s_or_b32 exec_lo, exec_lo, s17
	v_and_b32_e32 v178, 0xff, v176
	s_mov_b32 s13, 0
	s_mov_b32 s29, exec_lo
                                        ; implicit-def: $sgpr17
	v_cmpx_lt_i16_e64 0x7f, v178
	s_xor_b32 s29, exec_lo, s29
	s_cbranch_execnz .LBB4_5278
; %bb.5073:                             ;   in Loop: Header=BB4_4976 Depth=3
	s_or_saveexec_b32 s29, s29
	v_mov_b32_e32 v177, s17
	s_xor_b32 exec_lo, exec_lo, s29
	s_cbranch_execnz .LBB4_5281
.LBB4_5074:                             ;   in Loop: Header=BB4_4976 Depth=3
	s_or_b32 exec_lo, exec_lo, s29
	s_and_saveexec_b32 s17, s13
	s_cbranch_execz .LBB4_5076
.LBB4_5075:                             ;   in Loop: Header=BB4_4976 Depth=3
	v_lshrrev_b16 v180, 3, v176
	s_delay_alu instid0(VALU_DEP_1) | instskip(NEXT) | instid1(VALU_DEP_1)
	v_and_b32_e32 v180, 15, v180
	v_cmp_eq_u32_e32 vcc_lo, 0, v180
	v_and_b32_e32 v177, 7, v176
	s_delay_alu instid0(VALU_DEP_1) | instskip(NEXT) | instid1(VALU_DEP_1)
	v_clz_i32_u32_e32 v178, v177
	v_min_u32_e32 v178, 32, v178
	s_delay_alu instid0(VALU_DEP_1) | instskip(SKIP_1) | instid1(VALU_DEP_1)
	v_subrev_nc_u32_e32 v179, 28, v178
	v_sub_nc_u32_e32 v178, 29, v178
	v_dual_cndmask_b32 v178, v180, v178 :: v_dual_lshlrev_b32 v179, v179, v176
	v_lshlrev_b32_e32 v176, 24, v176
	s_delay_alu instid0(VALU_DEP_2) | instskip(NEXT) | instid1(VALU_DEP_3)
	v_and_b32_e32 v179, 7, v179
	v_lshl_add_u32 v178, v178, 23, 0x3b800000
	s_delay_alu instid0(VALU_DEP_2) | instskip(NEXT) | instid1(VALU_DEP_1)
	v_dual_cndmask_b32 v177, v177, v179 :: v_dual_and_b32 v176, 0x80000000, v176
	v_lshlrev_b32_e32 v177, 20, v177
	s_delay_alu instid0(VALU_DEP_1)
	v_or3_b32 v177, v176, v178, v177
.LBB4_5076:                             ;   in Loop: Header=BB4_4976 Depth=3
	s_or_b32 exec_lo, exec_lo, s17
	s_waitcnt vmcnt(9) lgkmcnt(9)
	v_and_b32_e32 v178, 0xff, v163
	s_mov_b32 s13, 0
	s_mov_b32 s29, exec_lo
                                        ; implicit-def: $sgpr17
	s_delay_alu instid0(VALU_DEP_1)
	v_cmpx_lt_i16_e64 0x7f, v178
	s_xor_b32 s29, exec_lo, s29
	s_cbranch_execnz .LBB4_5282
; %bb.5077:                             ;   in Loop: Header=BB4_4976 Depth=3
	s_or_saveexec_b32 s29, s29
	v_mov_b32_e32 v176, s17
	s_xor_b32 exec_lo, exec_lo, s29
	s_cbranch_execnz .LBB4_5285
.LBB4_5078:                             ;   in Loop: Header=BB4_4976 Depth=3
	s_or_b32 exec_lo, exec_lo, s29
	s_and_saveexec_b32 s17, s13
	s_cbranch_execz .LBB4_5080
.LBB4_5079:                             ;   in Loop: Header=BB4_4976 Depth=3
	v_and_b32_e32 v176, 7, v163
	v_lshrrev_b16 v180, 3, v163
	s_delay_alu instid0(VALU_DEP_2) | instskip(NEXT) | instid1(VALU_DEP_2)
	v_clz_i32_u32_e32 v178, v176
	v_and_b32_e32 v180, 15, v180
	s_delay_alu instid0(VALU_DEP_2) | instskip(NEXT) | instid1(VALU_DEP_2)
	v_min_u32_e32 v178, 32, v178
	v_cmp_eq_u32_e32 vcc_lo, 0, v180
	s_delay_alu instid0(VALU_DEP_2) | instskip(SKIP_1) | instid1(VALU_DEP_1)
	v_subrev_nc_u32_e32 v179, 28, v178
	v_sub_nc_u32_e32 v178, 29, v178
	v_dual_cndmask_b32 v178, v180, v178 :: v_dual_lshlrev_b32 v179, v179, v163
	v_lshlrev_b32_e32 v163, 24, v163
	s_delay_alu instid0(VALU_DEP_2) | instskip(NEXT) | instid1(VALU_DEP_3)
	v_and_b32_e32 v179, 7, v179
	v_lshl_add_u32 v178, v178, 23, 0x3b800000
	s_delay_alu instid0(VALU_DEP_3) | instskip(NEXT) | instid1(VALU_DEP_3)
	v_and_b32_e32 v163, 0x80000000, v163
	v_cndmask_b32_e32 v176, v176, v179, vcc_lo
	s_delay_alu instid0(VALU_DEP_1) | instskip(NEXT) | instid1(VALU_DEP_1)
	v_lshlrev_b32_e32 v176, 20, v176
	v_or3_b32 v176, v163, v178, v176
.LBB4_5080:                             ;   in Loop: Header=BB4_4976 Depth=3
	s_or_b32 exec_lo, exec_lo, s17
	s_delay_alu instid0(VALU_DEP_1) | instskip(NEXT) | instid1(VALU_DEP_1)
	v_add_f32_e32 v176, v177, v176
	v_and_b32_e32 v163, 0x7f800000, v176
	s_delay_alu instid0(VALU_DEP_1)
	v_cmp_ne_u32_e32 vcc_lo, 0x7f800000, v163
	v_mov_b32_e32 v163, 0x80
	s_and_saveexec_b32 s17, vcc_lo
	s_cbranch_execz .LBB4_5088
; %bb.5081:                             ;   in Loop: Header=BB4_4976 Depth=3
	v_mov_b32_e32 v163, 0
	s_mov_b32 s29, exec_lo
	v_cmpx_ne_u32_e32 0, v176
	s_cbranch_execz .LBB4_5087
; %bb.5082:                             ;   in Loop: Header=BB4_4976 Depth=3
	v_bfe_u32 v163, v176, 23, 8
	s_delay_alu instid0(VALU_DEP_1) | instskip(SKIP_1) | instid1(VALU_DEP_2)
	v_sub_nc_u32_e32 v178, 0x78, v163
	v_cmp_gt_u32_e32 vcc_lo, 0x79, v163
	v_dual_cndmask_b32 v178, 0, v178 :: v_dual_and_b32 v177, 0x7fffff, v176
	s_delay_alu instid0(VALU_DEP_1) | instskip(SKIP_2) | instid1(VALU_DEP_4)
	v_or_b32_e32 v179, 0x800000, v177
	v_cmp_eq_u32_e32 vcc_lo, 0, v163
	v_add_nc_u32_e32 v163, 0xffffff89, v163
	v_cndmask_b32_e64 v178, v178, 0x77, vcc_lo
	s_delay_alu instid0(VALU_DEP_2) | instskip(SKIP_1) | instid1(VALU_DEP_3)
	v_cndmask_b32_e64 v163, v163, 0xffffff8a, vcc_lo
	v_cndmask_b32_e32 v177, v179, v177, vcc_lo
	v_lshl_add_u32 v179, 0x100000, v178, -1
	v_lshlrev_b32_e64 v182, v178, 0x80000
	s_delay_alu instid0(VALU_DEP_3) | instskip(SKIP_1) | instid1(VALU_DEP_4)
	v_lshrrev_b32_e32 v180, v178, v177
	v_add_nc_u32_e32 v178, v178, v163
	v_and_b32_e32 v177, v179, v177
	s_delay_alu instid0(VALU_DEP_3) | instskip(NEXT) | instid1(VALU_DEP_2)
	v_bfe_u32 v181, v180, 20, 1
	v_cmp_eq_u32_e64 s13, v177, v182
	s_delay_alu instid0(VALU_DEP_2) | instskip(NEXT) | instid1(VALU_DEP_1)
	v_add_nc_u32_e32 v179, -1, v181
	v_cndmask_b32_e64 v177, 0, v179, s13
	v_lshrrev_b32_e32 v179, 23, v180
	s_mov_b32 s13, exec_lo
	s_delay_alu instid0(VALU_DEP_2) | instskip(NEXT) | instid1(VALU_DEP_2)
	v_add_nc_u32_e32 v177, v177, v180
	v_xor_b32_e32 v179, 1, v179
	s_delay_alu instid0(VALU_DEP_2) | instskip(NEXT) | instid1(VALU_DEP_1)
	v_and_b32_e32 v163, 0xfffff, v177
	v_add_nc_u32_e32 v177, v163, v180
                                        ; implicit-def: $vgpr163
	s_delay_alu instid0(VALU_DEP_3)
	v_cmpx_ne_u32_e64 v178, v179
	s_xor_b32 s13, exec_lo, s13
; %bb.5083:                             ;   in Loop: Header=BB4_4976 Depth=3
	s_delay_alu instid0(VALU_DEP_2) | instskip(SKIP_2) | instid1(VALU_DEP_2)
	v_cmp_lt_u32_e32 vcc_lo, 0xffffff, v177
	v_sub_nc_u32_e32 v163, v178, v179
	v_cndmask_b32_e64 v178, 0, 1, vcc_lo
	v_add_co_ci_u32_e32 v163, vcc_lo, 0, v163, vcc_lo
	s_delay_alu instid0(VALU_DEP_2)
	v_lshrrev_b32_e32 v177, v178, v177
; %bb.5084:                             ;   in Loop: Header=BB4_4976 Depth=3
	s_and_not1_saveexec_b32 s13, s13
; %bb.5085:                             ;   in Loop: Header=BB4_4976 Depth=3
	s_delay_alu instid0(VALU_DEP_1)
	v_bfe_u32 v163, v177, 23, 1
; %bb.5086:                             ;   in Loop: Header=BB4_4976 Depth=3
	s_or_b32 exec_lo, exec_lo, s13
	v_lshrrev_b32_e32 v177, 20, v177
	s_delay_alu instid0(VALU_DEP_2) | instskip(SKIP_2) | instid1(VALU_DEP_2)
	v_cmp_gt_i32_e32 vcc_lo, 16, v163
	v_lshrrev_b32_e32 v176, 24, v176
	v_min_i32_e32 v178, 15, v163
	v_dual_cndmask_b32 v177, 7, v177 :: v_dual_and_b32 v176, 0x80, v176
	s_delay_alu instid0(VALU_DEP_1) | instskip(SKIP_1) | instid1(VALU_DEP_2)
	v_or_b32_e32 v163, v163, v177
	v_and_b32_e32 v179, 7, v177
	v_cmp_ne_u32_e32 vcc_lo, 0, v163
	v_lshlrev_b32_e32 v178, 3, v178
	s_delay_alu instid0(VALU_DEP_1) | instskip(NEXT) | instid1(VALU_DEP_1)
	v_or3_b32 v176, v178, v176, v179
	v_cndmask_b32_e32 v163, 0, v176, vcc_lo
.LBB4_5087:                             ;   in Loop: Header=BB4_4976 Depth=3
	s_or_b32 exec_lo, exec_lo, s29
.LBB4_5088:                             ;   in Loop: Header=BB4_4976 Depth=3
	s_delay_alu instid0(SALU_CYCLE_1) | instskip(SKIP_3) | instid1(VALU_DEP_1)
	s_or_b32 exec_lo, exec_lo, s17
	v_and_b32_e32 v177, 0xff, v167
	s_mov_b32 s13, 0
	s_mov_b32 s29, exec_lo
                                        ; implicit-def: $sgpr17
	v_cmpx_lt_i16_e64 0x7f, v177
	s_xor_b32 s29, exec_lo, s29
	s_cbranch_execnz .LBB4_5286
; %bb.5089:                             ;   in Loop: Header=BB4_4976 Depth=3
	s_or_saveexec_b32 s29, s29
	v_mov_b32_e32 v176, s17
	s_xor_b32 exec_lo, exec_lo, s29
	s_cbranch_execnz .LBB4_5289
.LBB4_5090:                             ;   in Loop: Header=BB4_4976 Depth=3
	s_or_b32 exec_lo, exec_lo, s29
	s_and_saveexec_b32 s17, s13
	s_cbranch_execz .LBB4_5092
.LBB4_5091:                             ;   in Loop: Header=BB4_4976 Depth=3
	v_lshrrev_b16 v179, 3, v167
	s_delay_alu instid0(VALU_DEP_1) | instskip(NEXT) | instid1(VALU_DEP_1)
	v_and_b32_e32 v179, 15, v179
	v_cmp_eq_u32_e32 vcc_lo, 0, v179
	v_and_b32_e32 v176, 7, v167
	s_delay_alu instid0(VALU_DEP_1) | instskip(NEXT) | instid1(VALU_DEP_1)
	v_clz_i32_u32_e32 v177, v176
	v_min_u32_e32 v177, 32, v177
	s_delay_alu instid0(VALU_DEP_1) | instskip(SKIP_1) | instid1(VALU_DEP_1)
	v_subrev_nc_u32_e32 v178, 28, v177
	v_sub_nc_u32_e32 v177, 29, v177
	v_dual_cndmask_b32 v177, v179, v177 :: v_dual_lshlrev_b32 v178, v178, v167
	v_lshlrev_b32_e32 v167, 24, v167
	s_delay_alu instid0(VALU_DEP_2) | instskip(NEXT) | instid1(VALU_DEP_3)
	v_and_b32_e32 v178, 7, v178
	v_lshl_add_u32 v177, v177, 23, 0x3b800000
	s_delay_alu instid0(VALU_DEP_2) | instskip(NEXT) | instid1(VALU_DEP_1)
	v_dual_cndmask_b32 v176, v176, v178 :: v_dual_and_b32 v167, 0x80000000, v167
	v_lshlrev_b32_e32 v176, 20, v176
	s_delay_alu instid0(VALU_DEP_1)
	v_or3_b32 v176, v167, v177, v176
.LBB4_5092:                             ;   in Loop: Header=BB4_4976 Depth=3
	s_or_b32 exec_lo, exec_lo, s17
	s_waitcnt vmcnt(8) lgkmcnt(8)
	v_and_b32_e32 v177, 0xff, v166
	s_mov_b32 s13, 0
	s_mov_b32 s29, exec_lo
                                        ; implicit-def: $sgpr17
	s_delay_alu instid0(VALU_DEP_1)
	v_cmpx_lt_i16_e64 0x7f, v177
	s_xor_b32 s29, exec_lo, s29
	s_cbranch_execnz .LBB4_5290
; %bb.5093:                             ;   in Loop: Header=BB4_4976 Depth=3
	s_or_saveexec_b32 s29, s29
	v_mov_b32_e32 v167, s17
	s_xor_b32 exec_lo, exec_lo, s29
	s_cbranch_execnz .LBB4_5293
.LBB4_5094:                             ;   in Loop: Header=BB4_4976 Depth=3
	s_or_b32 exec_lo, exec_lo, s29
	s_and_saveexec_b32 s17, s13
	s_cbranch_execz .LBB4_5096
.LBB4_5095:                             ;   in Loop: Header=BB4_4976 Depth=3
	v_and_b32_e32 v167, 7, v166
	v_lshrrev_b16 v179, 3, v166
	s_delay_alu instid0(VALU_DEP_2) | instskip(NEXT) | instid1(VALU_DEP_2)
	v_clz_i32_u32_e32 v177, v167
	v_and_b32_e32 v179, 15, v179
	s_delay_alu instid0(VALU_DEP_2) | instskip(NEXT) | instid1(VALU_DEP_2)
	v_min_u32_e32 v177, 32, v177
	v_cmp_eq_u32_e32 vcc_lo, 0, v179
	s_delay_alu instid0(VALU_DEP_2) | instskip(SKIP_1) | instid1(VALU_DEP_1)
	v_subrev_nc_u32_e32 v178, 28, v177
	v_sub_nc_u32_e32 v177, 29, v177
	v_dual_cndmask_b32 v177, v179, v177 :: v_dual_lshlrev_b32 v178, v178, v166
	v_lshlrev_b32_e32 v166, 24, v166
	s_delay_alu instid0(VALU_DEP_2) | instskip(NEXT) | instid1(VALU_DEP_3)
	v_and_b32_e32 v178, 7, v178
	v_lshl_add_u32 v177, v177, 23, 0x3b800000
	s_delay_alu instid0(VALU_DEP_3) | instskip(NEXT) | instid1(VALU_DEP_3)
	v_and_b32_e32 v166, 0x80000000, v166
	v_cndmask_b32_e32 v167, v167, v178, vcc_lo
	s_delay_alu instid0(VALU_DEP_1) | instskip(NEXT) | instid1(VALU_DEP_1)
	v_lshlrev_b32_e32 v167, 20, v167
	v_or3_b32 v167, v166, v177, v167
.LBB4_5096:                             ;   in Loop: Header=BB4_4976 Depth=3
	s_or_b32 exec_lo, exec_lo, s17
	s_delay_alu instid0(VALU_DEP_1) | instskip(NEXT) | instid1(VALU_DEP_1)
	v_add_f32_e32 v167, v176, v167
	v_and_b32_e32 v166, 0x7f800000, v167
	s_delay_alu instid0(VALU_DEP_1)
	v_cmp_ne_u32_e32 vcc_lo, 0x7f800000, v166
	v_mov_b32_e32 v166, 0x80
	s_and_saveexec_b32 s17, vcc_lo
	s_cbranch_execz .LBB4_5104
; %bb.5097:                             ;   in Loop: Header=BB4_4976 Depth=3
	v_mov_b32_e32 v166, 0
	s_mov_b32 s29, exec_lo
	v_cmpx_ne_u32_e32 0, v167
	s_cbranch_execz .LBB4_5103
; %bb.5098:                             ;   in Loop: Header=BB4_4976 Depth=3
	v_bfe_u32 v166, v167, 23, 8
	s_delay_alu instid0(VALU_DEP_1) | instskip(SKIP_1) | instid1(VALU_DEP_2)
	v_sub_nc_u32_e32 v177, 0x78, v166
	v_cmp_gt_u32_e32 vcc_lo, 0x79, v166
	v_dual_cndmask_b32 v177, 0, v177 :: v_dual_and_b32 v176, 0x7fffff, v167
	s_delay_alu instid0(VALU_DEP_1) | instskip(SKIP_2) | instid1(VALU_DEP_4)
	v_or_b32_e32 v178, 0x800000, v176
	v_cmp_eq_u32_e32 vcc_lo, 0, v166
	v_add_nc_u32_e32 v166, 0xffffff89, v166
	v_cndmask_b32_e64 v177, v177, 0x77, vcc_lo
	s_delay_alu instid0(VALU_DEP_2) | instskip(SKIP_1) | instid1(VALU_DEP_3)
	v_cndmask_b32_e64 v166, v166, 0xffffff8a, vcc_lo
	v_cndmask_b32_e32 v176, v178, v176, vcc_lo
	v_lshl_add_u32 v178, 0x100000, v177, -1
	v_lshlrev_b32_e64 v181, v177, 0x80000
	s_delay_alu instid0(VALU_DEP_3) | instskip(SKIP_1) | instid1(VALU_DEP_4)
	v_lshrrev_b32_e32 v179, v177, v176
	v_add_nc_u32_e32 v177, v177, v166
	v_and_b32_e32 v176, v178, v176
	s_delay_alu instid0(VALU_DEP_3) | instskip(NEXT) | instid1(VALU_DEP_2)
	v_bfe_u32 v180, v179, 20, 1
	v_cmp_eq_u32_e64 s13, v176, v181
	s_delay_alu instid0(VALU_DEP_2) | instskip(NEXT) | instid1(VALU_DEP_1)
	v_add_nc_u32_e32 v178, -1, v180
	v_cndmask_b32_e64 v176, 0, v178, s13
	v_lshrrev_b32_e32 v178, 23, v179
	s_mov_b32 s13, exec_lo
	s_delay_alu instid0(VALU_DEP_2) | instskip(NEXT) | instid1(VALU_DEP_2)
	v_add_nc_u32_e32 v176, v176, v179
	v_xor_b32_e32 v178, 1, v178
	s_delay_alu instid0(VALU_DEP_2) | instskip(NEXT) | instid1(VALU_DEP_1)
	v_and_b32_e32 v166, 0xfffff, v176
	v_add_nc_u32_e32 v176, v166, v179
                                        ; implicit-def: $vgpr166
	s_delay_alu instid0(VALU_DEP_3)
	v_cmpx_ne_u32_e64 v177, v178
	s_xor_b32 s13, exec_lo, s13
; %bb.5099:                             ;   in Loop: Header=BB4_4976 Depth=3
	s_delay_alu instid0(VALU_DEP_2) | instskip(SKIP_2) | instid1(VALU_DEP_2)
	v_cmp_lt_u32_e32 vcc_lo, 0xffffff, v176
	v_sub_nc_u32_e32 v166, v177, v178
	v_cndmask_b32_e64 v177, 0, 1, vcc_lo
	v_add_co_ci_u32_e32 v166, vcc_lo, 0, v166, vcc_lo
	s_delay_alu instid0(VALU_DEP_2)
	v_lshrrev_b32_e32 v176, v177, v176
; %bb.5100:                             ;   in Loop: Header=BB4_4976 Depth=3
	s_and_not1_saveexec_b32 s13, s13
; %bb.5101:                             ;   in Loop: Header=BB4_4976 Depth=3
	s_delay_alu instid0(VALU_DEP_1)
	v_bfe_u32 v166, v176, 23, 1
; %bb.5102:                             ;   in Loop: Header=BB4_4976 Depth=3
	s_or_b32 exec_lo, exec_lo, s13
	v_lshrrev_b32_e32 v176, 20, v176
	s_delay_alu instid0(VALU_DEP_2) | instskip(SKIP_2) | instid1(VALU_DEP_2)
	v_cmp_gt_i32_e32 vcc_lo, 16, v166
	v_lshrrev_b32_e32 v167, 24, v167
	v_min_i32_e32 v177, 15, v166
	v_dual_cndmask_b32 v176, 7, v176 :: v_dual_and_b32 v167, 0x80, v167
	s_delay_alu instid0(VALU_DEP_1) | instskip(SKIP_1) | instid1(VALU_DEP_2)
	v_or_b32_e32 v166, v166, v176
	v_and_b32_e32 v178, 7, v176
	v_cmp_ne_u32_e32 vcc_lo, 0, v166
	v_lshlrev_b32_e32 v177, 3, v177
	s_delay_alu instid0(VALU_DEP_1) | instskip(NEXT) | instid1(VALU_DEP_1)
	v_or3_b32 v167, v177, v167, v178
	v_cndmask_b32_e32 v166, 0, v167, vcc_lo
.LBB4_5103:                             ;   in Loop: Header=BB4_4976 Depth=3
	s_or_b32 exec_lo, exec_lo, s29
.LBB4_5104:                             ;   in Loop: Header=BB4_4976 Depth=3
	s_delay_alu instid0(SALU_CYCLE_1) | instskip(SKIP_3) | instid1(VALU_DEP_1)
	s_or_b32 exec_lo, exec_lo, s17
	v_and_b32_e32 v176, 0xff, v165
	s_mov_b32 s13, 0
	s_mov_b32 s29, exec_lo
                                        ; implicit-def: $sgpr17
	v_cmpx_lt_i16_e64 0x7f, v176
	s_xor_b32 s29, exec_lo, s29
	s_cbranch_execnz .LBB4_5294
; %bb.5105:                             ;   in Loop: Header=BB4_4976 Depth=3
	s_or_saveexec_b32 s29, s29
	v_mov_b32_e32 v167, s17
	s_xor_b32 exec_lo, exec_lo, s29
	s_cbranch_execnz .LBB4_5297
.LBB4_5106:                             ;   in Loop: Header=BB4_4976 Depth=3
	s_or_b32 exec_lo, exec_lo, s29
	s_and_saveexec_b32 s17, s13
	s_cbranch_execz .LBB4_5108
.LBB4_5107:                             ;   in Loop: Header=BB4_4976 Depth=3
	v_lshrrev_b16 v178, 3, v165
	s_delay_alu instid0(VALU_DEP_1) | instskip(NEXT) | instid1(VALU_DEP_1)
	v_and_b32_e32 v178, 15, v178
	v_cmp_eq_u32_e32 vcc_lo, 0, v178
	v_and_b32_e32 v167, 7, v165
	s_delay_alu instid0(VALU_DEP_1) | instskip(NEXT) | instid1(VALU_DEP_1)
	v_clz_i32_u32_e32 v176, v167
	v_min_u32_e32 v176, 32, v176
	s_delay_alu instid0(VALU_DEP_1) | instskip(SKIP_1) | instid1(VALU_DEP_1)
	v_subrev_nc_u32_e32 v177, 28, v176
	v_sub_nc_u32_e32 v176, 29, v176
	v_dual_cndmask_b32 v176, v178, v176 :: v_dual_lshlrev_b32 v177, v177, v165
	v_lshlrev_b32_e32 v165, 24, v165
	s_delay_alu instid0(VALU_DEP_2) | instskip(NEXT) | instid1(VALU_DEP_3)
	v_and_b32_e32 v177, 7, v177
	v_lshl_add_u32 v176, v176, 23, 0x3b800000
	s_delay_alu instid0(VALU_DEP_3) | instskip(NEXT) | instid1(VALU_DEP_3)
	v_and_b32_e32 v165, 0x80000000, v165
	v_cndmask_b32_e32 v167, v167, v177, vcc_lo
	s_delay_alu instid0(VALU_DEP_1) | instskip(NEXT) | instid1(VALU_DEP_1)
	v_lshlrev_b32_e32 v167, 20, v167
	v_or3_b32 v167, v165, v176, v167
.LBB4_5108:                             ;   in Loop: Header=BB4_4976 Depth=3
	s_or_b32 exec_lo, exec_lo, s17
	s_waitcnt vmcnt(7) lgkmcnt(7)
	v_and_b32_e32 v176, 0xff, v164
	s_mov_b32 s13, 0
	s_mov_b32 s29, exec_lo
                                        ; implicit-def: $sgpr17
	s_delay_alu instid0(VALU_DEP_1)
	v_cmpx_lt_i16_e64 0x7f, v176
	s_xor_b32 s29, exec_lo, s29
	s_cbranch_execnz .LBB4_5298
; %bb.5109:                             ;   in Loop: Header=BB4_4976 Depth=3
	s_or_saveexec_b32 s29, s29
	v_mov_b32_e32 v165, s17
	s_xor_b32 exec_lo, exec_lo, s29
	s_cbranch_execnz .LBB4_5301
.LBB4_5110:                             ;   in Loop: Header=BB4_4976 Depth=3
	s_or_b32 exec_lo, exec_lo, s29
	s_and_saveexec_b32 s17, s13
	s_cbranch_execz .LBB4_5112
.LBB4_5111:                             ;   in Loop: Header=BB4_4976 Depth=3
	v_and_b32_e32 v165, 7, v164
	v_lshrrev_b16 v178, 3, v164
	s_delay_alu instid0(VALU_DEP_2) | instskip(NEXT) | instid1(VALU_DEP_1)
	v_clz_i32_u32_e32 v176, v165
	v_min_u32_e32 v176, 32, v176
	s_delay_alu instid0(VALU_DEP_1) | instskip(SKIP_1) | instid1(VALU_DEP_2)
	v_subrev_nc_u32_e32 v177, 28, v176
	v_sub_nc_u32_e32 v176, 29, v176
	v_lshlrev_b32_e32 v177, v177, v164
	v_lshlrev_b32_e32 v164, 24, v164
	s_delay_alu instid0(VALU_DEP_2) | instskip(SKIP_1) | instid1(VALU_DEP_3)
	v_and_b32_e32 v177, 7, v177
	v_and_b32_e32 v178, 15, v178
	;; [unrolled: 1-line block ×3, first 2 shown]
	s_delay_alu instid0(VALU_DEP_2) | instskip(NEXT) | instid1(VALU_DEP_4)
	v_cmp_eq_u32_e32 vcc_lo, 0, v178
	v_dual_cndmask_b32 v165, v165, v177 :: v_dual_cndmask_b32 v176, v178, v176
	s_delay_alu instid0(VALU_DEP_1) | instskip(NEXT) | instid1(VALU_DEP_2)
	v_lshlrev_b32_e32 v165, 20, v165
	v_lshl_add_u32 v176, v176, 23, 0x3b800000
	s_delay_alu instid0(VALU_DEP_1)
	v_or3_b32 v165, v164, v176, v165
.LBB4_5112:                             ;   in Loop: Header=BB4_4976 Depth=3
	s_or_b32 exec_lo, exec_lo, s17
	s_delay_alu instid0(VALU_DEP_1) | instskip(NEXT) | instid1(VALU_DEP_1)
	v_add_f32_e32 v165, v167, v165
	v_and_b32_e32 v164, 0x7f800000, v165
	s_delay_alu instid0(VALU_DEP_1)
	v_cmp_ne_u32_e32 vcc_lo, 0x7f800000, v164
	v_mov_b32_e32 v164, 0x80
	s_and_saveexec_b32 s17, vcc_lo
	s_cbranch_execz .LBB4_5120
; %bb.5113:                             ;   in Loop: Header=BB4_4976 Depth=3
	v_mov_b32_e32 v164, 0
	s_mov_b32 s29, exec_lo
	v_cmpx_ne_u32_e32 0, v165
	s_cbranch_execz .LBB4_5119
; %bb.5114:                             ;   in Loop: Header=BB4_4976 Depth=3
	v_bfe_u32 v164, v165, 23, 8
	s_delay_alu instid0(VALU_DEP_1) | instskip(SKIP_1) | instid1(VALU_DEP_2)
	v_sub_nc_u32_e32 v176, 0x78, v164
	v_cmp_gt_u32_e32 vcc_lo, 0x79, v164
	v_dual_cndmask_b32 v176, 0, v176 :: v_dual_and_b32 v167, 0x7fffff, v165
	s_delay_alu instid0(VALU_DEP_1) | instskip(SKIP_2) | instid1(VALU_DEP_4)
	v_or_b32_e32 v177, 0x800000, v167
	v_cmp_eq_u32_e32 vcc_lo, 0, v164
	v_add_nc_u32_e32 v164, 0xffffff89, v164
	v_cndmask_b32_e64 v176, v176, 0x77, vcc_lo
	s_delay_alu instid0(VALU_DEP_4) | instskip(NEXT) | instid1(VALU_DEP_3)
	v_cndmask_b32_e32 v167, v177, v167, vcc_lo
	v_cndmask_b32_e64 v164, v164, 0xffffff8a, vcc_lo
	s_delay_alu instid0(VALU_DEP_3) | instskip(NEXT) | instid1(VALU_DEP_3)
	v_lshl_add_u32 v177, 0x100000, v176, -1
	v_lshrrev_b32_e32 v178, v176, v167
	v_lshlrev_b32_e64 v180, v176, 0x80000
	s_delay_alu instid0(VALU_DEP_4) | instskip(NEXT) | instid1(VALU_DEP_4)
	v_add_nc_u32_e32 v176, v176, v164
	v_and_b32_e32 v167, v177, v167
	s_delay_alu instid0(VALU_DEP_4) | instskip(NEXT) | instid1(VALU_DEP_2)
	v_bfe_u32 v179, v178, 20, 1
	v_cmp_eq_u32_e64 s13, v167, v180
	s_delay_alu instid0(VALU_DEP_2) | instskip(NEXT) | instid1(VALU_DEP_1)
	v_add_nc_u32_e32 v177, -1, v179
	v_cndmask_b32_e64 v167, 0, v177, s13
	v_lshrrev_b32_e32 v177, 23, v178
	s_mov_b32 s13, exec_lo
	s_delay_alu instid0(VALU_DEP_2) | instskip(NEXT) | instid1(VALU_DEP_2)
	v_add_nc_u32_e32 v167, v167, v178
	v_xor_b32_e32 v177, 1, v177
	s_delay_alu instid0(VALU_DEP_2) | instskip(NEXT) | instid1(VALU_DEP_1)
	v_and_b32_e32 v164, 0xfffff, v167
	v_add_nc_u32_e32 v167, v164, v178
                                        ; implicit-def: $vgpr164
	s_delay_alu instid0(VALU_DEP_3)
	v_cmpx_ne_u32_e64 v176, v177
	s_xor_b32 s13, exec_lo, s13
; %bb.5115:                             ;   in Loop: Header=BB4_4976 Depth=3
	s_delay_alu instid0(VALU_DEP_2) | instskip(SKIP_2) | instid1(VALU_DEP_2)
	v_cmp_lt_u32_e32 vcc_lo, 0xffffff, v167
	v_sub_nc_u32_e32 v164, v176, v177
	v_cndmask_b32_e64 v176, 0, 1, vcc_lo
	v_add_co_ci_u32_e32 v164, vcc_lo, 0, v164, vcc_lo
	s_delay_alu instid0(VALU_DEP_2)
	v_lshrrev_b32_e32 v167, v176, v167
; %bb.5116:                             ;   in Loop: Header=BB4_4976 Depth=3
	s_and_not1_saveexec_b32 s13, s13
; %bb.5117:                             ;   in Loop: Header=BB4_4976 Depth=3
	s_delay_alu instid0(VALU_DEP_1)
	v_bfe_u32 v164, v167, 23, 1
; %bb.5118:                             ;   in Loop: Header=BB4_4976 Depth=3
	s_or_b32 exec_lo, exec_lo, s13
	v_lshrrev_b32_e32 v167, 20, v167
	s_delay_alu instid0(VALU_DEP_2) | instskip(SKIP_2) | instid1(VALU_DEP_2)
	v_cmp_gt_i32_e32 vcc_lo, 16, v164
	v_min_i32_e32 v176, 15, v164
	v_lshrrev_b32_e32 v165, 24, v165
	v_dual_cndmask_b32 v167, 7, v167 :: v_dual_lshlrev_b32 v176, 3, v176
	s_delay_alu instid0(VALU_DEP_2) | instskip(NEXT) | instid1(VALU_DEP_2)
	v_and_b32_e32 v165, 0x80, v165
	v_or_b32_e32 v164, v164, v167
	s_delay_alu instid0(VALU_DEP_1) | instskip(SKIP_1) | instid1(VALU_DEP_1)
	v_cmp_ne_u32_e32 vcc_lo, 0, v164
	v_and_b32_e32 v177, 7, v167
	v_or3_b32 v165, v176, v165, v177
	s_delay_alu instid0(VALU_DEP_1)
	v_cndmask_b32_e32 v164, 0, v165, vcc_lo
.LBB4_5119:                             ;   in Loop: Header=BB4_4976 Depth=3
	s_or_b32 exec_lo, exec_lo, s29
.LBB4_5120:                             ;   in Loop: Header=BB4_4976 Depth=3
	s_delay_alu instid0(SALU_CYCLE_1) | instskip(SKIP_3) | instid1(VALU_DEP_1)
	s_or_b32 exec_lo, exec_lo, s17
	v_and_b32_e32 v167, 0xff, v162
	s_mov_b32 s13, 0
	s_mov_b32 s29, exec_lo
                                        ; implicit-def: $sgpr17
	v_cmpx_lt_i16_e64 0x7f, v167
	s_xor_b32 s29, exec_lo, s29
	s_cbranch_execnz .LBB4_5302
; %bb.5121:                             ;   in Loop: Header=BB4_4976 Depth=3
	s_or_saveexec_b32 s29, s29
	v_mov_b32_e32 v165, s17
	s_xor_b32 exec_lo, exec_lo, s29
	s_cbranch_execnz .LBB4_5305
.LBB4_5122:                             ;   in Loop: Header=BB4_4976 Depth=3
	s_or_b32 exec_lo, exec_lo, s29
	s_and_saveexec_b32 s17, s13
	s_cbranch_execz .LBB4_5124
.LBB4_5123:                             ;   in Loop: Header=BB4_4976 Depth=3
	v_and_b32_e32 v165, 7, v162
	v_lshrrev_b16 v177, 3, v162
	s_delay_alu instid0(VALU_DEP_2) | instskip(NEXT) | instid1(VALU_DEP_2)
	v_clz_i32_u32_e32 v167, v165
	v_and_b32_e32 v177, 15, v177
	s_delay_alu instid0(VALU_DEP_2) | instskip(NEXT) | instid1(VALU_DEP_2)
	v_min_u32_e32 v167, 32, v167
	v_cmp_eq_u32_e32 vcc_lo, 0, v177
	s_delay_alu instid0(VALU_DEP_2) | instskip(SKIP_1) | instid1(VALU_DEP_1)
	v_subrev_nc_u32_e32 v176, 28, v167
	v_sub_nc_u32_e32 v167, 29, v167
	v_dual_cndmask_b32 v167, v177, v167 :: v_dual_lshlrev_b32 v176, v176, v162
	s_delay_alu instid0(VALU_DEP_1) | instskip(SKIP_1) | instid1(VALU_DEP_3)
	v_and_b32_e32 v176, 7, v176
	v_lshlrev_b32_e32 v162, 24, v162
	v_lshl_add_u32 v167, v167, 23, 0x3b800000
	s_delay_alu instid0(VALU_DEP_2) | instskip(NEXT) | instid1(VALU_DEP_1)
	v_dual_cndmask_b32 v165, v165, v176 :: v_dual_and_b32 v162, 0x80000000, v162
	v_lshlrev_b32_e32 v165, 20, v165
	s_delay_alu instid0(VALU_DEP_1)
	v_or3_b32 v165, v162, v167, v165
.LBB4_5124:                             ;   in Loop: Header=BB4_4976 Depth=3
	s_or_b32 exec_lo, exec_lo, s17
	s_waitcnt vmcnt(6) lgkmcnt(6)
	v_and_b32_e32 v167, 0xff, v161
	s_mov_b32 s13, 0
	s_mov_b32 s29, exec_lo
                                        ; implicit-def: $sgpr17
	s_delay_alu instid0(VALU_DEP_1)
	v_cmpx_lt_i16_e64 0x7f, v167
	s_xor_b32 s29, exec_lo, s29
	s_cbranch_execnz .LBB4_5306
; %bb.5125:                             ;   in Loop: Header=BB4_4976 Depth=3
	s_or_saveexec_b32 s29, s29
	v_mov_b32_e32 v162, s17
	s_xor_b32 exec_lo, exec_lo, s29
	s_cbranch_execnz .LBB4_5309
.LBB4_5126:                             ;   in Loop: Header=BB4_4976 Depth=3
	s_or_b32 exec_lo, exec_lo, s29
	s_and_saveexec_b32 s17, s13
	s_cbranch_execz .LBB4_5128
.LBB4_5127:                             ;   in Loop: Header=BB4_4976 Depth=3
	v_lshrrev_b16 v177, 3, v161
	s_delay_alu instid0(VALU_DEP_1) | instskip(NEXT) | instid1(VALU_DEP_1)
	v_and_b32_e32 v177, 15, v177
	v_cmp_eq_u32_e32 vcc_lo, 0, v177
	v_and_b32_e32 v162, 7, v161
	s_delay_alu instid0(VALU_DEP_1) | instskip(NEXT) | instid1(VALU_DEP_1)
	v_clz_i32_u32_e32 v167, v162
	v_min_u32_e32 v167, 32, v167
	s_delay_alu instid0(VALU_DEP_1) | instskip(SKIP_1) | instid1(VALU_DEP_1)
	v_subrev_nc_u32_e32 v176, 28, v167
	v_sub_nc_u32_e32 v167, 29, v167
	v_dual_cndmask_b32 v167, v177, v167 :: v_dual_lshlrev_b32 v176, v176, v161
	v_lshlrev_b32_e32 v161, 24, v161
	s_delay_alu instid0(VALU_DEP_2) | instskip(NEXT) | instid1(VALU_DEP_3)
	v_and_b32_e32 v176, 7, v176
	v_lshl_add_u32 v167, v167, 23, 0x3b800000
	s_delay_alu instid0(VALU_DEP_2) | instskip(NEXT) | instid1(VALU_DEP_1)
	v_dual_cndmask_b32 v162, v162, v176 :: v_dual_and_b32 v161, 0x80000000, v161
	v_lshlrev_b32_e32 v162, 20, v162
	s_delay_alu instid0(VALU_DEP_1)
	v_or3_b32 v162, v161, v167, v162
.LBB4_5128:                             ;   in Loop: Header=BB4_4976 Depth=3
	s_or_b32 exec_lo, exec_lo, s17
	s_delay_alu instid0(VALU_DEP_1) | instskip(NEXT) | instid1(VALU_DEP_1)
	v_add_f32_e32 v162, v165, v162
	v_and_b32_e32 v161, 0x7f800000, v162
	s_delay_alu instid0(VALU_DEP_1)
	v_cmp_ne_u32_e32 vcc_lo, 0x7f800000, v161
	v_mov_b32_e32 v161, 0x80
	s_and_saveexec_b32 s17, vcc_lo
	s_cbranch_execz .LBB4_5136
; %bb.5129:                             ;   in Loop: Header=BB4_4976 Depth=3
	v_mov_b32_e32 v161, 0
	s_mov_b32 s29, exec_lo
	v_cmpx_ne_u32_e32 0, v162
	s_cbranch_execz .LBB4_5135
; %bb.5130:                             ;   in Loop: Header=BB4_4976 Depth=3
	v_bfe_u32 v161, v162, 23, 8
	v_and_b32_e32 v165, 0x7fffff, v162
	s_delay_alu instid0(VALU_DEP_2) | instskip(SKIP_1) | instid1(VALU_DEP_3)
	v_sub_nc_u32_e32 v167, 0x78, v161
	v_cmp_gt_u32_e32 vcc_lo, 0x79, v161
	v_or_b32_e32 v176, 0x800000, v165
	s_delay_alu instid0(VALU_DEP_3) | instskip(SKIP_2) | instid1(VALU_DEP_3)
	v_cndmask_b32_e32 v167, 0, v167, vcc_lo
	v_cmp_eq_u32_e32 vcc_lo, 0, v161
	v_add_nc_u32_e32 v161, 0xffffff89, v161
	v_cndmask_b32_e64 v167, v167, 0x77, vcc_lo
	v_cndmask_b32_e32 v165, v176, v165, vcc_lo
	s_delay_alu instid0(VALU_DEP_3) | instskip(NEXT) | instid1(VALU_DEP_3)
	v_cndmask_b32_e64 v161, v161, 0xffffff8a, vcc_lo
	v_lshl_add_u32 v176, 0x100000, v167, -1
	s_delay_alu instid0(VALU_DEP_3) | instskip(SKIP_1) | instid1(VALU_DEP_4)
	v_lshrrev_b32_e32 v177, v167, v165
	v_lshlrev_b32_e64 v179, v167, 0x80000
	v_add_nc_u32_e32 v167, v167, v161
	s_delay_alu instid0(VALU_DEP_4) | instskip(NEXT) | instid1(VALU_DEP_4)
	v_and_b32_e32 v165, v176, v165
	v_bfe_u32 v178, v177, 20, 1
	s_delay_alu instid0(VALU_DEP_2) | instskip(NEXT) | instid1(VALU_DEP_2)
	v_cmp_eq_u32_e64 s13, v165, v179
	v_add_nc_u32_e32 v176, -1, v178
	s_delay_alu instid0(VALU_DEP_1) | instskip(SKIP_2) | instid1(VALU_DEP_2)
	v_cndmask_b32_e64 v165, 0, v176, s13
	v_lshrrev_b32_e32 v176, 23, v177
	s_mov_b32 s13, exec_lo
	v_add_nc_u32_e32 v165, v165, v177
	s_delay_alu instid0(VALU_DEP_2) | instskip(NEXT) | instid1(VALU_DEP_2)
	v_xor_b32_e32 v176, 1, v176
	v_and_b32_e32 v161, 0xfffff, v165
	s_delay_alu instid0(VALU_DEP_1) | instskip(NEXT) | instid1(VALU_DEP_3)
	v_add_nc_u32_e32 v165, v161, v177
                                        ; implicit-def: $vgpr161
	v_cmpx_ne_u32_e64 v167, v176
	s_xor_b32 s13, exec_lo, s13
; %bb.5131:                             ;   in Loop: Header=BB4_4976 Depth=3
	s_delay_alu instid0(VALU_DEP_2) | instskip(SKIP_2) | instid1(VALU_DEP_2)
	v_cmp_lt_u32_e32 vcc_lo, 0xffffff, v165
	v_sub_nc_u32_e32 v161, v167, v176
	v_cndmask_b32_e64 v167, 0, 1, vcc_lo
	v_add_co_ci_u32_e32 v161, vcc_lo, 0, v161, vcc_lo
	s_delay_alu instid0(VALU_DEP_2)
	v_lshrrev_b32_e32 v165, v167, v165
; %bb.5132:                             ;   in Loop: Header=BB4_4976 Depth=3
	s_and_not1_saveexec_b32 s13, s13
; %bb.5133:                             ;   in Loop: Header=BB4_4976 Depth=3
	s_delay_alu instid0(VALU_DEP_1)
	v_bfe_u32 v161, v165, 23, 1
; %bb.5134:                             ;   in Loop: Header=BB4_4976 Depth=3
	s_or_b32 exec_lo, exec_lo, s13
	v_lshrrev_b32_e32 v165, 20, v165
	s_delay_alu instid0(VALU_DEP_2) | instskip(SKIP_2) | instid1(VALU_DEP_2)
	v_cmp_gt_i32_e32 vcc_lo, 16, v161
	v_lshrrev_b32_e32 v162, 24, v162
	v_min_i32_e32 v167, 15, v161
	v_dual_cndmask_b32 v165, 7, v165 :: v_dual_and_b32 v162, 0x80, v162
	s_delay_alu instid0(VALU_DEP_2) | instskip(NEXT) | instid1(VALU_DEP_2)
	v_lshlrev_b32_e32 v167, 3, v167
	v_or_b32_e32 v161, v161, v165
	s_delay_alu instid0(VALU_DEP_1) | instskip(SKIP_1) | instid1(VALU_DEP_1)
	v_cmp_ne_u32_e32 vcc_lo, 0, v161
	v_and_b32_e32 v176, 7, v165
	v_or3_b32 v162, v167, v162, v176
	s_delay_alu instid0(VALU_DEP_1)
	v_cndmask_b32_e32 v161, 0, v162, vcc_lo
.LBB4_5135:                             ;   in Loop: Header=BB4_4976 Depth=3
	s_or_b32 exec_lo, exec_lo, s29
.LBB4_5136:                             ;   in Loop: Header=BB4_4976 Depth=3
	s_delay_alu instid0(SALU_CYCLE_1) | instskip(SKIP_3) | instid1(VALU_DEP_1)
	s_or_b32 exec_lo, exec_lo, s17
	v_and_b32_e32 v165, 0xff, v151
	s_mov_b32 s13, 0
	s_mov_b32 s29, exec_lo
                                        ; implicit-def: $sgpr17
	v_cmpx_lt_i16_e64 0x7f, v165
	s_xor_b32 s29, exec_lo, s29
	s_cbranch_execnz .LBB4_5310
; %bb.5137:                             ;   in Loop: Header=BB4_4976 Depth=3
	s_or_saveexec_b32 s29, s29
	v_mov_b32_e32 v162, s17
	s_xor_b32 exec_lo, exec_lo, s29
	s_cbranch_execnz .LBB4_5313
.LBB4_5138:                             ;   in Loop: Header=BB4_4976 Depth=3
	s_or_b32 exec_lo, exec_lo, s29
	s_and_saveexec_b32 s17, s13
	s_cbranch_execz .LBB4_5140
.LBB4_5139:                             ;   in Loop: Header=BB4_4976 Depth=3
	v_lshrrev_b16 v176, 3, v151
	s_delay_alu instid0(VALU_DEP_1) | instskip(NEXT) | instid1(VALU_DEP_1)
	v_and_b32_e32 v176, 15, v176
	v_cmp_eq_u32_e32 vcc_lo, 0, v176
	v_and_b32_e32 v162, 7, v151
	s_delay_alu instid0(VALU_DEP_1) | instskip(NEXT) | instid1(VALU_DEP_1)
	v_clz_i32_u32_e32 v165, v162
	v_min_u32_e32 v165, 32, v165
	s_delay_alu instid0(VALU_DEP_1) | instskip(SKIP_1) | instid1(VALU_DEP_2)
	v_subrev_nc_u32_e32 v167, 28, v165
	v_sub_nc_u32_e32 v165, 29, v165
	v_lshlrev_b32_e32 v167, v167, v151
	s_delay_alu instid0(VALU_DEP_2) | instskip(SKIP_1) | instid1(VALU_DEP_3)
	v_cndmask_b32_e32 v165, v176, v165, vcc_lo
	v_lshlrev_b32_e32 v151, 24, v151
	v_and_b32_e32 v167, 7, v167
	s_delay_alu instid0(VALU_DEP_3) | instskip(NEXT) | instid1(VALU_DEP_3)
	v_lshl_add_u32 v165, v165, 23, 0x3b800000
	v_and_b32_e32 v151, 0x80000000, v151
	s_delay_alu instid0(VALU_DEP_3) | instskip(NEXT) | instid1(VALU_DEP_1)
	v_cndmask_b32_e32 v162, v162, v167, vcc_lo
	v_lshlrev_b32_e32 v162, 20, v162
	s_delay_alu instid0(VALU_DEP_1)
	v_or3_b32 v162, v151, v165, v162
.LBB4_5140:                             ;   in Loop: Header=BB4_4976 Depth=3
	s_or_b32 exec_lo, exec_lo, s17
	s_waitcnt vmcnt(5) lgkmcnt(5)
	v_and_b32_e32 v165, 0xff, v150
	s_mov_b32 s13, 0
	s_mov_b32 s29, exec_lo
                                        ; implicit-def: $sgpr17
	s_delay_alu instid0(VALU_DEP_1)
	v_cmpx_lt_i16_e64 0x7f, v165
	s_xor_b32 s29, exec_lo, s29
	s_cbranch_execnz .LBB4_5314
; %bb.5141:                             ;   in Loop: Header=BB4_4976 Depth=3
	s_or_saveexec_b32 s29, s29
	v_mov_b32_e32 v151, s17
	s_xor_b32 exec_lo, exec_lo, s29
	s_cbranch_execnz .LBB4_5317
.LBB4_5142:                             ;   in Loop: Header=BB4_4976 Depth=3
	s_or_b32 exec_lo, exec_lo, s29
	s_and_saveexec_b32 s17, s13
	s_cbranch_execz .LBB4_5144
.LBB4_5143:                             ;   in Loop: Header=BB4_4976 Depth=3
	v_and_b32_e32 v151, 7, v150
	v_lshrrev_b16 v176, 3, v150
	s_delay_alu instid0(VALU_DEP_2) | instskip(NEXT) | instid1(VALU_DEP_1)
	v_clz_i32_u32_e32 v165, v151
	v_min_u32_e32 v165, 32, v165
	s_delay_alu instid0(VALU_DEP_1) | instskip(SKIP_1) | instid1(VALU_DEP_2)
	v_subrev_nc_u32_e32 v167, 28, v165
	v_sub_nc_u32_e32 v165, 29, v165
	v_lshlrev_b32_e32 v167, v167, v150
	s_delay_alu instid0(VALU_DEP_1) | instskip(SKIP_1) | instid1(VALU_DEP_1)
	v_and_b32_e32 v167, 7, v167
	v_and_b32_e32 v176, 15, v176
	v_cmp_eq_u32_e32 vcc_lo, 0, v176
	s_delay_alu instid0(VALU_DEP_3) | instskip(SKIP_1) | instid1(VALU_DEP_2)
	v_dual_cndmask_b32 v151, v151, v167 :: v_dual_lshlrev_b32 v150, 24, v150
	v_cndmask_b32_e32 v165, v176, v165, vcc_lo
	v_lshlrev_b32_e32 v151, 20, v151
	s_delay_alu instid0(VALU_DEP_3) | instskip(NEXT) | instid1(VALU_DEP_3)
	v_and_b32_e32 v150, 0x80000000, v150
	v_lshl_add_u32 v165, v165, 23, 0x3b800000
	s_delay_alu instid0(VALU_DEP_1)
	v_or3_b32 v151, v150, v165, v151
.LBB4_5144:                             ;   in Loop: Header=BB4_4976 Depth=3
	s_or_b32 exec_lo, exec_lo, s17
	s_delay_alu instid0(VALU_DEP_1) | instskip(NEXT) | instid1(VALU_DEP_1)
	v_add_f32_e32 v151, v162, v151
	v_and_b32_e32 v150, 0x7f800000, v151
	s_delay_alu instid0(VALU_DEP_1)
	v_cmp_ne_u32_e32 vcc_lo, 0x7f800000, v150
	v_mov_b32_e32 v150, 0x80
	s_and_saveexec_b32 s17, vcc_lo
	s_cbranch_execz .LBB4_5152
; %bb.5145:                             ;   in Loop: Header=BB4_4976 Depth=3
	v_mov_b32_e32 v150, 0
	s_mov_b32 s29, exec_lo
	v_cmpx_ne_u32_e32 0, v151
	s_cbranch_execz .LBB4_5151
; %bb.5146:                             ;   in Loop: Header=BB4_4976 Depth=3
	v_bfe_u32 v150, v151, 23, 8
	s_delay_alu instid0(VALU_DEP_1) | instskip(SKIP_1) | instid1(VALU_DEP_2)
	v_sub_nc_u32_e32 v165, 0x78, v150
	v_cmp_gt_u32_e32 vcc_lo, 0x79, v150
	v_dual_cndmask_b32 v165, 0, v165 :: v_dual_and_b32 v162, 0x7fffff, v151
	s_delay_alu instid0(VALU_DEP_1) | instskip(SKIP_2) | instid1(VALU_DEP_4)
	v_or_b32_e32 v167, 0x800000, v162
	v_cmp_eq_u32_e32 vcc_lo, 0, v150
	v_add_nc_u32_e32 v150, 0xffffff89, v150
	v_cndmask_b32_e64 v165, v165, 0x77, vcc_lo
	s_delay_alu instid0(VALU_DEP_4) | instskip(NEXT) | instid1(VALU_DEP_3)
	v_cndmask_b32_e32 v162, v167, v162, vcc_lo
	v_cndmask_b32_e64 v150, v150, 0xffffff8a, vcc_lo
	s_delay_alu instid0(VALU_DEP_3) | instskip(NEXT) | instid1(VALU_DEP_3)
	v_lshl_add_u32 v167, 0x100000, v165, -1
	v_lshrrev_b32_e32 v176, v165, v162
	v_lshlrev_b32_e64 v178, v165, 0x80000
	s_delay_alu instid0(VALU_DEP_4) | instskip(NEXT) | instid1(VALU_DEP_4)
	v_add_nc_u32_e32 v165, v165, v150
	v_and_b32_e32 v162, v167, v162
	s_delay_alu instid0(VALU_DEP_4) | instskip(NEXT) | instid1(VALU_DEP_2)
	v_bfe_u32 v177, v176, 20, 1
	v_cmp_eq_u32_e64 s13, v162, v178
	s_delay_alu instid0(VALU_DEP_2) | instskip(NEXT) | instid1(VALU_DEP_1)
	v_add_nc_u32_e32 v167, -1, v177
	v_cndmask_b32_e64 v162, 0, v167, s13
	v_lshrrev_b32_e32 v167, 23, v176
	s_mov_b32 s13, exec_lo
	s_delay_alu instid0(VALU_DEP_2) | instskip(NEXT) | instid1(VALU_DEP_2)
	v_add_nc_u32_e32 v162, v162, v176
	v_xor_b32_e32 v167, 1, v167
	s_delay_alu instid0(VALU_DEP_2) | instskip(NEXT) | instid1(VALU_DEP_1)
	v_and_b32_e32 v150, 0xfffff, v162
	v_add_nc_u32_e32 v162, v150, v176
                                        ; implicit-def: $vgpr150
	s_delay_alu instid0(VALU_DEP_3)
	v_cmpx_ne_u32_e64 v165, v167
	s_xor_b32 s13, exec_lo, s13
; %bb.5147:                             ;   in Loop: Header=BB4_4976 Depth=3
	s_delay_alu instid0(VALU_DEP_2) | instskip(SKIP_2) | instid1(VALU_DEP_2)
	v_cmp_lt_u32_e32 vcc_lo, 0xffffff, v162
	v_sub_nc_u32_e32 v150, v165, v167
	v_cndmask_b32_e64 v165, 0, 1, vcc_lo
	v_add_co_ci_u32_e32 v150, vcc_lo, 0, v150, vcc_lo
	s_delay_alu instid0(VALU_DEP_2)
	v_lshrrev_b32_e32 v162, v165, v162
; %bb.5148:                             ;   in Loop: Header=BB4_4976 Depth=3
	s_and_not1_saveexec_b32 s13, s13
; %bb.5149:                             ;   in Loop: Header=BB4_4976 Depth=3
	s_delay_alu instid0(VALU_DEP_1)
	v_bfe_u32 v150, v162, 23, 1
; %bb.5150:                             ;   in Loop: Header=BB4_4976 Depth=3
	s_or_b32 exec_lo, exec_lo, s13
	v_lshrrev_b32_e32 v162, 20, v162
	s_delay_alu instid0(VALU_DEP_2) | instskip(SKIP_2) | instid1(VALU_DEP_2)
	v_cmp_gt_i32_e32 vcc_lo, 16, v150
	v_lshrrev_b32_e32 v151, 24, v151
	v_min_i32_e32 v165, 15, v150
	v_dual_cndmask_b32 v162, 7, v162 :: v_dual_and_b32 v151, 0x80, v151
	s_delay_alu instid0(VALU_DEP_2) | instskip(NEXT) | instid1(VALU_DEP_2)
	v_lshlrev_b32_e32 v165, 3, v165
	v_or_b32_e32 v150, v150, v162
	s_delay_alu instid0(VALU_DEP_1) | instskip(SKIP_1) | instid1(VALU_DEP_1)
	v_cmp_ne_u32_e32 vcc_lo, 0, v150
	v_and_b32_e32 v167, 7, v162
	v_or3_b32 v151, v165, v151, v167
	s_delay_alu instid0(VALU_DEP_1)
	v_cndmask_b32_e32 v150, 0, v151, vcc_lo
.LBB4_5151:                             ;   in Loop: Header=BB4_4976 Depth=3
	s_or_b32 exec_lo, exec_lo, s29
.LBB4_5152:                             ;   in Loop: Header=BB4_4976 Depth=3
	s_delay_alu instid0(SALU_CYCLE_1) | instskip(SKIP_3) | instid1(VALU_DEP_1)
	s_or_b32 exec_lo, exec_lo, s17
	v_and_b32_e32 v162, 0xff, v85
	s_mov_b32 s13, 0
	s_mov_b32 s29, exec_lo
                                        ; implicit-def: $sgpr17
	v_cmpx_lt_i16_e64 0x7f, v162
	s_xor_b32 s29, exec_lo, s29
	s_cbranch_execnz .LBB4_5318
; %bb.5153:                             ;   in Loop: Header=BB4_4976 Depth=3
	s_or_saveexec_b32 s29, s29
	v_mov_b32_e32 v151, s17
	s_xor_b32 exec_lo, exec_lo, s29
	s_cbranch_execnz .LBB4_5321
.LBB4_5154:                             ;   in Loop: Header=BB4_4976 Depth=3
	s_or_b32 exec_lo, exec_lo, s29
	s_and_saveexec_b32 s17, s13
	s_cbranch_execz .LBB4_5156
.LBB4_5155:                             ;   in Loop: Header=BB4_4976 Depth=3
	v_lshrrev_b16 v167, 3, v85
	s_delay_alu instid0(VALU_DEP_1) | instskip(NEXT) | instid1(VALU_DEP_1)
	v_and_b32_e32 v167, 15, v167
	v_cmp_eq_u32_e32 vcc_lo, 0, v167
	v_and_b32_e32 v151, 7, v85
	s_delay_alu instid0(VALU_DEP_1) | instskip(NEXT) | instid1(VALU_DEP_1)
	v_clz_i32_u32_e32 v162, v151
	v_min_u32_e32 v162, 32, v162
	s_delay_alu instid0(VALU_DEP_1) | instskip(SKIP_1) | instid1(VALU_DEP_1)
	v_subrev_nc_u32_e32 v165, 28, v162
	v_sub_nc_u32_e32 v162, 29, v162
	v_dual_cndmask_b32 v162, v167, v162 :: v_dual_lshlrev_b32 v165, v165, v85
	v_lshlrev_b32_e32 v85, 24, v85
	s_delay_alu instid0(VALU_DEP_2) | instskip(NEXT) | instid1(VALU_DEP_3)
	v_and_b32_e32 v165, 7, v165
	v_lshl_add_u32 v162, v162, 23, 0x3b800000
	s_delay_alu instid0(VALU_DEP_3) | instskip(NEXT) | instid1(VALU_DEP_3)
	v_and_b32_e32 v85, 0x80000000, v85
	v_cndmask_b32_e32 v151, v151, v165, vcc_lo
	s_delay_alu instid0(VALU_DEP_1) | instskip(NEXT) | instid1(VALU_DEP_1)
	v_lshlrev_b32_e32 v151, 20, v151
	v_or3_b32 v151, v85, v162, v151
.LBB4_5156:                             ;   in Loop: Header=BB4_4976 Depth=3
	s_or_b32 exec_lo, exec_lo, s17
	s_waitcnt vmcnt(4) lgkmcnt(4)
	v_and_b32_e32 v162, 0xff, v84
	s_mov_b32 s13, 0
	s_mov_b32 s29, exec_lo
                                        ; implicit-def: $sgpr17
	s_delay_alu instid0(VALU_DEP_1)
	v_cmpx_lt_i16_e64 0x7f, v162
	s_xor_b32 s29, exec_lo, s29
	s_cbranch_execnz .LBB4_5322
; %bb.5157:                             ;   in Loop: Header=BB4_4976 Depth=3
	s_or_saveexec_b32 s29, s29
	v_mov_b32_e32 v85, s17
	s_xor_b32 exec_lo, exec_lo, s29
	s_cbranch_execnz .LBB4_5325
.LBB4_5158:                             ;   in Loop: Header=BB4_4976 Depth=3
	s_or_b32 exec_lo, exec_lo, s29
	s_and_saveexec_b32 s17, s13
	s_cbranch_execz .LBB4_5160
.LBB4_5159:                             ;   in Loop: Header=BB4_4976 Depth=3
	v_lshrrev_b16 v167, 3, v84
	s_delay_alu instid0(VALU_DEP_1) | instskip(NEXT) | instid1(VALU_DEP_1)
	v_and_b32_e32 v167, 15, v167
	v_cmp_eq_u32_e32 vcc_lo, 0, v167
	v_and_b32_e32 v85, 7, v84
	s_delay_alu instid0(VALU_DEP_1) | instskip(NEXT) | instid1(VALU_DEP_1)
	v_clz_i32_u32_e32 v162, v85
	v_min_u32_e32 v162, 32, v162
	s_delay_alu instid0(VALU_DEP_1) | instskip(SKIP_1) | instid1(VALU_DEP_1)
	v_subrev_nc_u32_e32 v165, 28, v162
	v_sub_nc_u32_e32 v162, 29, v162
	v_dual_cndmask_b32 v162, v167, v162 :: v_dual_lshlrev_b32 v165, v165, v84
	s_delay_alu instid0(VALU_DEP_1) | instskip(SKIP_1) | instid1(VALU_DEP_3)
	v_and_b32_e32 v165, 7, v165
	v_lshlrev_b32_e32 v84, 24, v84
	v_lshl_add_u32 v162, v162, 23, 0x3b800000
	s_delay_alu instid0(VALU_DEP_2) | instskip(NEXT) | instid1(VALU_DEP_1)
	v_dual_cndmask_b32 v85, v85, v165 :: v_dual_and_b32 v84, 0x80000000, v84
	v_lshlrev_b32_e32 v85, 20, v85
	s_delay_alu instid0(VALU_DEP_1)
	v_or3_b32 v85, v84, v162, v85
.LBB4_5160:                             ;   in Loop: Header=BB4_4976 Depth=3
	s_or_b32 exec_lo, exec_lo, s17
	s_delay_alu instid0(VALU_DEP_1) | instskip(NEXT) | instid1(VALU_DEP_1)
	v_add_f32_e32 v85, v151, v85
	v_and_b32_e32 v84, 0x7f800000, v85
	s_delay_alu instid0(VALU_DEP_1)
	v_cmp_ne_u32_e32 vcc_lo, 0x7f800000, v84
	v_mov_b32_e32 v84, 0x80
	s_and_saveexec_b32 s17, vcc_lo
	s_cbranch_execz .LBB4_5168
; %bb.5161:                             ;   in Loop: Header=BB4_4976 Depth=3
	v_mov_b32_e32 v84, 0
	s_mov_b32 s29, exec_lo
	v_cmpx_ne_u32_e32 0, v85
	s_cbranch_execz .LBB4_5167
; %bb.5162:                             ;   in Loop: Header=BB4_4976 Depth=3
	v_bfe_u32 v84, v85, 23, 8
	s_delay_alu instid0(VALU_DEP_1) | instskip(SKIP_1) | instid1(VALU_DEP_2)
	v_sub_nc_u32_e32 v162, 0x78, v84
	v_cmp_gt_u32_e32 vcc_lo, 0x79, v84
	v_dual_cndmask_b32 v162, 0, v162 :: v_dual_and_b32 v151, 0x7fffff, v85
	s_delay_alu instid0(VALU_DEP_1) | instskip(SKIP_2) | instid1(VALU_DEP_4)
	v_or_b32_e32 v165, 0x800000, v151
	v_cmp_eq_u32_e32 vcc_lo, 0, v84
	v_add_nc_u32_e32 v84, 0xffffff89, v84
	v_cndmask_b32_e64 v162, v162, 0x77, vcc_lo
	s_delay_alu instid0(VALU_DEP_4) | instskip(NEXT) | instid1(VALU_DEP_3)
	v_cndmask_b32_e32 v151, v165, v151, vcc_lo
	v_cndmask_b32_e64 v84, v84, 0xffffff8a, vcc_lo
	s_delay_alu instid0(VALU_DEP_3) | instskip(NEXT) | instid1(VALU_DEP_3)
	v_lshl_add_u32 v165, 0x100000, v162, -1
	v_lshrrev_b32_e32 v167, v162, v151
	v_lshlrev_b32_e64 v177, v162, 0x80000
	s_delay_alu instid0(VALU_DEP_4) | instskip(NEXT) | instid1(VALU_DEP_4)
	v_add_nc_u32_e32 v162, v162, v84
	v_and_b32_e32 v151, v165, v151
	s_delay_alu instid0(VALU_DEP_4) | instskip(NEXT) | instid1(VALU_DEP_2)
	v_bfe_u32 v176, v167, 20, 1
	v_cmp_eq_u32_e64 s13, v151, v177
	s_delay_alu instid0(VALU_DEP_2) | instskip(NEXT) | instid1(VALU_DEP_1)
	v_add_nc_u32_e32 v165, -1, v176
	v_cndmask_b32_e64 v151, 0, v165, s13
	v_lshrrev_b32_e32 v165, 23, v167
	s_mov_b32 s13, exec_lo
	s_delay_alu instid0(VALU_DEP_2) | instskip(NEXT) | instid1(VALU_DEP_2)
	v_add_nc_u32_e32 v151, v151, v167
	v_xor_b32_e32 v165, 1, v165
	s_delay_alu instid0(VALU_DEP_2) | instskip(NEXT) | instid1(VALU_DEP_1)
	v_and_b32_e32 v84, 0xfffff, v151
	v_add_nc_u32_e32 v151, v84, v167
                                        ; implicit-def: $vgpr84
	s_delay_alu instid0(VALU_DEP_3)
	v_cmpx_ne_u32_e64 v162, v165
	s_xor_b32 s13, exec_lo, s13
; %bb.5163:                             ;   in Loop: Header=BB4_4976 Depth=3
	s_delay_alu instid0(VALU_DEP_2) | instskip(SKIP_2) | instid1(VALU_DEP_2)
	v_cmp_lt_u32_e32 vcc_lo, 0xffffff, v151
	v_sub_nc_u32_e32 v84, v162, v165
	v_cndmask_b32_e64 v162, 0, 1, vcc_lo
	v_add_co_ci_u32_e32 v84, vcc_lo, 0, v84, vcc_lo
	s_delay_alu instid0(VALU_DEP_2)
	v_lshrrev_b32_e32 v151, v162, v151
; %bb.5164:                             ;   in Loop: Header=BB4_4976 Depth=3
	s_and_not1_saveexec_b32 s13, s13
; %bb.5165:                             ;   in Loop: Header=BB4_4976 Depth=3
	s_delay_alu instid0(VALU_DEP_1)
	v_bfe_u32 v84, v151, 23, 1
; %bb.5166:                             ;   in Loop: Header=BB4_4976 Depth=3
	s_or_b32 exec_lo, exec_lo, s13
	v_lshrrev_b32_e32 v151, 20, v151
	s_delay_alu instid0(VALU_DEP_2) | instskip(SKIP_2) | instid1(VALU_DEP_2)
	v_cmp_gt_i32_e32 vcc_lo, 16, v84
	v_min_i32_e32 v162, 15, v84
	v_lshrrev_b32_e32 v85, 24, v85
	v_dual_cndmask_b32 v151, 7, v151 :: v_dual_lshlrev_b32 v162, 3, v162
	s_delay_alu instid0(VALU_DEP_2) | instskip(NEXT) | instid1(VALU_DEP_2)
	v_and_b32_e32 v85, 0x80, v85
	v_or_b32_e32 v84, v84, v151
	s_delay_alu instid0(VALU_DEP_1) | instskip(SKIP_1) | instid1(VALU_DEP_1)
	v_cmp_ne_u32_e32 vcc_lo, 0, v84
	v_and_b32_e32 v165, 7, v151
	v_or3_b32 v85, v162, v85, v165
	s_delay_alu instid0(VALU_DEP_1)
	v_cndmask_b32_e32 v84, 0, v85, vcc_lo
.LBB4_5167:                             ;   in Loop: Header=BB4_4976 Depth=3
	s_or_b32 exec_lo, exec_lo, s29
.LBB4_5168:                             ;   in Loop: Header=BB4_4976 Depth=3
	s_delay_alu instid0(SALU_CYCLE_1) | instskip(SKIP_3) | instid1(VALU_DEP_1)
	s_or_b32 exec_lo, exec_lo, s17
	v_and_b32_e32 v151, 0xff, v82
	s_mov_b32 s13, 0
	s_mov_b32 s29, exec_lo
                                        ; implicit-def: $sgpr17
	v_cmpx_lt_i16_e64 0x7f, v151
	s_xor_b32 s29, exec_lo, s29
	s_cbranch_execnz .LBB4_5326
; %bb.5169:                             ;   in Loop: Header=BB4_4976 Depth=3
	s_or_saveexec_b32 s29, s29
	v_mov_b32_e32 v85, s17
	s_xor_b32 exec_lo, exec_lo, s29
	s_cbranch_execnz .LBB4_5329
.LBB4_5170:                             ;   in Loop: Header=BB4_4976 Depth=3
	s_or_b32 exec_lo, exec_lo, s29
	s_and_saveexec_b32 s17, s13
	s_cbranch_execz .LBB4_5172
.LBB4_5171:                             ;   in Loop: Header=BB4_4976 Depth=3
	v_and_b32_e32 v85, 7, v82
	v_lshrrev_b16 v165, 3, v82
	s_delay_alu instid0(VALU_DEP_2) | instskip(NEXT) | instid1(VALU_DEP_2)
	v_clz_i32_u32_e32 v151, v85
	v_and_b32_e32 v165, 15, v165
	s_delay_alu instid0(VALU_DEP_2) | instskip(NEXT) | instid1(VALU_DEP_2)
	v_min_u32_e32 v151, 32, v151
	v_cmp_eq_u32_e32 vcc_lo, 0, v165
	s_delay_alu instid0(VALU_DEP_2) | instskip(SKIP_1) | instid1(VALU_DEP_1)
	v_subrev_nc_u32_e32 v162, 28, v151
	v_sub_nc_u32_e32 v151, 29, v151
	v_dual_cndmask_b32 v151, v165, v151 :: v_dual_lshlrev_b32 v162, v162, v82
	v_lshlrev_b32_e32 v82, 24, v82
	s_delay_alu instid0(VALU_DEP_2) | instskip(NEXT) | instid1(VALU_DEP_3)
	v_and_b32_e32 v162, 7, v162
	v_lshl_add_u32 v151, v151, 23, 0x3b800000
	s_delay_alu instid0(VALU_DEP_3) | instskip(NEXT) | instid1(VALU_DEP_3)
	v_and_b32_e32 v82, 0x80000000, v82
	v_cndmask_b32_e32 v85, v85, v162, vcc_lo
	s_delay_alu instid0(VALU_DEP_1) | instskip(NEXT) | instid1(VALU_DEP_1)
	v_lshlrev_b32_e32 v85, 20, v85
	v_or3_b32 v85, v82, v151, v85
.LBB4_5172:                             ;   in Loop: Header=BB4_4976 Depth=3
	s_or_b32 exec_lo, exec_lo, s17
	s_waitcnt vmcnt(3) lgkmcnt(3)
	v_and_b32_e32 v151, 0xff, v81
	s_mov_b32 s13, 0
	s_mov_b32 s29, exec_lo
                                        ; implicit-def: $sgpr17
	s_delay_alu instid0(VALU_DEP_1)
	v_cmpx_lt_i16_e64 0x7f, v151
	s_xor_b32 s29, exec_lo, s29
	s_cbranch_execnz .LBB4_5330
; %bb.5173:                             ;   in Loop: Header=BB4_4976 Depth=3
	s_or_saveexec_b32 s29, s29
	v_mov_b32_e32 v82, s17
	s_xor_b32 exec_lo, exec_lo, s29
	s_cbranch_execnz .LBB4_5333
.LBB4_5174:                             ;   in Loop: Header=BB4_4976 Depth=3
	s_or_b32 exec_lo, exec_lo, s29
	s_and_saveexec_b32 s17, s13
	s_cbranch_execz .LBB4_5176
.LBB4_5175:                             ;   in Loop: Header=BB4_4976 Depth=3
	v_lshrrev_b16 v165, 3, v81
	s_delay_alu instid0(VALU_DEP_1) | instskip(NEXT) | instid1(VALU_DEP_1)
	v_and_b32_e32 v165, 15, v165
	v_cmp_eq_u32_e32 vcc_lo, 0, v165
	v_and_b32_e32 v82, 7, v81
	s_delay_alu instid0(VALU_DEP_1) | instskip(NEXT) | instid1(VALU_DEP_1)
	v_clz_i32_u32_e32 v151, v82
	v_min_u32_e32 v151, 32, v151
	s_delay_alu instid0(VALU_DEP_1) | instskip(SKIP_1) | instid1(VALU_DEP_1)
	v_subrev_nc_u32_e32 v162, 28, v151
	v_sub_nc_u32_e32 v151, 29, v151
	v_dual_cndmask_b32 v151, v165, v151 :: v_dual_lshlrev_b32 v162, v162, v81
	v_lshlrev_b32_e32 v81, 24, v81
	s_delay_alu instid0(VALU_DEP_2) | instskip(NEXT) | instid1(VALU_DEP_3)
	v_and_b32_e32 v162, 7, v162
	v_lshl_add_u32 v151, v151, 23, 0x3b800000
	s_delay_alu instid0(VALU_DEP_2) | instskip(NEXT) | instid1(VALU_DEP_1)
	v_dual_cndmask_b32 v82, v82, v162 :: v_dual_and_b32 v81, 0x80000000, v81
	v_lshlrev_b32_e32 v82, 20, v82
	s_delay_alu instid0(VALU_DEP_1)
	v_or3_b32 v82, v81, v151, v82
.LBB4_5176:                             ;   in Loop: Header=BB4_4976 Depth=3
	s_or_b32 exec_lo, exec_lo, s17
	s_delay_alu instid0(VALU_DEP_1) | instskip(NEXT) | instid1(VALU_DEP_1)
	v_add_f32_e32 v82, v85, v82
	v_and_b32_e32 v81, 0x7f800000, v82
	s_delay_alu instid0(VALU_DEP_1)
	v_cmp_ne_u32_e32 vcc_lo, 0x7f800000, v81
	v_mov_b32_e32 v81, 0x80
	s_and_saveexec_b32 s17, vcc_lo
	s_cbranch_execz .LBB4_5184
; %bb.5177:                             ;   in Loop: Header=BB4_4976 Depth=3
	v_mov_b32_e32 v81, 0
	s_mov_b32 s29, exec_lo
	v_cmpx_ne_u32_e32 0, v82
	s_cbranch_execz .LBB4_5183
; %bb.5178:                             ;   in Loop: Header=BB4_4976 Depth=3
	v_bfe_u32 v81, v82, 23, 8
	v_and_b32_e32 v85, 0x7fffff, v82
	s_delay_alu instid0(VALU_DEP_2) | instskip(SKIP_1) | instid1(VALU_DEP_3)
	v_sub_nc_u32_e32 v151, 0x78, v81
	v_cmp_gt_u32_e32 vcc_lo, 0x79, v81
	v_or_b32_e32 v162, 0x800000, v85
	s_delay_alu instid0(VALU_DEP_3) | instskip(SKIP_2) | instid1(VALU_DEP_3)
	v_cndmask_b32_e32 v151, 0, v151, vcc_lo
	v_cmp_eq_u32_e32 vcc_lo, 0, v81
	v_add_nc_u32_e32 v81, 0xffffff89, v81
	v_cndmask_b32_e64 v151, v151, 0x77, vcc_lo
	v_cndmask_b32_e32 v85, v162, v85, vcc_lo
	s_delay_alu instid0(VALU_DEP_3) | instskip(NEXT) | instid1(VALU_DEP_3)
	v_cndmask_b32_e64 v81, v81, 0xffffff8a, vcc_lo
	v_lshl_add_u32 v162, 0x100000, v151, -1
	s_delay_alu instid0(VALU_DEP_3) | instskip(SKIP_1) | instid1(VALU_DEP_4)
	v_lshrrev_b32_e32 v165, v151, v85
	v_lshlrev_b32_e64 v176, v151, 0x80000
	v_add_nc_u32_e32 v151, v151, v81
	s_delay_alu instid0(VALU_DEP_4) | instskip(NEXT) | instid1(VALU_DEP_4)
	v_and_b32_e32 v85, v162, v85
	v_bfe_u32 v167, v165, 20, 1
	s_delay_alu instid0(VALU_DEP_2) | instskip(NEXT) | instid1(VALU_DEP_2)
	v_cmp_eq_u32_e64 s13, v85, v176
	v_add_nc_u32_e32 v162, -1, v167
	s_delay_alu instid0(VALU_DEP_1) | instskip(SKIP_2) | instid1(VALU_DEP_2)
	v_cndmask_b32_e64 v85, 0, v162, s13
	v_lshrrev_b32_e32 v162, 23, v165
	s_mov_b32 s13, exec_lo
	v_add_nc_u32_e32 v85, v85, v165
	s_delay_alu instid0(VALU_DEP_2) | instskip(NEXT) | instid1(VALU_DEP_2)
	v_xor_b32_e32 v162, 1, v162
	v_and_b32_e32 v81, 0xfffff, v85
	s_delay_alu instid0(VALU_DEP_1) | instskip(NEXT) | instid1(VALU_DEP_3)
	v_add_nc_u32_e32 v85, v81, v165
                                        ; implicit-def: $vgpr81
	v_cmpx_ne_u32_e64 v151, v162
	s_xor_b32 s13, exec_lo, s13
; %bb.5179:                             ;   in Loop: Header=BB4_4976 Depth=3
	s_delay_alu instid0(VALU_DEP_2) | instskip(SKIP_2) | instid1(VALU_DEP_2)
	v_cmp_lt_u32_e32 vcc_lo, 0xffffff, v85
	v_sub_nc_u32_e32 v81, v151, v162
	v_cndmask_b32_e64 v151, 0, 1, vcc_lo
	v_add_co_ci_u32_e32 v81, vcc_lo, 0, v81, vcc_lo
	s_delay_alu instid0(VALU_DEP_2)
	v_lshrrev_b32_e32 v85, v151, v85
; %bb.5180:                             ;   in Loop: Header=BB4_4976 Depth=3
	s_and_not1_saveexec_b32 s13, s13
; %bb.5181:                             ;   in Loop: Header=BB4_4976 Depth=3
	s_delay_alu instid0(VALU_DEP_1)
	v_bfe_u32 v81, v85, 23, 1
; %bb.5182:                             ;   in Loop: Header=BB4_4976 Depth=3
	s_or_b32 exec_lo, exec_lo, s13
	v_lshrrev_b32_e32 v85, 20, v85
	s_delay_alu instid0(VALU_DEP_2) | instskip(SKIP_2) | instid1(VALU_DEP_2)
	v_cmp_gt_i32_e32 vcc_lo, 16, v81
	v_lshrrev_b32_e32 v82, 24, v82
	v_min_i32_e32 v151, 15, v81
	v_dual_cndmask_b32 v85, 7, v85 :: v_dual_and_b32 v82, 0x80, v82
	s_delay_alu instid0(VALU_DEP_2) | instskip(NEXT) | instid1(VALU_DEP_2)
	v_lshlrev_b32_e32 v151, 3, v151
	v_or_b32_e32 v81, v81, v85
	s_delay_alu instid0(VALU_DEP_1) | instskip(SKIP_1) | instid1(VALU_DEP_1)
	v_cmp_ne_u32_e32 vcc_lo, 0, v81
	v_and_b32_e32 v162, 7, v85
	v_or3_b32 v82, v151, v82, v162
	s_delay_alu instid0(VALU_DEP_1)
	v_cndmask_b32_e32 v81, 0, v82, vcc_lo
.LBB4_5183:                             ;   in Loop: Header=BB4_4976 Depth=3
	s_or_b32 exec_lo, exec_lo, s29
.LBB4_5184:                             ;   in Loop: Header=BB4_4976 Depth=3
	s_delay_alu instid0(SALU_CYCLE_1) | instskip(SKIP_3) | instid1(VALU_DEP_1)
	s_or_b32 exec_lo, exec_lo, s17
	v_and_b32_e32 v85, 0xff, v70
	s_mov_b32 s13, 0
	s_mov_b32 s29, exec_lo
                                        ; implicit-def: $sgpr17
	v_cmpx_lt_i16_e32 0x7f, v85
	s_xor_b32 s29, exec_lo, s29
	s_cbranch_execnz .LBB4_5334
; %bb.5185:                             ;   in Loop: Header=BB4_4976 Depth=3
	s_or_saveexec_b32 s29, s29
	v_mov_b32_e32 v82, s17
	s_xor_b32 exec_lo, exec_lo, s29
	s_cbranch_execnz .LBB4_5337
.LBB4_5186:                             ;   in Loop: Header=BB4_4976 Depth=3
	s_or_b32 exec_lo, exec_lo, s29
	s_and_saveexec_b32 s17, s13
	s_cbranch_execz .LBB4_5188
.LBB4_5187:                             ;   in Loop: Header=BB4_4976 Depth=3
	v_lshrrev_b16 v162, 3, v70
	s_delay_alu instid0(VALU_DEP_1) | instskip(NEXT) | instid1(VALU_DEP_1)
	v_and_b32_e32 v162, 15, v162
	v_cmp_eq_u32_e32 vcc_lo, 0, v162
	v_and_b32_e32 v82, 7, v70
	s_delay_alu instid0(VALU_DEP_1) | instskip(NEXT) | instid1(VALU_DEP_1)
	v_clz_i32_u32_e32 v85, v82
	v_min_u32_e32 v85, 32, v85
	s_delay_alu instid0(VALU_DEP_1) | instskip(SKIP_1) | instid1(VALU_DEP_2)
	v_subrev_nc_u32_e32 v151, 28, v85
	v_sub_nc_u32_e32 v85, 29, v85
	v_lshlrev_b32_e32 v151, v151, v70
	s_delay_alu instid0(VALU_DEP_2) | instskip(NEXT) | instid1(VALU_DEP_2)
	v_dual_cndmask_b32 v85, v162, v85 :: v_dual_lshlrev_b32 v70, 24, v70
	v_and_b32_e32 v151, 7, v151
	s_delay_alu instid0(VALU_DEP_2) | instskip(NEXT) | instid1(VALU_DEP_3)
	v_lshl_add_u32 v85, v85, 23, 0x3b800000
	v_and_b32_e32 v70, 0x80000000, v70
	s_delay_alu instid0(VALU_DEP_3) | instskip(NEXT) | instid1(VALU_DEP_1)
	v_cndmask_b32_e32 v82, v82, v151, vcc_lo
	v_lshlrev_b32_e32 v82, 20, v82
	s_delay_alu instid0(VALU_DEP_1)
	v_or3_b32 v82, v70, v85, v82
.LBB4_5188:                             ;   in Loop: Header=BB4_4976 Depth=3
	s_or_b32 exec_lo, exec_lo, s17
	s_waitcnt vmcnt(2) lgkmcnt(2)
	v_and_b32_e32 v85, 0xff, v69
	s_mov_b32 s13, 0
	s_mov_b32 s29, exec_lo
                                        ; implicit-def: $sgpr17
	s_delay_alu instid0(VALU_DEP_1)
	v_cmpx_lt_i16_e32 0x7f, v85
	s_xor_b32 s29, exec_lo, s29
	s_cbranch_execnz .LBB4_5338
; %bb.5189:                             ;   in Loop: Header=BB4_4976 Depth=3
	s_or_saveexec_b32 s29, s29
	v_mov_b32_e32 v70, s17
	s_xor_b32 exec_lo, exec_lo, s29
	s_cbranch_execnz .LBB4_5341
.LBB4_5190:                             ;   in Loop: Header=BB4_4976 Depth=3
	s_or_b32 exec_lo, exec_lo, s29
	s_and_saveexec_b32 s17, s13
	s_cbranch_execz .LBB4_5192
.LBB4_5191:                             ;   in Loop: Header=BB4_4976 Depth=3
	v_and_b32_e32 v70, 7, v69
	v_lshrrev_b16 v162, 3, v69
	s_delay_alu instid0(VALU_DEP_2) | instskip(NEXT) | instid1(VALU_DEP_2)
	v_clz_i32_u32_e32 v85, v70
	v_and_b32_e32 v162, 15, v162
	s_delay_alu instid0(VALU_DEP_2) | instskip(NEXT) | instid1(VALU_DEP_2)
	v_min_u32_e32 v85, 32, v85
	v_cmp_eq_u32_e32 vcc_lo, 0, v162
	s_delay_alu instid0(VALU_DEP_2) | instskip(SKIP_1) | instid1(VALU_DEP_2)
	v_subrev_nc_u32_e32 v151, 28, v85
	v_sub_nc_u32_e32 v85, 29, v85
	v_lshlrev_b32_e32 v151, v151, v69
	s_delay_alu instid0(VALU_DEP_1) | instskip(NEXT) | instid1(VALU_DEP_1)
	v_and_b32_e32 v151, 7, v151
	v_dual_cndmask_b32 v70, v70, v151 :: v_dual_lshlrev_b32 v69, 24, v69
	s_delay_alu instid0(VALU_DEP_4) | instskip(NEXT) | instid1(VALU_DEP_2)
	v_cndmask_b32_e32 v85, v162, v85, vcc_lo
	v_and_b32_e32 v69, 0x80000000, v69
	s_delay_alu instid0(VALU_DEP_3) | instskip(NEXT) | instid1(VALU_DEP_3)
	v_lshlrev_b32_e32 v70, 20, v70
	v_lshl_add_u32 v85, v85, 23, 0x3b800000
	s_delay_alu instid0(VALU_DEP_1)
	v_or3_b32 v70, v69, v85, v70
.LBB4_5192:                             ;   in Loop: Header=BB4_4976 Depth=3
	s_or_b32 exec_lo, exec_lo, s17
	s_delay_alu instid0(VALU_DEP_1) | instskip(NEXT) | instid1(VALU_DEP_1)
	v_add_f32_e32 v70, v82, v70
	v_and_b32_e32 v69, 0x7f800000, v70
	s_delay_alu instid0(VALU_DEP_1)
	v_cmp_ne_u32_e32 vcc_lo, 0x7f800000, v69
	v_mov_b32_e32 v69, 0x80
	s_and_saveexec_b32 s17, vcc_lo
	s_cbranch_execz .LBB4_5200
; %bb.5193:                             ;   in Loop: Header=BB4_4976 Depth=3
	v_mov_b32_e32 v69, 0
	s_mov_b32 s29, exec_lo
	v_cmpx_ne_u32_e32 0, v70
	s_cbranch_execz .LBB4_5199
; %bb.5194:                             ;   in Loop: Header=BB4_4976 Depth=3
	v_bfe_u32 v69, v70, 23, 8
	s_delay_alu instid0(VALU_DEP_1) | instskip(SKIP_1) | instid1(VALU_DEP_2)
	v_sub_nc_u32_e32 v85, 0x78, v69
	v_cmp_gt_u32_e32 vcc_lo, 0x79, v69
	v_dual_cndmask_b32 v85, 0, v85 :: v_dual_and_b32 v82, 0x7fffff, v70
	s_delay_alu instid0(VALU_DEP_1) | instskip(SKIP_2) | instid1(VALU_DEP_4)
	v_or_b32_e32 v151, 0x800000, v82
	v_cmp_eq_u32_e32 vcc_lo, 0, v69
	v_add_nc_u32_e32 v69, 0xffffff89, v69
	v_cndmask_b32_e64 v85, v85, 0x77, vcc_lo
	s_delay_alu instid0(VALU_DEP_4) | instskip(NEXT) | instid1(VALU_DEP_3)
	v_cndmask_b32_e32 v82, v151, v82, vcc_lo
	v_cndmask_b32_e64 v69, v69, 0xffffff8a, vcc_lo
	s_delay_alu instid0(VALU_DEP_3) | instskip(NEXT) | instid1(VALU_DEP_3)
	v_lshl_add_u32 v151, 0x100000, v85, -1
	v_lshrrev_b32_e32 v162, v85, v82
	v_lshlrev_b32_e64 v167, v85, 0x80000
	s_delay_alu instid0(VALU_DEP_4) | instskip(NEXT) | instid1(VALU_DEP_4)
	v_add_nc_u32_e32 v85, v85, v69
	v_and_b32_e32 v82, v151, v82
	s_delay_alu instid0(VALU_DEP_4) | instskip(NEXT) | instid1(VALU_DEP_2)
	v_bfe_u32 v165, v162, 20, 1
	v_cmp_eq_u32_e64 s13, v82, v167
	s_delay_alu instid0(VALU_DEP_2) | instskip(NEXT) | instid1(VALU_DEP_1)
	v_add_nc_u32_e32 v151, -1, v165
	v_cndmask_b32_e64 v82, 0, v151, s13
	v_lshrrev_b32_e32 v151, 23, v162
	s_mov_b32 s13, exec_lo
	s_delay_alu instid0(VALU_DEP_2) | instskip(NEXT) | instid1(VALU_DEP_2)
	v_add_nc_u32_e32 v82, v82, v162
	v_xor_b32_e32 v151, 1, v151
	s_delay_alu instid0(VALU_DEP_2) | instskip(NEXT) | instid1(VALU_DEP_1)
	v_and_b32_e32 v69, 0xfffff, v82
	v_add_nc_u32_e32 v82, v69, v162
                                        ; implicit-def: $vgpr69
	s_delay_alu instid0(VALU_DEP_3)
	v_cmpx_ne_u32_e64 v85, v151
	s_xor_b32 s13, exec_lo, s13
; %bb.5195:                             ;   in Loop: Header=BB4_4976 Depth=3
	s_delay_alu instid0(VALU_DEP_2) | instskip(SKIP_2) | instid1(VALU_DEP_2)
	v_cmp_lt_u32_e32 vcc_lo, 0xffffff, v82
	v_sub_nc_u32_e32 v69, v85, v151
	v_cndmask_b32_e64 v85, 0, 1, vcc_lo
	v_add_co_ci_u32_e32 v69, vcc_lo, 0, v69, vcc_lo
	s_delay_alu instid0(VALU_DEP_2)
	v_lshrrev_b32_e32 v82, v85, v82
; %bb.5196:                             ;   in Loop: Header=BB4_4976 Depth=3
	s_and_not1_saveexec_b32 s13, s13
; %bb.5197:                             ;   in Loop: Header=BB4_4976 Depth=3
	s_delay_alu instid0(VALU_DEP_1)
	v_bfe_u32 v69, v82, 23, 1
; %bb.5198:                             ;   in Loop: Header=BB4_4976 Depth=3
	s_or_b32 exec_lo, exec_lo, s13
	v_lshrrev_b32_e32 v82, 20, v82
	s_delay_alu instid0(VALU_DEP_2) | instskip(SKIP_2) | instid1(VALU_DEP_4)
	v_cmp_gt_i32_e32 vcc_lo, 16, v69
	v_lshrrev_b32_e32 v70, 24, v70
	v_min_i32_e32 v85, 15, v69
	v_cndmask_b32_e32 v82, 7, v82, vcc_lo
	s_delay_alu instid0(VALU_DEP_3) | instskip(NEXT) | instid1(VALU_DEP_3)
	v_and_b32_e32 v70, 0x80, v70
	v_lshlrev_b32_e32 v85, 3, v85
	s_delay_alu instid0(VALU_DEP_3) | instskip(SKIP_1) | instid1(VALU_DEP_2)
	v_and_b32_e32 v151, 7, v82
	v_or_b32_e32 v69, v69, v82
	v_or3_b32 v70, v85, v70, v151
	s_delay_alu instid0(VALU_DEP_2) | instskip(NEXT) | instid1(VALU_DEP_2)
	v_cmp_ne_u32_e32 vcc_lo, 0, v69
	v_cndmask_b32_e32 v69, 0, v70, vcc_lo
.LBB4_5199:                             ;   in Loop: Header=BB4_4976 Depth=3
	s_or_b32 exec_lo, exec_lo, s29
.LBB4_5200:                             ;   in Loop: Header=BB4_4976 Depth=3
	s_delay_alu instid0(SALU_CYCLE_1) | instskip(SKIP_3) | instid1(VALU_DEP_1)
	s_or_b32 exec_lo, exec_lo, s17
	v_and_b32_e32 v82, 0xff, v22
	s_mov_b32 s13, 0
	s_mov_b32 s29, exec_lo
                                        ; implicit-def: $sgpr17
	v_cmpx_lt_i16_e32 0x7f, v82
	s_xor_b32 s29, exec_lo, s29
	s_cbranch_execnz .LBB4_5342
; %bb.5201:                             ;   in Loop: Header=BB4_4976 Depth=3
	s_or_saveexec_b32 s29, s29
	v_mov_b32_e32 v70, s17
	s_xor_b32 exec_lo, exec_lo, s29
	s_cbranch_execnz .LBB4_5345
.LBB4_5202:                             ;   in Loop: Header=BB4_4976 Depth=3
	s_or_b32 exec_lo, exec_lo, s29
	s_and_saveexec_b32 s17, s13
	s_cbranch_execz .LBB4_5204
.LBB4_5203:                             ;   in Loop: Header=BB4_4976 Depth=3
	v_and_b32_e32 v70, 7, v22
	v_lshrrev_b16 v151, 3, v22
	s_delay_alu instid0(VALU_DEP_2) | instskip(NEXT) | instid1(VALU_DEP_1)
	v_clz_i32_u32_e32 v82, v70
	v_min_u32_e32 v82, 32, v82
	s_delay_alu instid0(VALU_DEP_1) | instskip(SKIP_1) | instid1(VALU_DEP_2)
	v_subrev_nc_u32_e32 v85, 28, v82
	v_sub_nc_u32_e32 v82, 29, v82
	v_lshlrev_b32_e32 v85, v85, v22
	v_lshlrev_b32_e32 v22, 24, v22
	s_delay_alu instid0(VALU_DEP_2) | instskip(SKIP_1) | instid1(VALU_DEP_3)
	v_and_b32_e32 v85, 7, v85
	v_and_b32_e32 v151, 15, v151
	;; [unrolled: 1-line block ×3, first 2 shown]
	s_delay_alu instid0(VALU_DEP_2) | instskip(NEXT) | instid1(VALU_DEP_4)
	v_cmp_eq_u32_e32 vcc_lo, 0, v151
	v_cndmask_b32_e32 v70, v70, v85, vcc_lo
	v_cndmask_b32_e32 v82, v151, v82, vcc_lo
	s_delay_alu instid0(VALU_DEP_2) | instskip(NEXT) | instid1(VALU_DEP_2)
	v_lshlrev_b32_e32 v70, 20, v70
	v_lshl_add_u32 v82, v82, 23, 0x3b800000
	s_delay_alu instid0(VALU_DEP_1)
	v_or3_b32 v70, v22, v82, v70
.LBB4_5204:                             ;   in Loop: Header=BB4_4976 Depth=3
	s_or_b32 exec_lo, exec_lo, s17
	s_waitcnt vmcnt(1) lgkmcnt(1)
	v_and_b32_e32 v82, 0xff, v21
	s_mov_b32 s13, 0
	s_mov_b32 s29, exec_lo
                                        ; implicit-def: $sgpr17
	s_delay_alu instid0(VALU_DEP_1)
	v_cmpx_lt_i16_e32 0x7f, v82
	s_xor_b32 s29, exec_lo, s29
	s_cbranch_execnz .LBB4_5346
; %bb.5205:                             ;   in Loop: Header=BB4_4976 Depth=3
	s_or_saveexec_b32 s29, s29
	v_mov_b32_e32 v22, s17
	s_xor_b32 exec_lo, exec_lo, s29
	s_cbranch_execnz .LBB4_5349
.LBB4_5206:                             ;   in Loop: Header=BB4_4976 Depth=3
	s_or_b32 exec_lo, exec_lo, s29
	s_and_saveexec_b32 s17, s13
	s_cbranch_execz .LBB4_5208
.LBB4_5207:                             ;   in Loop: Header=BB4_4976 Depth=3
	v_and_b32_e32 v22, 7, v21
	v_lshrrev_b16 v151, 3, v21
	s_delay_alu instid0(VALU_DEP_2) | instskip(NEXT) | instid1(VALU_DEP_2)
	v_clz_i32_u32_e32 v82, v22
	v_and_b32_e32 v151, 15, v151
	s_delay_alu instid0(VALU_DEP_2) | instskip(NEXT) | instid1(VALU_DEP_2)
	v_min_u32_e32 v82, 32, v82
	v_cmp_eq_u32_e32 vcc_lo, 0, v151
	s_delay_alu instid0(VALU_DEP_2) | instskip(SKIP_1) | instid1(VALU_DEP_1)
	v_subrev_nc_u32_e32 v85, 28, v82
	v_sub_nc_u32_e32 v82, 29, v82
	v_dual_cndmask_b32 v82, v151, v82 :: v_dual_lshlrev_b32 v85, v85, v21
	v_lshlrev_b32_e32 v21, 24, v21
	s_delay_alu instid0(VALU_DEP_2) | instskip(NEXT) | instid1(VALU_DEP_3)
	v_and_b32_e32 v85, 7, v85
	v_lshl_add_u32 v82, v82, 23, 0x3b800000
	s_delay_alu instid0(VALU_DEP_3) | instskip(NEXT) | instid1(VALU_DEP_3)
	v_and_b32_e32 v21, 0x80000000, v21
	v_cndmask_b32_e32 v22, v22, v85, vcc_lo
	s_delay_alu instid0(VALU_DEP_1) | instskip(NEXT) | instid1(VALU_DEP_1)
	v_lshlrev_b32_e32 v22, 20, v22
	v_or3_b32 v22, v21, v82, v22
.LBB4_5208:                             ;   in Loop: Header=BB4_4976 Depth=3
	s_or_b32 exec_lo, exec_lo, s17
	s_delay_alu instid0(VALU_DEP_1) | instskip(NEXT) | instid1(VALU_DEP_1)
	v_add_f32_e32 v22, v70, v22
	v_and_b32_e32 v21, 0x7f800000, v22
	s_delay_alu instid0(VALU_DEP_1)
	v_cmp_ne_u32_e32 vcc_lo, 0x7f800000, v21
	v_mov_b32_e32 v21, 0x80
	s_and_saveexec_b32 s17, vcc_lo
	s_cbranch_execz .LBB4_5216
; %bb.5209:                             ;   in Loop: Header=BB4_4976 Depth=3
	v_mov_b32_e32 v21, 0
	s_mov_b32 s29, exec_lo
	v_cmpx_ne_u32_e32 0, v22
	s_cbranch_execz .LBB4_5215
; %bb.5210:                             ;   in Loop: Header=BB4_4976 Depth=3
	v_bfe_u32 v21, v22, 23, 8
	v_and_b32_e32 v70, 0x7fffff, v22
	s_delay_alu instid0(VALU_DEP_2) | instskip(SKIP_1) | instid1(VALU_DEP_3)
	v_sub_nc_u32_e32 v82, 0x78, v21
	v_cmp_gt_u32_e32 vcc_lo, 0x79, v21
	v_or_b32_e32 v85, 0x800000, v70
	s_delay_alu instid0(VALU_DEP_3) | instskip(SKIP_2) | instid1(VALU_DEP_3)
	v_cndmask_b32_e32 v82, 0, v82, vcc_lo
	v_cmp_eq_u32_e32 vcc_lo, 0, v21
	v_add_nc_u32_e32 v21, 0xffffff89, v21
	v_cndmask_b32_e64 v82, v82, 0x77, vcc_lo
	v_cndmask_b32_e32 v70, v85, v70, vcc_lo
	s_delay_alu instid0(VALU_DEP_3) | instskip(NEXT) | instid1(VALU_DEP_3)
	v_cndmask_b32_e64 v21, v21, 0xffffff8a, vcc_lo
	v_lshl_add_u32 v85, 0x100000, v82, -1
	s_delay_alu instid0(VALU_DEP_3) | instskip(SKIP_1) | instid1(VALU_DEP_4)
	v_lshrrev_b32_e32 v151, v82, v70
	v_lshlrev_b32_e64 v165, v82, 0x80000
	v_add_nc_u32_e32 v82, v82, v21
	s_delay_alu instid0(VALU_DEP_4) | instskip(NEXT) | instid1(VALU_DEP_4)
	v_and_b32_e32 v70, v85, v70
	v_bfe_u32 v162, v151, 20, 1
	s_delay_alu instid0(VALU_DEP_2) | instskip(NEXT) | instid1(VALU_DEP_2)
	v_cmp_eq_u32_e64 s13, v70, v165
	v_add_nc_u32_e32 v85, -1, v162
	s_delay_alu instid0(VALU_DEP_1) | instskip(SKIP_2) | instid1(VALU_DEP_2)
	v_cndmask_b32_e64 v70, 0, v85, s13
	v_lshrrev_b32_e32 v85, 23, v151
	s_mov_b32 s13, exec_lo
	v_add_nc_u32_e32 v70, v70, v151
	s_delay_alu instid0(VALU_DEP_2) | instskip(NEXT) | instid1(VALU_DEP_2)
	v_xor_b32_e32 v85, 1, v85
	v_and_b32_e32 v21, 0xfffff, v70
	s_delay_alu instid0(VALU_DEP_1) | instskip(NEXT) | instid1(VALU_DEP_3)
	v_add_nc_u32_e32 v70, v21, v151
                                        ; implicit-def: $vgpr21
	v_cmpx_ne_u32_e64 v82, v85
	s_xor_b32 s13, exec_lo, s13
; %bb.5211:                             ;   in Loop: Header=BB4_4976 Depth=3
	s_delay_alu instid0(VALU_DEP_2) | instskip(SKIP_2) | instid1(VALU_DEP_2)
	v_cmp_lt_u32_e32 vcc_lo, 0xffffff, v70
	v_sub_nc_u32_e32 v21, v82, v85
	v_cndmask_b32_e64 v82, 0, 1, vcc_lo
	v_add_co_ci_u32_e32 v21, vcc_lo, 0, v21, vcc_lo
	s_delay_alu instid0(VALU_DEP_2)
	v_lshrrev_b32_e32 v70, v82, v70
; %bb.5212:                             ;   in Loop: Header=BB4_4976 Depth=3
	s_and_not1_saveexec_b32 s13, s13
; %bb.5213:                             ;   in Loop: Header=BB4_4976 Depth=3
	s_delay_alu instid0(VALU_DEP_1)
	v_bfe_u32 v21, v70, 23, 1
; %bb.5214:                             ;   in Loop: Header=BB4_4976 Depth=3
	s_or_b32 exec_lo, exec_lo, s13
	v_lshrrev_b32_e32 v70, 20, v70
	s_delay_alu instid0(VALU_DEP_2) | instskip(SKIP_2) | instid1(VALU_DEP_4)
	v_cmp_gt_i32_e32 vcc_lo, 16, v21
	v_lshrrev_b32_e32 v22, 24, v22
	v_min_i32_e32 v82, 15, v21
	v_cndmask_b32_e32 v70, 7, v70, vcc_lo
	s_delay_alu instid0(VALU_DEP_3) | instskip(NEXT) | instid1(VALU_DEP_3)
	v_and_b32_e32 v22, 0x80, v22
	v_lshlrev_b32_e32 v82, 3, v82
	s_delay_alu instid0(VALU_DEP_3) | instskip(SKIP_1) | instid1(VALU_DEP_2)
	v_and_b32_e32 v85, 7, v70
	v_or_b32_e32 v21, v21, v70
	v_or3_b32 v22, v82, v22, v85
	s_delay_alu instid0(VALU_DEP_2) | instskip(NEXT) | instid1(VALU_DEP_2)
	v_cmp_ne_u32_e32 vcc_lo, 0, v21
	v_cndmask_b32_e32 v21, 0, v22, vcc_lo
.LBB4_5215:                             ;   in Loop: Header=BB4_4976 Depth=3
	s_or_b32 exec_lo, exec_lo, s29
.LBB4_5216:                             ;   in Loop: Header=BB4_4976 Depth=3
	s_delay_alu instid0(SALU_CYCLE_1) | instskip(SKIP_3) | instid1(VALU_DEP_1)
	s_or_b32 exec_lo, exec_lo, s17
	v_and_b32_e32 v70, 0xff, v19
	s_mov_b32 s13, 0
	s_mov_b32 s29, exec_lo
                                        ; implicit-def: $sgpr17
	v_cmpx_lt_i16_e32 0x7f, v70
	s_xor_b32 s29, exec_lo, s29
	s_cbranch_execnz .LBB4_5350
; %bb.5217:                             ;   in Loop: Header=BB4_4976 Depth=3
	s_or_saveexec_b32 s29, s29
	v_mov_b32_e32 v22, s17
	s_xor_b32 exec_lo, exec_lo, s29
	s_cbranch_execnz .LBB4_5353
.LBB4_5218:                             ;   in Loop: Header=BB4_4976 Depth=3
	s_or_b32 exec_lo, exec_lo, s29
	s_and_saveexec_b32 s17, s13
	s_cbranch_execz .LBB4_5220
.LBB4_5219:                             ;   in Loop: Header=BB4_4976 Depth=3
	v_and_b32_e32 v22, 7, v19
	v_lshrrev_b16 v85, 3, v19
	s_delay_alu instid0(VALU_DEP_2) | instskip(NEXT) | instid1(VALU_DEP_1)
	v_clz_i32_u32_e32 v70, v22
	v_min_u32_e32 v70, 32, v70
	s_delay_alu instid0(VALU_DEP_1) | instskip(SKIP_1) | instid1(VALU_DEP_2)
	v_subrev_nc_u32_e32 v82, 28, v70
	v_sub_nc_u32_e32 v70, 29, v70
	v_lshlrev_b32_e32 v82, v82, v19
	s_delay_alu instid0(VALU_DEP_1) | instskip(SKIP_1) | instid1(VALU_DEP_1)
	v_and_b32_e32 v82, 7, v82
	v_and_b32_e32 v85, 15, v85
	v_cmp_eq_u32_e32 vcc_lo, 0, v85
	s_delay_alu instid0(VALU_DEP_3) | instskip(SKIP_1) | instid1(VALU_DEP_2)
	v_dual_cndmask_b32 v22, v22, v82 :: v_dual_lshlrev_b32 v19, 24, v19
	v_cndmask_b32_e32 v70, v85, v70, vcc_lo
	v_lshlrev_b32_e32 v22, 20, v22
	s_delay_alu instid0(VALU_DEP_3) | instskip(NEXT) | instid1(VALU_DEP_3)
	v_and_b32_e32 v19, 0x80000000, v19
	v_lshl_add_u32 v70, v70, 23, 0x3b800000
	s_delay_alu instid0(VALU_DEP_1)
	v_or3_b32 v22, v19, v70, v22
.LBB4_5220:                             ;   in Loop: Header=BB4_4976 Depth=3
	s_or_b32 exec_lo, exec_lo, s17
	s_waitcnt vmcnt(0) lgkmcnt(0)
	v_and_b32_e32 v70, 0xff, v18
	s_mov_b32 s13, 0
	s_mov_b32 s29, exec_lo
                                        ; implicit-def: $sgpr17
	s_delay_alu instid0(VALU_DEP_1)
	v_cmpx_lt_i16_e32 0x7f, v70
	s_xor_b32 s29, exec_lo, s29
	s_cbranch_execnz .LBB4_5354
; %bb.5221:                             ;   in Loop: Header=BB4_4976 Depth=3
	s_or_saveexec_b32 s29, s29
	v_mov_b32_e32 v19, s17
	s_xor_b32 exec_lo, exec_lo, s29
	s_cbranch_execnz .LBB4_5357
.LBB4_5222:                             ;   in Loop: Header=BB4_4976 Depth=3
	s_or_b32 exec_lo, exec_lo, s29
	s_and_saveexec_b32 s17, s13
	s_cbranch_execz .LBB4_5224
.LBB4_5223:                             ;   in Loop: Header=BB4_4976 Depth=3
	v_and_b32_e32 v19, 7, v18
	v_lshrrev_b16 v85, 3, v18
	s_delay_alu instid0(VALU_DEP_2) | instskip(NEXT) | instid1(VALU_DEP_2)
	v_clz_i32_u32_e32 v70, v19
	v_and_b32_e32 v85, 15, v85
	s_delay_alu instid0(VALU_DEP_2) | instskip(NEXT) | instid1(VALU_DEP_2)
	v_min_u32_e32 v70, 32, v70
	v_cmp_eq_u32_e32 vcc_lo, 0, v85
	s_delay_alu instid0(VALU_DEP_2) | instskip(SKIP_1) | instid1(VALU_DEP_2)
	v_subrev_nc_u32_e32 v82, 28, v70
	v_sub_nc_u32_e32 v70, 29, v70
	v_lshlrev_b32_e32 v82, v82, v18
	v_lshlrev_b32_e32 v18, 24, v18
	s_delay_alu instid0(VALU_DEP_2) | instskip(NEXT) | instid1(VALU_DEP_2)
	v_and_b32_e32 v82, 7, v82
	v_and_b32_e32 v18, 0x80000000, v18
	s_delay_alu instid0(VALU_DEP_2) | instskip(NEXT) | instid1(VALU_DEP_1)
	v_cndmask_b32_e32 v19, v19, v82, vcc_lo
	v_dual_cndmask_b32 v70, v85, v70 :: v_dual_lshlrev_b32 v19, 20, v19
	s_delay_alu instid0(VALU_DEP_1) | instskip(NEXT) | instid1(VALU_DEP_1)
	v_lshl_add_u32 v70, v70, 23, 0x3b800000
	v_or3_b32 v19, v18, v70, v19
.LBB4_5224:                             ;   in Loop: Header=BB4_4976 Depth=3
	s_or_b32 exec_lo, exec_lo, s17
	s_delay_alu instid0(VALU_DEP_1) | instskip(NEXT) | instid1(VALU_DEP_1)
	v_add_f32_e32 v19, v22, v19
	v_and_b32_e32 v18, 0x7f800000, v19
	s_delay_alu instid0(VALU_DEP_1)
	v_cmp_ne_u32_e32 vcc_lo, 0x7f800000, v18
	v_mov_b32_e32 v18, 0x80
	s_and_saveexec_b32 s17, vcc_lo
	s_cbranch_execz .LBB4_4975
; %bb.5225:                             ;   in Loop: Header=BB4_4976 Depth=3
	v_mov_b32_e32 v18, 0
	s_mov_b32 s29, exec_lo
	v_cmpx_ne_u32_e32 0, v19
	s_cbranch_execz .LBB4_4974
; %bb.5226:                             ;   in Loop: Header=BB4_4976 Depth=3
	v_bfe_u32 v18, v19, 23, 8
	v_and_b32_e32 v22, 0x7fffff, v19
	s_delay_alu instid0(VALU_DEP_2) | instskip(SKIP_1) | instid1(VALU_DEP_3)
	v_sub_nc_u32_e32 v70, 0x78, v18
	v_cmp_gt_u32_e32 vcc_lo, 0x79, v18
	v_or_b32_e32 v82, 0x800000, v22
	s_delay_alu instid0(VALU_DEP_3) | instskip(SKIP_2) | instid1(VALU_DEP_3)
	v_cndmask_b32_e32 v70, 0, v70, vcc_lo
	v_cmp_eq_u32_e32 vcc_lo, 0, v18
	v_add_nc_u32_e32 v18, 0xffffff89, v18
	v_cndmask_b32_e64 v70, v70, 0x77, vcc_lo
	v_cndmask_b32_e32 v22, v82, v22, vcc_lo
	s_delay_alu instid0(VALU_DEP_3) | instskip(NEXT) | instid1(VALU_DEP_3)
	v_cndmask_b32_e64 v18, v18, 0xffffff8a, vcc_lo
	v_lshl_add_u32 v82, 0x100000, v70, -1
	s_delay_alu instid0(VALU_DEP_3) | instskip(SKIP_1) | instid1(VALU_DEP_4)
	v_lshrrev_b32_e32 v85, v70, v22
	v_lshlrev_b32_e64 v162, v70, 0x80000
	v_add_nc_u32_e32 v70, v70, v18
	s_delay_alu instid0(VALU_DEP_4) | instskip(NEXT) | instid1(VALU_DEP_4)
	v_and_b32_e32 v22, v82, v22
	v_bfe_u32 v151, v85, 20, 1
	s_delay_alu instid0(VALU_DEP_2) | instskip(NEXT) | instid1(VALU_DEP_2)
	v_cmp_eq_u32_e64 s13, v22, v162
	v_add_nc_u32_e32 v82, -1, v151
	s_delay_alu instid0(VALU_DEP_1) | instskip(SKIP_2) | instid1(VALU_DEP_2)
	v_cndmask_b32_e64 v22, 0, v82, s13
	v_lshrrev_b32_e32 v82, 23, v85
	s_mov_b32 s13, exec_lo
	v_add_nc_u32_e32 v22, v22, v85
	s_delay_alu instid0(VALU_DEP_2) | instskip(NEXT) | instid1(VALU_DEP_2)
	v_xor_b32_e32 v82, 1, v82
	v_and_b32_e32 v18, 0xfffff, v22
	s_delay_alu instid0(VALU_DEP_1) | instskip(NEXT) | instid1(VALU_DEP_3)
	v_add_nc_u32_e32 v22, v18, v85
                                        ; implicit-def: $vgpr18
	v_cmpx_ne_u32_e64 v70, v82
	s_xor_b32 s13, exec_lo, s13
; %bb.5227:                             ;   in Loop: Header=BB4_4976 Depth=3
	s_delay_alu instid0(VALU_DEP_2) | instskip(SKIP_2) | instid1(VALU_DEP_2)
	v_cmp_lt_u32_e32 vcc_lo, 0xffffff, v22
	v_sub_nc_u32_e32 v18, v70, v82
	v_cndmask_b32_e64 v70, 0, 1, vcc_lo
	v_add_co_ci_u32_e32 v18, vcc_lo, 0, v18, vcc_lo
	s_delay_alu instid0(VALU_DEP_2)
	v_lshrrev_b32_e32 v22, v70, v22
; %bb.5228:                             ;   in Loop: Header=BB4_4976 Depth=3
	s_and_not1_saveexec_b32 s13, s13
	s_cbranch_execz .LBB4_4973
; %bb.5229:                             ;   in Loop: Header=BB4_4976 Depth=3
	s_delay_alu instid0(VALU_DEP_1)
	v_bfe_u32 v18, v22, 23, 1
	s_branch .LBB4_4973
.LBB4_5230:                             ;   in Loop: Header=BB4_4976 Depth=3
	s_mov_b32 s13, -1
	s_mov_b32 s30, exec_lo
                                        ; implicit-def: $sgpr17
	v_cmpx_eq_u16_e64 0x80, v183
; %bb.5231:                             ;   in Loop: Header=BB4_4976 Depth=3
	s_mov_b32 s17, 0x7f800001
	s_xor_b32 s13, exec_lo, -1
; %bb.5232:                             ;   in Loop: Header=BB4_4976 Depth=3
	s_or_b32 exec_lo, exec_lo, s30
	s_delay_alu instid0(SALU_CYCLE_1)
	s_and_b32 s13, s13, exec_lo
	s_or_saveexec_b32 s29, s29
	v_mov_b32_e32 v182, s17
	s_xor_b32 exec_lo, exec_lo, s29
	s_cbranch_execz .LBB4_4978
.LBB4_5233:                             ;   in Loop: Header=BB4_4976 Depth=3
	v_cmp_ne_u16_e64 vcc_lo, 0, v183
	v_mov_b32_e32 v182, 0
	s_and_not1_b32 s13, s13, exec_lo
	s_delay_alu instid0(VALU_DEP_2) | instskip(NEXT) | instid1(SALU_CYCLE_1)
	s_and_b32 s17, vcc_lo, exec_lo
	s_or_b32 s13, s13, s17
	s_or_b32 exec_lo, exec_lo, s29
	s_and_saveexec_b32 s17, s13
	s_cbranch_execnz .LBB4_4979
	s_branch .LBB4_4980
.LBB4_5234:                             ;   in Loop: Header=BB4_4976 Depth=3
	s_mov_b32 s13, -1
	s_mov_b32 s30, exec_lo
                                        ; implicit-def: $sgpr17
	v_cmpx_eq_u16_e32 0x80, v40
; %bb.5235:                             ;   in Loop: Header=BB4_4976 Depth=3
	s_mov_b32 s17, 0x7f800001
	s_xor_b32 s13, exec_lo, -1
; %bb.5236:                             ;   in Loop: Header=BB4_4976 Depth=3
	s_or_b32 exec_lo, exec_lo, s30
	s_delay_alu instid0(SALU_CYCLE_1)
	s_and_b32 s13, s13, exec_lo
                                        ; implicit-def: $vgpr40
	s_or_saveexec_b32 s29, s29
	v_mov_b32_e32 v183, s17
	s_xor_b32 exec_lo, exec_lo, s29
	s_cbranch_execz .LBB4_4982
.LBB4_5237:                             ;   in Loop: Header=BB4_4976 Depth=3
	v_cmp_ne_u16_e32 vcc_lo, 0, v40
	v_mov_b32_e32 v183, 0
	s_and_not1_b32 s13, s13, exec_lo
	s_and_b32 s17, vcc_lo, exec_lo
	s_delay_alu instid0(SALU_CYCLE_1)
	s_or_b32 s13, s13, s17
	s_or_b32 exec_lo, exec_lo, s29
	s_and_saveexec_b32 s17, s13
	s_cbranch_execnz .LBB4_4983
	s_branch .LBB4_4984
.LBB4_5238:                             ;   in Loop: Header=BB4_4976 Depth=3
	s_mov_b32 s13, -1
	s_mov_b32 s30, exec_lo
                                        ; implicit-def: $sgpr17
	v_cmpx_eq_u16_e64 0x80, v183
; %bb.5239:                             ;   in Loop: Header=BB4_4976 Depth=3
	s_mov_b32 s17, 0x7f800001
	s_xor_b32 s13, exec_lo, -1
; %bb.5240:                             ;   in Loop: Header=BB4_4976 Depth=3
	s_or_b32 exec_lo, exec_lo, s30
	s_delay_alu instid0(SALU_CYCLE_1)
	s_and_b32 s13, s13, exec_lo
                                        ; implicit-def: $vgpr183
	s_or_saveexec_b32 s29, s29
	v_mov_b32_e32 v182, s17
	s_xor_b32 exec_lo, exec_lo, s29
	s_cbranch_execz .LBB4_4994
.LBB4_5241:                             ;   in Loop: Header=BB4_4976 Depth=3
	v_cmp_ne_u16_e64 vcc_lo, 0, v183
	v_mov_b32_e32 v182, 0
	s_and_not1_b32 s13, s13, exec_lo
	s_delay_alu instid0(VALU_DEP_2) | instskip(NEXT) | instid1(SALU_CYCLE_1)
	s_and_b32 s17, vcc_lo, exec_lo
	s_or_b32 s13, s13, s17
	s_or_b32 exec_lo, exec_lo, s29
	s_and_saveexec_b32 s17, s13
	s_cbranch_execnz .LBB4_4995
	s_branch .LBB4_4996
.LBB4_5242:                             ;   in Loop: Header=BB4_4976 Depth=3
	s_mov_b32 s13, -1
	s_mov_b32 s30, exec_lo
                                        ; implicit-def: $sgpr17
	v_cmpx_eq_u16_e64 0x80, v183
; %bb.5243:                             ;   in Loop: Header=BB4_4976 Depth=3
	s_mov_b32 s17, 0x7f800001
	s_xor_b32 s13, exec_lo, -1
; %bb.5244:                             ;   in Loop: Header=BB4_4976 Depth=3
	s_or_b32 exec_lo, exec_lo, s30
	s_delay_alu instid0(SALU_CYCLE_1)
	s_and_b32 s13, s13, exec_lo
                                        ; implicit-def: $vgpr183
	s_or_saveexec_b32 s29, s29
	v_mov_b32_e32 v181, s17
	s_xor_b32 exec_lo, exec_lo, s29
	s_cbranch_execz .LBB4_4998
.LBB4_5245:                             ;   in Loop: Header=BB4_4976 Depth=3
	v_cmp_ne_u16_e64 vcc_lo, 0, v183
	v_mov_b32_e32 v181, 0
	s_and_not1_b32 s13, s13, exec_lo
	s_delay_alu instid0(VALU_DEP_2) | instskip(NEXT) | instid1(SALU_CYCLE_1)
	s_and_b32 s17, vcc_lo, exec_lo
	s_or_b32 s13, s13, s17
	s_or_b32 exec_lo, exec_lo, s29
	s_and_saveexec_b32 s17, s13
	s_cbranch_execnz .LBB4_4999
	s_branch .LBB4_5000
.LBB4_5246:                             ;   in Loop: Header=BB4_4976 Depth=3
	s_mov_b32 s13, -1
	s_mov_b32 s30, exec_lo
                                        ; implicit-def: $sgpr17
	v_cmpx_eq_u16_e64 0x80, v182
; %bb.5247:                             ;   in Loop: Header=BB4_4976 Depth=3
	s_mov_b32 s17, 0x7f800001
	s_xor_b32 s13, exec_lo, -1
; %bb.5248:                             ;   in Loop: Header=BB4_4976 Depth=3
	s_or_b32 exec_lo, exec_lo, s30
	s_delay_alu instid0(SALU_CYCLE_1)
	s_and_b32 s13, s13, exec_lo
                                        ; implicit-def: $vgpr182
	s_or_saveexec_b32 s29, s29
	v_mov_b32_e32 v181, s17
	s_xor_b32 exec_lo, exec_lo, s29
	s_cbranch_execz .LBB4_5010
.LBB4_5249:                             ;   in Loop: Header=BB4_4976 Depth=3
	v_cmp_ne_u16_e64 vcc_lo, 0, v182
	v_mov_b32_e32 v181, 0
	s_and_not1_b32 s13, s13, exec_lo
	s_delay_alu instid0(VALU_DEP_2) | instskip(NEXT) | instid1(SALU_CYCLE_1)
	s_and_b32 s17, vcc_lo, exec_lo
	s_or_b32 s13, s13, s17
	s_or_b32 exec_lo, exec_lo, s29
	s_and_saveexec_b32 s17, s13
	s_cbranch_execnz .LBB4_5011
	s_branch .LBB4_5012
.LBB4_5250:                             ;   in Loop: Header=BB4_4976 Depth=3
	s_mov_b32 s13, -1
	s_mov_b32 s30, exec_lo
                                        ; implicit-def: $sgpr17
	v_cmpx_eq_u16_e64 0x80, v182
; %bb.5251:                             ;   in Loop: Header=BB4_4976 Depth=3
	s_mov_b32 s17, 0x7f800001
	s_xor_b32 s13, exec_lo, -1
; %bb.5252:                             ;   in Loop: Header=BB4_4976 Depth=3
	s_or_b32 exec_lo, exec_lo, s30
	s_delay_alu instid0(SALU_CYCLE_1)
	s_and_b32 s13, s13, exec_lo
                                        ; implicit-def: $vgpr182
	s_or_saveexec_b32 s29, s29
	v_mov_b32_e32 v180, s17
	s_xor_b32 exec_lo, exec_lo, s29
	s_cbranch_execz .LBB4_5014
.LBB4_5253:                             ;   in Loop: Header=BB4_4976 Depth=3
	v_cmp_ne_u16_e64 vcc_lo, 0, v182
	v_mov_b32_e32 v180, 0
	s_and_not1_b32 s13, s13, exec_lo
	s_delay_alu instid0(VALU_DEP_2) | instskip(NEXT) | instid1(SALU_CYCLE_1)
	s_and_b32 s17, vcc_lo, exec_lo
	s_or_b32 s13, s13, s17
	s_or_b32 exec_lo, exec_lo, s29
	s_and_saveexec_b32 s17, s13
	s_cbranch_execnz .LBB4_5015
	s_branch .LBB4_5016
.LBB4_5254:                             ;   in Loop: Header=BB4_4976 Depth=3
	s_mov_b32 s13, -1
	s_mov_b32 s30, exec_lo
                                        ; implicit-def: $sgpr17
	v_cmpx_eq_u16_e64 0x80, v181
; %bb.5255:                             ;   in Loop: Header=BB4_4976 Depth=3
	s_mov_b32 s17, 0x7f800001
	s_xor_b32 s13, exec_lo, -1
; %bb.5256:                             ;   in Loop: Header=BB4_4976 Depth=3
	s_or_b32 exec_lo, exec_lo, s30
	s_delay_alu instid0(SALU_CYCLE_1)
	s_and_b32 s13, s13, exec_lo
                                        ; implicit-def: $vgpr181
	s_or_saveexec_b32 s29, s29
	v_mov_b32_e32 v180, s17
	s_xor_b32 exec_lo, exec_lo, s29
	s_cbranch_execz .LBB4_5026
.LBB4_5257:                             ;   in Loop: Header=BB4_4976 Depth=3
	v_cmp_ne_u16_e64 vcc_lo, 0, v181
	v_mov_b32_e32 v180, 0
	s_and_not1_b32 s13, s13, exec_lo
	s_delay_alu instid0(VALU_DEP_2) | instskip(NEXT) | instid1(SALU_CYCLE_1)
	s_and_b32 s17, vcc_lo, exec_lo
	s_or_b32 s13, s13, s17
	s_or_b32 exec_lo, exec_lo, s29
	s_and_saveexec_b32 s17, s13
	s_cbranch_execnz .LBB4_5027
	s_branch .LBB4_5028
.LBB4_5258:                             ;   in Loop: Header=BB4_4976 Depth=3
	s_mov_b32 s13, -1
	s_mov_b32 s30, exec_lo
                                        ; implicit-def: $sgpr17
	v_cmpx_eq_u16_e64 0x80, v181
; %bb.5259:                             ;   in Loop: Header=BB4_4976 Depth=3
	s_mov_b32 s17, 0x7f800001
	s_xor_b32 s13, exec_lo, -1
; %bb.5260:                             ;   in Loop: Header=BB4_4976 Depth=3
	s_or_b32 exec_lo, exec_lo, s30
	s_delay_alu instid0(SALU_CYCLE_1)
	s_and_b32 s13, s13, exec_lo
                                        ; implicit-def: $vgpr181
	s_or_saveexec_b32 s29, s29
	v_mov_b32_e32 v179, s17
	s_xor_b32 exec_lo, exec_lo, s29
	s_cbranch_execz .LBB4_5030
.LBB4_5261:                             ;   in Loop: Header=BB4_4976 Depth=3
	v_cmp_ne_u16_e64 vcc_lo, 0, v181
	v_mov_b32_e32 v179, 0
	s_and_not1_b32 s13, s13, exec_lo
	s_delay_alu instid0(VALU_DEP_2) | instskip(NEXT) | instid1(SALU_CYCLE_1)
	s_and_b32 s17, vcc_lo, exec_lo
	s_or_b32 s13, s13, s17
	s_or_b32 exec_lo, exec_lo, s29
	s_and_saveexec_b32 s17, s13
	s_cbranch_execnz .LBB4_5031
	s_branch .LBB4_5032
.LBB4_5262:                             ;   in Loop: Header=BB4_4976 Depth=3
	s_mov_b32 s13, -1
	s_mov_b32 s30, exec_lo
                                        ; implicit-def: $sgpr17
	v_cmpx_eq_u16_e64 0x80, v180
; %bb.5263:                             ;   in Loop: Header=BB4_4976 Depth=3
	s_mov_b32 s17, 0x7f800001
	s_xor_b32 s13, exec_lo, -1
; %bb.5264:                             ;   in Loop: Header=BB4_4976 Depth=3
	s_or_b32 exec_lo, exec_lo, s30
	s_delay_alu instid0(SALU_CYCLE_1)
	s_and_b32 s13, s13, exec_lo
                                        ; implicit-def: $vgpr180
	s_or_saveexec_b32 s29, s29
	v_mov_b32_e32 v179, s17
	s_xor_b32 exec_lo, exec_lo, s29
	s_cbranch_execz .LBB4_5042
.LBB4_5265:                             ;   in Loop: Header=BB4_4976 Depth=3
	v_cmp_ne_u16_e64 vcc_lo, 0, v180
	v_mov_b32_e32 v179, 0
	s_and_not1_b32 s13, s13, exec_lo
	s_delay_alu instid0(VALU_DEP_2) | instskip(NEXT) | instid1(SALU_CYCLE_1)
	s_and_b32 s17, vcc_lo, exec_lo
	s_or_b32 s13, s13, s17
	s_or_b32 exec_lo, exec_lo, s29
	s_and_saveexec_b32 s17, s13
	s_cbranch_execnz .LBB4_5043
	s_branch .LBB4_5044
.LBB4_5266:                             ;   in Loop: Header=BB4_4976 Depth=3
	s_mov_b32 s13, -1
	s_mov_b32 s30, exec_lo
                                        ; implicit-def: $sgpr17
	v_cmpx_eq_u16_e64 0x80, v180
; %bb.5267:                             ;   in Loop: Header=BB4_4976 Depth=3
	s_mov_b32 s17, 0x7f800001
	s_xor_b32 s13, exec_lo, -1
; %bb.5268:                             ;   in Loop: Header=BB4_4976 Depth=3
	s_or_b32 exec_lo, exec_lo, s30
	s_delay_alu instid0(SALU_CYCLE_1)
	s_and_b32 s13, s13, exec_lo
                                        ; implicit-def: $vgpr180
	s_or_saveexec_b32 s29, s29
	v_mov_b32_e32 v178, s17
	s_xor_b32 exec_lo, exec_lo, s29
	s_cbranch_execz .LBB4_5046
.LBB4_5269:                             ;   in Loop: Header=BB4_4976 Depth=3
	v_cmp_ne_u16_e64 vcc_lo, 0, v180
	v_mov_b32_e32 v178, 0
	s_and_not1_b32 s13, s13, exec_lo
	s_delay_alu instid0(VALU_DEP_2) | instskip(NEXT) | instid1(SALU_CYCLE_1)
	s_and_b32 s17, vcc_lo, exec_lo
	s_or_b32 s13, s13, s17
	s_or_b32 exec_lo, exec_lo, s29
	s_and_saveexec_b32 s17, s13
	s_cbranch_execnz .LBB4_5047
	s_branch .LBB4_5048
.LBB4_5270:                             ;   in Loop: Header=BB4_4976 Depth=3
	s_mov_b32 s13, -1
	s_mov_b32 s30, exec_lo
                                        ; implicit-def: $sgpr17
	v_cmpx_eq_u16_e64 0x80, v179
; %bb.5271:                             ;   in Loop: Header=BB4_4976 Depth=3
	s_mov_b32 s17, 0x7f800001
	s_xor_b32 s13, exec_lo, -1
; %bb.5272:                             ;   in Loop: Header=BB4_4976 Depth=3
	s_or_b32 exec_lo, exec_lo, s30
	s_delay_alu instid0(SALU_CYCLE_1)
	s_and_b32 s13, s13, exec_lo
                                        ; implicit-def: $vgpr179
	s_or_saveexec_b32 s29, s29
	v_mov_b32_e32 v178, s17
	s_xor_b32 exec_lo, exec_lo, s29
	s_cbranch_execz .LBB4_5058
.LBB4_5273:                             ;   in Loop: Header=BB4_4976 Depth=3
	v_cmp_ne_u16_e64 vcc_lo, 0, v179
	v_mov_b32_e32 v178, 0
	s_and_not1_b32 s13, s13, exec_lo
	s_delay_alu instid0(VALU_DEP_2) | instskip(NEXT) | instid1(SALU_CYCLE_1)
	s_and_b32 s17, vcc_lo, exec_lo
	s_or_b32 s13, s13, s17
	s_or_b32 exec_lo, exec_lo, s29
	s_and_saveexec_b32 s17, s13
	s_cbranch_execnz .LBB4_5059
	s_branch .LBB4_5060
.LBB4_5274:                             ;   in Loop: Header=BB4_4976 Depth=3
	s_mov_b32 s13, -1
	s_mov_b32 s30, exec_lo
                                        ; implicit-def: $sgpr17
	v_cmpx_eq_u16_e64 0x80, v179
; %bb.5275:                             ;   in Loop: Header=BB4_4976 Depth=3
	s_mov_b32 s17, 0x7f800001
	s_xor_b32 s13, exec_lo, -1
; %bb.5276:                             ;   in Loop: Header=BB4_4976 Depth=3
	s_or_b32 exec_lo, exec_lo, s30
	s_delay_alu instid0(SALU_CYCLE_1)
	s_and_b32 s13, s13, exec_lo
                                        ; implicit-def: $vgpr179
	s_or_saveexec_b32 s29, s29
	v_mov_b32_e32 v177, s17
	s_xor_b32 exec_lo, exec_lo, s29
	s_cbranch_execz .LBB4_5062
.LBB4_5277:                             ;   in Loop: Header=BB4_4976 Depth=3
	v_cmp_ne_u16_e64 vcc_lo, 0, v179
	v_mov_b32_e32 v177, 0
	s_and_not1_b32 s13, s13, exec_lo
	s_delay_alu instid0(VALU_DEP_2) | instskip(NEXT) | instid1(SALU_CYCLE_1)
	s_and_b32 s17, vcc_lo, exec_lo
	s_or_b32 s13, s13, s17
	s_or_b32 exec_lo, exec_lo, s29
	s_and_saveexec_b32 s17, s13
	s_cbranch_execnz .LBB4_5063
	s_branch .LBB4_5064
.LBB4_5278:                             ;   in Loop: Header=BB4_4976 Depth=3
	s_mov_b32 s13, -1
	s_mov_b32 s30, exec_lo
                                        ; implicit-def: $sgpr17
	v_cmpx_eq_u16_e64 0x80, v178
; %bb.5279:                             ;   in Loop: Header=BB4_4976 Depth=3
	s_mov_b32 s17, 0x7f800001
	s_xor_b32 s13, exec_lo, -1
; %bb.5280:                             ;   in Loop: Header=BB4_4976 Depth=3
	s_or_b32 exec_lo, exec_lo, s30
	s_delay_alu instid0(SALU_CYCLE_1)
	s_and_b32 s13, s13, exec_lo
                                        ; implicit-def: $vgpr178
	s_or_saveexec_b32 s29, s29
	v_mov_b32_e32 v177, s17
	s_xor_b32 exec_lo, exec_lo, s29
	s_cbranch_execz .LBB4_5074
.LBB4_5281:                             ;   in Loop: Header=BB4_4976 Depth=3
	v_cmp_ne_u16_e64 vcc_lo, 0, v178
	v_mov_b32_e32 v177, 0
	s_and_not1_b32 s13, s13, exec_lo
	s_delay_alu instid0(VALU_DEP_2) | instskip(NEXT) | instid1(SALU_CYCLE_1)
	s_and_b32 s17, vcc_lo, exec_lo
	s_or_b32 s13, s13, s17
	s_or_b32 exec_lo, exec_lo, s29
	s_and_saveexec_b32 s17, s13
	s_cbranch_execnz .LBB4_5075
	s_branch .LBB4_5076
.LBB4_5282:                             ;   in Loop: Header=BB4_4976 Depth=3
	s_mov_b32 s13, -1
	s_mov_b32 s30, exec_lo
                                        ; implicit-def: $sgpr17
	v_cmpx_eq_u16_e64 0x80, v178
; %bb.5283:                             ;   in Loop: Header=BB4_4976 Depth=3
	s_mov_b32 s17, 0x7f800001
	s_xor_b32 s13, exec_lo, -1
; %bb.5284:                             ;   in Loop: Header=BB4_4976 Depth=3
	s_or_b32 exec_lo, exec_lo, s30
	s_delay_alu instid0(SALU_CYCLE_1)
	s_and_b32 s13, s13, exec_lo
                                        ; implicit-def: $vgpr178
	s_or_saveexec_b32 s29, s29
	v_mov_b32_e32 v176, s17
	s_xor_b32 exec_lo, exec_lo, s29
	s_cbranch_execz .LBB4_5078
.LBB4_5285:                             ;   in Loop: Header=BB4_4976 Depth=3
	v_cmp_ne_u16_e64 vcc_lo, 0, v178
	v_mov_b32_e32 v176, 0
	s_and_not1_b32 s13, s13, exec_lo
	s_delay_alu instid0(VALU_DEP_2) | instskip(NEXT) | instid1(SALU_CYCLE_1)
	s_and_b32 s17, vcc_lo, exec_lo
	s_or_b32 s13, s13, s17
	s_or_b32 exec_lo, exec_lo, s29
	s_and_saveexec_b32 s17, s13
	s_cbranch_execnz .LBB4_5079
	s_branch .LBB4_5080
.LBB4_5286:                             ;   in Loop: Header=BB4_4976 Depth=3
	s_mov_b32 s13, -1
	s_mov_b32 s30, exec_lo
                                        ; implicit-def: $sgpr17
	v_cmpx_eq_u16_e64 0x80, v177
; %bb.5287:                             ;   in Loop: Header=BB4_4976 Depth=3
	s_mov_b32 s17, 0x7f800001
	s_xor_b32 s13, exec_lo, -1
; %bb.5288:                             ;   in Loop: Header=BB4_4976 Depth=3
	s_or_b32 exec_lo, exec_lo, s30
	s_delay_alu instid0(SALU_CYCLE_1)
	s_and_b32 s13, s13, exec_lo
                                        ; implicit-def: $vgpr177
	s_or_saveexec_b32 s29, s29
	v_mov_b32_e32 v176, s17
	s_xor_b32 exec_lo, exec_lo, s29
	s_cbranch_execz .LBB4_5090
.LBB4_5289:                             ;   in Loop: Header=BB4_4976 Depth=3
	v_cmp_ne_u16_e64 vcc_lo, 0, v177
	v_mov_b32_e32 v176, 0
	s_and_not1_b32 s13, s13, exec_lo
	s_delay_alu instid0(VALU_DEP_2) | instskip(NEXT) | instid1(SALU_CYCLE_1)
	s_and_b32 s17, vcc_lo, exec_lo
	s_or_b32 s13, s13, s17
	s_or_b32 exec_lo, exec_lo, s29
	s_and_saveexec_b32 s17, s13
	s_cbranch_execnz .LBB4_5091
	s_branch .LBB4_5092
.LBB4_5290:                             ;   in Loop: Header=BB4_4976 Depth=3
	s_mov_b32 s13, -1
	s_mov_b32 s30, exec_lo
                                        ; implicit-def: $sgpr17
	v_cmpx_eq_u16_e64 0x80, v177
; %bb.5291:                             ;   in Loop: Header=BB4_4976 Depth=3
	s_mov_b32 s17, 0x7f800001
	s_xor_b32 s13, exec_lo, -1
; %bb.5292:                             ;   in Loop: Header=BB4_4976 Depth=3
	s_or_b32 exec_lo, exec_lo, s30
	s_delay_alu instid0(SALU_CYCLE_1)
	s_and_b32 s13, s13, exec_lo
                                        ; implicit-def: $vgpr177
	s_or_saveexec_b32 s29, s29
	v_mov_b32_e32 v167, s17
	s_xor_b32 exec_lo, exec_lo, s29
	s_cbranch_execz .LBB4_5094
.LBB4_5293:                             ;   in Loop: Header=BB4_4976 Depth=3
	v_cmp_ne_u16_e64 vcc_lo, 0, v177
	v_mov_b32_e32 v167, 0
	s_and_not1_b32 s13, s13, exec_lo
	s_delay_alu instid0(VALU_DEP_2) | instskip(NEXT) | instid1(SALU_CYCLE_1)
	s_and_b32 s17, vcc_lo, exec_lo
	s_or_b32 s13, s13, s17
	s_or_b32 exec_lo, exec_lo, s29
	s_and_saveexec_b32 s17, s13
	s_cbranch_execnz .LBB4_5095
	s_branch .LBB4_5096
.LBB4_5294:                             ;   in Loop: Header=BB4_4976 Depth=3
	s_mov_b32 s13, -1
	s_mov_b32 s30, exec_lo
                                        ; implicit-def: $sgpr17
	v_cmpx_eq_u16_e64 0x80, v176
; %bb.5295:                             ;   in Loop: Header=BB4_4976 Depth=3
	s_mov_b32 s17, 0x7f800001
	s_xor_b32 s13, exec_lo, -1
; %bb.5296:                             ;   in Loop: Header=BB4_4976 Depth=3
	s_or_b32 exec_lo, exec_lo, s30
	s_delay_alu instid0(SALU_CYCLE_1)
	s_and_b32 s13, s13, exec_lo
                                        ; implicit-def: $vgpr176
	s_or_saveexec_b32 s29, s29
	v_mov_b32_e32 v167, s17
	s_xor_b32 exec_lo, exec_lo, s29
	s_cbranch_execz .LBB4_5106
.LBB4_5297:                             ;   in Loop: Header=BB4_4976 Depth=3
	v_cmp_ne_u16_e64 vcc_lo, 0, v176
	v_mov_b32_e32 v167, 0
	s_and_not1_b32 s13, s13, exec_lo
	s_delay_alu instid0(VALU_DEP_2) | instskip(NEXT) | instid1(SALU_CYCLE_1)
	s_and_b32 s17, vcc_lo, exec_lo
	s_or_b32 s13, s13, s17
	s_or_b32 exec_lo, exec_lo, s29
	s_and_saveexec_b32 s17, s13
	s_cbranch_execnz .LBB4_5107
	s_branch .LBB4_5108
.LBB4_5298:                             ;   in Loop: Header=BB4_4976 Depth=3
	s_mov_b32 s13, -1
	s_mov_b32 s30, exec_lo
                                        ; implicit-def: $sgpr17
	v_cmpx_eq_u16_e64 0x80, v176
; %bb.5299:                             ;   in Loop: Header=BB4_4976 Depth=3
	s_mov_b32 s17, 0x7f800001
	s_xor_b32 s13, exec_lo, -1
; %bb.5300:                             ;   in Loop: Header=BB4_4976 Depth=3
	s_or_b32 exec_lo, exec_lo, s30
	s_delay_alu instid0(SALU_CYCLE_1)
	s_and_b32 s13, s13, exec_lo
                                        ; implicit-def: $vgpr176
	s_or_saveexec_b32 s29, s29
	v_mov_b32_e32 v165, s17
	s_xor_b32 exec_lo, exec_lo, s29
	s_cbranch_execz .LBB4_5110
.LBB4_5301:                             ;   in Loop: Header=BB4_4976 Depth=3
	v_cmp_ne_u16_e64 vcc_lo, 0, v176
	v_mov_b32_e32 v165, 0
	s_and_not1_b32 s13, s13, exec_lo
	s_delay_alu instid0(VALU_DEP_2) | instskip(NEXT) | instid1(SALU_CYCLE_1)
	s_and_b32 s17, vcc_lo, exec_lo
	s_or_b32 s13, s13, s17
	s_or_b32 exec_lo, exec_lo, s29
	s_and_saveexec_b32 s17, s13
	s_cbranch_execnz .LBB4_5111
	s_branch .LBB4_5112
.LBB4_5302:                             ;   in Loop: Header=BB4_4976 Depth=3
	s_mov_b32 s13, -1
	s_mov_b32 s30, exec_lo
                                        ; implicit-def: $sgpr17
	v_cmpx_eq_u16_e64 0x80, v167
; %bb.5303:                             ;   in Loop: Header=BB4_4976 Depth=3
	s_mov_b32 s17, 0x7f800001
	s_xor_b32 s13, exec_lo, -1
; %bb.5304:                             ;   in Loop: Header=BB4_4976 Depth=3
	s_or_b32 exec_lo, exec_lo, s30
	s_delay_alu instid0(SALU_CYCLE_1)
	s_and_b32 s13, s13, exec_lo
                                        ; implicit-def: $vgpr167
	s_or_saveexec_b32 s29, s29
	v_mov_b32_e32 v165, s17
	s_xor_b32 exec_lo, exec_lo, s29
	s_cbranch_execz .LBB4_5122
.LBB4_5305:                             ;   in Loop: Header=BB4_4976 Depth=3
	v_cmp_ne_u16_e64 vcc_lo, 0, v167
	v_mov_b32_e32 v165, 0
	s_and_not1_b32 s13, s13, exec_lo
	s_delay_alu instid0(VALU_DEP_2) | instskip(NEXT) | instid1(SALU_CYCLE_1)
	s_and_b32 s17, vcc_lo, exec_lo
	s_or_b32 s13, s13, s17
	s_or_b32 exec_lo, exec_lo, s29
	s_and_saveexec_b32 s17, s13
	s_cbranch_execnz .LBB4_5123
	s_branch .LBB4_5124
.LBB4_5306:                             ;   in Loop: Header=BB4_4976 Depth=3
	s_mov_b32 s13, -1
	s_mov_b32 s30, exec_lo
                                        ; implicit-def: $sgpr17
	v_cmpx_eq_u16_e64 0x80, v167
; %bb.5307:                             ;   in Loop: Header=BB4_4976 Depth=3
	s_mov_b32 s17, 0x7f800001
	s_xor_b32 s13, exec_lo, -1
; %bb.5308:                             ;   in Loop: Header=BB4_4976 Depth=3
	s_or_b32 exec_lo, exec_lo, s30
	s_delay_alu instid0(SALU_CYCLE_1)
	s_and_b32 s13, s13, exec_lo
                                        ; implicit-def: $vgpr167
	s_or_saveexec_b32 s29, s29
	v_mov_b32_e32 v162, s17
	s_xor_b32 exec_lo, exec_lo, s29
	s_cbranch_execz .LBB4_5126
.LBB4_5309:                             ;   in Loop: Header=BB4_4976 Depth=3
	v_cmp_ne_u16_e64 vcc_lo, 0, v167
	v_mov_b32_e32 v162, 0
	s_and_not1_b32 s13, s13, exec_lo
	s_delay_alu instid0(VALU_DEP_2) | instskip(NEXT) | instid1(SALU_CYCLE_1)
	s_and_b32 s17, vcc_lo, exec_lo
	s_or_b32 s13, s13, s17
	s_or_b32 exec_lo, exec_lo, s29
	s_and_saveexec_b32 s17, s13
	s_cbranch_execnz .LBB4_5127
	s_branch .LBB4_5128
.LBB4_5310:                             ;   in Loop: Header=BB4_4976 Depth=3
	s_mov_b32 s13, -1
	s_mov_b32 s30, exec_lo
                                        ; implicit-def: $sgpr17
	v_cmpx_eq_u16_e64 0x80, v165
; %bb.5311:                             ;   in Loop: Header=BB4_4976 Depth=3
	s_mov_b32 s17, 0x7f800001
	s_xor_b32 s13, exec_lo, -1
; %bb.5312:                             ;   in Loop: Header=BB4_4976 Depth=3
	s_or_b32 exec_lo, exec_lo, s30
	s_delay_alu instid0(SALU_CYCLE_1)
	s_and_b32 s13, s13, exec_lo
                                        ; implicit-def: $vgpr165
	s_or_saveexec_b32 s29, s29
	v_mov_b32_e32 v162, s17
	s_xor_b32 exec_lo, exec_lo, s29
	s_cbranch_execz .LBB4_5138
.LBB4_5313:                             ;   in Loop: Header=BB4_4976 Depth=3
	v_cmp_ne_u16_e64 vcc_lo, 0, v165
	v_mov_b32_e32 v162, 0
	s_and_not1_b32 s13, s13, exec_lo
	s_delay_alu instid0(VALU_DEP_2) | instskip(NEXT) | instid1(SALU_CYCLE_1)
	s_and_b32 s17, vcc_lo, exec_lo
	s_or_b32 s13, s13, s17
	s_or_b32 exec_lo, exec_lo, s29
	s_and_saveexec_b32 s17, s13
	s_cbranch_execnz .LBB4_5139
	s_branch .LBB4_5140
.LBB4_5314:                             ;   in Loop: Header=BB4_4976 Depth=3
	s_mov_b32 s13, -1
	s_mov_b32 s30, exec_lo
                                        ; implicit-def: $sgpr17
	v_cmpx_eq_u16_e64 0x80, v165
; %bb.5315:                             ;   in Loop: Header=BB4_4976 Depth=3
	s_mov_b32 s17, 0x7f800001
	s_xor_b32 s13, exec_lo, -1
; %bb.5316:                             ;   in Loop: Header=BB4_4976 Depth=3
	s_or_b32 exec_lo, exec_lo, s30
	s_delay_alu instid0(SALU_CYCLE_1)
	s_and_b32 s13, s13, exec_lo
                                        ; implicit-def: $vgpr165
	s_or_saveexec_b32 s29, s29
	v_mov_b32_e32 v151, s17
	s_xor_b32 exec_lo, exec_lo, s29
	s_cbranch_execz .LBB4_5142
.LBB4_5317:                             ;   in Loop: Header=BB4_4976 Depth=3
	v_cmp_ne_u16_e64 vcc_lo, 0, v165
	v_mov_b32_e32 v151, 0
	s_and_not1_b32 s13, s13, exec_lo
	s_delay_alu instid0(VALU_DEP_2) | instskip(NEXT) | instid1(SALU_CYCLE_1)
	s_and_b32 s17, vcc_lo, exec_lo
	s_or_b32 s13, s13, s17
	s_or_b32 exec_lo, exec_lo, s29
	s_and_saveexec_b32 s17, s13
	s_cbranch_execnz .LBB4_5143
	s_branch .LBB4_5144
.LBB4_5318:                             ;   in Loop: Header=BB4_4976 Depth=3
	s_mov_b32 s13, -1
	s_mov_b32 s30, exec_lo
                                        ; implicit-def: $sgpr17
	v_cmpx_eq_u16_e64 0x80, v162
; %bb.5319:                             ;   in Loop: Header=BB4_4976 Depth=3
	s_mov_b32 s17, 0x7f800001
	s_xor_b32 s13, exec_lo, -1
; %bb.5320:                             ;   in Loop: Header=BB4_4976 Depth=3
	s_or_b32 exec_lo, exec_lo, s30
	s_delay_alu instid0(SALU_CYCLE_1)
	s_and_b32 s13, s13, exec_lo
                                        ; implicit-def: $vgpr162
	s_or_saveexec_b32 s29, s29
	v_mov_b32_e32 v151, s17
	s_xor_b32 exec_lo, exec_lo, s29
	s_cbranch_execz .LBB4_5154
.LBB4_5321:                             ;   in Loop: Header=BB4_4976 Depth=3
	v_cmp_ne_u16_e64 vcc_lo, 0, v162
	v_mov_b32_e32 v151, 0
	s_and_not1_b32 s13, s13, exec_lo
	s_delay_alu instid0(VALU_DEP_2) | instskip(NEXT) | instid1(SALU_CYCLE_1)
	s_and_b32 s17, vcc_lo, exec_lo
	s_or_b32 s13, s13, s17
	s_or_b32 exec_lo, exec_lo, s29
	s_and_saveexec_b32 s17, s13
	s_cbranch_execnz .LBB4_5155
	s_branch .LBB4_5156
.LBB4_5322:                             ;   in Loop: Header=BB4_4976 Depth=3
	s_mov_b32 s13, -1
	s_mov_b32 s30, exec_lo
                                        ; implicit-def: $sgpr17
	v_cmpx_eq_u16_e64 0x80, v162
; %bb.5323:                             ;   in Loop: Header=BB4_4976 Depth=3
	s_mov_b32 s17, 0x7f800001
	s_xor_b32 s13, exec_lo, -1
; %bb.5324:                             ;   in Loop: Header=BB4_4976 Depth=3
	s_or_b32 exec_lo, exec_lo, s30
	s_delay_alu instid0(SALU_CYCLE_1)
	s_and_b32 s13, s13, exec_lo
                                        ; implicit-def: $vgpr162
	s_or_saveexec_b32 s29, s29
	v_mov_b32_e32 v85, s17
	s_xor_b32 exec_lo, exec_lo, s29
	s_cbranch_execz .LBB4_5158
.LBB4_5325:                             ;   in Loop: Header=BB4_4976 Depth=3
	v_cmp_ne_u16_e64 vcc_lo, 0, v162
	v_mov_b32_e32 v85, 0
	s_and_not1_b32 s13, s13, exec_lo
	s_delay_alu instid0(VALU_DEP_2) | instskip(NEXT) | instid1(SALU_CYCLE_1)
	s_and_b32 s17, vcc_lo, exec_lo
	s_or_b32 s13, s13, s17
	s_or_b32 exec_lo, exec_lo, s29
	s_and_saveexec_b32 s17, s13
	s_cbranch_execnz .LBB4_5159
	s_branch .LBB4_5160
.LBB4_5326:                             ;   in Loop: Header=BB4_4976 Depth=3
	s_mov_b32 s13, -1
	s_mov_b32 s30, exec_lo
                                        ; implicit-def: $sgpr17
	v_cmpx_eq_u16_e64 0x80, v151
; %bb.5327:                             ;   in Loop: Header=BB4_4976 Depth=3
	s_mov_b32 s17, 0x7f800001
	s_xor_b32 s13, exec_lo, -1
; %bb.5328:                             ;   in Loop: Header=BB4_4976 Depth=3
	s_or_b32 exec_lo, exec_lo, s30
	s_delay_alu instid0(SALU_CYCLE_1)
	s_and_b32 s13, s13, exec_lo
                                        ; implicit-def: $vgpr151
	s_or_saveexec_b32 s29, s29
	v_mov_b32_e32 v85, s17
	s_xor_b32 exec_lo, exec_lo, s29
	s_cbranch_execz .LBB4_5170
.LBB4_5329:                             ;   in Loop: Header=BB4_4976 Depth=3
	v_cmp_ne_u16_e64 vcc_lo, 0, v151
	v_mov_b32_e32 v85, 0
	s_and_not1_b32 s13, s13, exec_lo
	s_delay_alu instid0(VALU_DEP_2) | instskip(NEXT) | instid1(SALU_CYCLE_1)
	s_and_b32 s17, vcc_lo, exec_lo
	s_or_b32 s13, s13, s17
	s_or_b32 exec_lo, exec_lo, s29
	s_and_saveexec_b32 s17, s13
	s_cbranch_execnz .LBB4_5171
	s_branch .LBB4_5172
.LBB4_5330:                             ;   in Loop: Header=BB4_4976 Depth=3
	s_mov_b32 s13, -1
	s_mov_b32 s30, exec_lo
                                        ; implicit-def: $sgpr17
	v_cmpx_eq_u16_e64 0x80, v151
; %bb.5331:                             ;   in Loop: Header=BB4_4976 Depth=3
	s_mov_b32 s17, 0x7f800001
	s_xor_b32 s13, exec_lo, -1
; %bb.5332:                             ;   in Loop: Header=BB4_4976 Depth=3
	s_or_b32 exec_lo, exec_lo, s30
	s_delay_alu instid0(SALU_CYCLE_1)
	s_and_b32 s13, s13, exec_lo
                                        ; implicit-def: $vgpr151
	s_or_saveexec_b32 s29, s29
	v_mov_b32_e32 v82, s17
	s_xor_b32 exec_lo, exec_lo, s29
	s_cbranch_execz .LBB4_5174
.LBB4_5333:                             ;   in Loop: Header=BB4_4976 Depth=3
	v_cmp_ne_u16_e64 vcc_lo, 0, v151
	v_mov_b32_e32 v82, 0
	s_and_not1_b32 s13, s13, exec_lo
	s_delay_alu instid0(VALU_DEP_2) | instskip(NEXT) | instid1(SALU_CYCLE_1)
	s_and_b32 s17, vcc_lo, exec_lo
	s_or_b32 s13, s13, s17
	s_or_b32 exec_lo, exec_lo, s29
	s_and_saveexec_b32 s17, s13
	s_cbranch_execnz .LBB4_5175
	s_branch .LBB4_5176
.LBB4_5334:                             ;   in Loop: Header=BB4_4976 Depth=3
	s_mov_b32 s13, -1
	s_mov_b32 s30, exec_lo
                                        ; implicit-def: $sgpr17
	v_cmpx_eq_u16_e32 0x80, v85
; %bb.5335:                             ;   in Loop: Header=BB4_4976 Depth=3
	s_mov_b32 s17, 0x7f800001
	s_xor_b32 s13, exec_lo, -1
; %bb.5336:                             ;   in Loop: Header=BB4_4976 Depth=3
	s_or_b32 exec_lo, exec_lo, s30
	s_delay_alu instid0(SALU_CYCLE_1)
	s_and_b32 s13, s13, exec_lo
                                        ; implicit-def: $vgpr85
	s_or_saveexec_b32 s29, s29
	v_mov_b32_e32 v82, s17
	s_xor_b32 exec_lo, exec_lo, s29
	s_cbranch_execz .LBB4_5186
.LBB4_5337:                             ;   in Loop: Header=BB4_4976 Depth=3
	v_cmp_ne_u16_e32 vcc_lo, 0, v85
	v_mov_b32_e32 v82, 0
	s_and_not1_b32 s13, s13, exec_lo
	s_and_b32 s17, vcc_lo, exec_lo
	s_delay_alu instid0(SALU_CYCLE_1)
	s_or_b32 s13, s13, s17
	s_or_b32 exec_lo, exec_lo, s29
	s_and_saveexec_b32 s17, s13
	s_cbranch_execnz .LBB4_5187
	s_branch .LBB4_5188
.LBB4_5338:                             ;   in Loop: Header=BB4_4976 Depth=3
	s_mov_b32 s13, -1
	s_mov_b32 s30, exec_lo
                                        ; implicit-def: $sgpr17
	v_cmpx_eq_u16_e32 0x80, v85
; %bb.5339:                             ;   in Loop: Header=BB4_4976 Depth=3
	s_mov_b32 s17, 0x7f800001
	s_xor_b32 s13, exec_lo, -1
; %bb.5340:                             ;   in Loop: Header=BB4_4976 Depth=3
	s_or_b32 exec_lo, exec_lo, s30
	s_delay_alu instid0(SALU_CYCLE_1)
	s_and_b32 s13, s13, exec_lo
                                        ; implicit-def: $vgpr85
	s_or_saveexec_b32 s29, s29
	v_mov_b32_e32 v70, s17
	s_xor_b32 exec_lo, exec_lo, s29
	s_cbranch_execz .LBB4_5190
.LBB4_5341:                             ;   in Loop: Header=BB4_4976 Depth=3
	v_cmp_ne_u16_e32 vcc_lo, 0, v85
	v_mov_b32_e32 v70, 0
	s_and_not1_b32 s13, s13, exec_lo
	s_and_b32 s17, vcc_lo, exec_lo
	s_delay_alu instid0(SALU_CYCLE_1)
	s_or_b32 s13, s13, s17
	s_or_b32 exec_lo, exec_lo, s29
	s_and_saveexec_b32 s17, s13
	s_cbranch_execnz .LBB4_5191
	s_branch .LBB4_5192
.LBB4_5342:                             ;   in Loop: Header=BB4_4976 Depth=3
	s_mov_b32 s13, -1
	s_mov_b32 s30, exec_lo
                                        ; implicit-def: $sgpr17
	v_cmpx_eq_u16_e32 0x80, v82
; %bb.5343:                             ;   in Loop: Header=BB4_4976 Depth=3
	s_mov_b32 s17, 0x7f800001
	s_xor_b32 s13, exec_lo, -1
; %bb.5344:                             ;   in Loop: Header=BB4_4976 Depth=3
	s_or_b32 exec_lo, exec_lo, s30
	s_delay_alu instid0(SALU_CYCLE_1)
	s_and_b32 s13, s13, exec_lo
                                        ; implicit-def: $vgpr82
	s_or_saveexec_b32 s29, s29
	v_mov_b32_e32 v70, s17
	s_xor_b32 exec_lo, exec_lo, s29
	s_cbranch_execz .LBB4_5202
.LBB4_5345:                             ;   in Loop: Header=BB4_4976 Depth=3
	v_cmp_ne_u16_e32 vcc_lo, 0, v82
	v_mov_b32_e32 v70, 0
	s_and_not1_b32 s13, s13, exec_lo
	s_and_b32 s17, vcc_lo, exec_lo
	s_delay_alu instid0(SALU_CYCLE_1)
	s_or_b32 s13, s13, s17
	s_or_b32 exec_lo, exec_lo, s29
	s_and_saveexec_b32 s17, s13
	s_cbranch_execnz .LBB4_5203
	s_branch .LBB4_5204
.LBB4_5346:                             ;   in Loop: Header=BB4_4976 Depth=3
	s_mov_b32 s13, -1
	s_mov_b32 s30, exec_lo
                                        ; implicit-def: $sgpr17
	v_cmpx_eq_u16_e32 0x80, v82
; %bb.5347:                             ;   in Loop: Header=BB4_4976 Depth=3
	s_mov_b32 s17, 0x7f800001
	s_xor_b32 s13, exec_lo, -1
; %bb.5348:                             ;   in Loop: Header=BB4_4976 Depth=3
	s_or_b32 exec_lo, exec_lo, s30
	s_delay_alu instid0(SALU_CYCLE_1)
	s_and_b32 s13, s13, exec_lo
                                        ; implicit-def: $vgpr82
	s_or_saveexec_b32 s29, s29
	v_mov_b32_e32 v22, s17
	s_xor_b32 exec_lo, exec_lo, s29
	s_cbranch_execz .LBB4_5206
.LBB4_5349:                             ;   in Loop: Header=BB4_4976 Depth=3
	v_cmp_ne_u16_e32 vcc_lo, 0, v82
	v_mov_b32_e32 v22, 0
	s_and_not1_b32 s13, s13, exec_lo
	s_and_b32 s17, vcc_lo, exec_lo
	s_delay_alu instid0(SALU_CYCLE_1)
	s_or_b32 s13, s13, s17
	s_or_b32 exec_lo, exec_lo, s29
	s_and_saveexec_b32 s17, s13
	s_cbranch_execnz .LBB4_5207
	s_branch .LBB4_5208
.LBB4_5350:                             ;   in Loop: Header=BB4_4976 Depth=3
	s_mov_b32 s13, -1
	s_mov_b32 s30, exec_lo
                                        ; implicit-def: $sgpr17
	v_cmpx_eq_u16_e32 0x80, v70
; %bb.5351:                             ;   in Loop: Header=BB4_4976 Depth=3
	s_mov_b32 s17, 0x7f800001
	s_xor_b32 s13, exec_lo, -1
; %bb.5352:                             ;   in Loop: Header=BB4_4976 Depth=3
	s_or_b32 exec_lo, exec_lo, s30
	s_delay_alu instid0(SALU_CYCLE_1)
	s_and_b32 s13, s13, exec_lo
                                        ; implicit-def: $vgpr70
	s_or_saveexec_b32 s29, s29
	v_mov_b32_e32 v22, s17
	s_xor_b32 exec_lo, exec_lo, s29
	s_cbranch_execz .LBB4_5218
.LBB4_5353:                             ;   in Loop: Header=BB4_4976 Depth=3
	v_cmp_ne_u16_e32 vcc_lo, 0, v70
	v_mov_b32_e32 v22, 0
	s_and_not1_b32 s13, s13, exec_lo
	s_and_b32 s17, vcc_lo, exec_lo
	s_delay_alu instid0(SALU_CYCLE_1)
	s_or_b32 s13, s13, s17
	s_or_b32 exec_lo, exec_lo, s29
	s_and_saveexec_b32 s17, s13
	s_cbranch_execnz .LBB4_5219
	s_branch .LBB4_5220
.LBB4_5354:                             ;   in Loop: Header=BB4_4976 Depth=3
	s_mov_b32 s13, -1
	s_mov_b32 s30, exec_lo
                                        ; implicit-def: $sgpr17
	v_cmpx_eq_u16_e32 0x80, v70
; %bb.5355:                             ;   in Loop: Header=BB4_4976 Depth=3
	s_mov_b32 s17, 0x7f800001
	s_xor_b32 s13, exec_lo, -1
; %bb.5356:                             ;   in Loop: Header=BB4_4976 Depth=3
	s_or_b32 exec_lo, exec_lo, s30
	s_delay_alu instid0(SALU_CYCLE_1)
	s_and_b32 s13, s13, exec_lo
                                        ; implicit-def: $vgpr70
	s_or_saveexec_b32 s29, s29
	v_mov_b32_e32 v19, s17
	s_xor_b32 exec_lo, exec_lo, s29
	s_cbranch_execz .LBB4_5222
.LBB4_5357:                             ;   in Loop: Header=BB4_4976 Depth=3
	v_cmp_ne_u16_e32 vcc_lo, 0, v70
	v_mov_b32_e32 v19, 0
	s_and_not1_b32 s13, s13, exec_lo
	s_and_b32 s17, vcc_lo, exec_lo
	s_delay_alu instid0(SALU_CYCLE_1)
	s_or_b32 s13, s13, s17
	s_or_b32 exec_lo, exec_lo, s29
	s_and_saveexec_b32 s17, s13
	s_cbranch_execnz .LBB4_5223
	s_branch .LBB4_5224
.LBB4_5358:                             ;   in Loop: Header=BB4_2119 Depth=2
	s_or_b32 exec_lo, exec_lo, s16
.LBB4_5359:                             ;   in Loop: Header=BB4_2119 Depth=2
	s_delay_alu instid0(SALU_CYCLE_1) | instskip(SKIP_2) | instid1(VALU_DEP_1)
	s_or_b32 exec_lo, exec_lo, s15
	v_lshlrev_b32_e32 v8, 9, v17
	s_mov_b32 s15, exec_lo
	v_cmpx_ne_u32_e64 v15, v8
	s_cbranch_execz .LBB4_5388
; %bb.5360:                             ;   in Loop: Header=BB4_2119 Depth=2
	v_ashrrev_i32_e32 v9, 31, v16
	v_lshlrev_b32_e32 v2, 5, v2
	s_delay_alu instid0(VALU_DEP_2) | instskip(NEXT) | instid1(VALU_DEP_1)
	v_lshrrev_b32_e32 v9, 27, v9
	v_add_nc_u32_e32 v9, v16, v9
	s_delay_alu instid0(VALU_DEP_1) | instskip(NEXT) | instid1(VALU_DEP_1)
	v_and_b32_e32 v9, 0xffffffe0, v9
	v_sub_nc_u32_e32 v9, v16, v9
	s_delay_alu instid0(VALU_DEP_1) | instskip(NEXT) | instid1(VALU_DEP_1)
	v_sub_nc_u32_e32 v2, v9, v2
	v_add_nc_u32_e32 v8, v8, v2
	s_delay_alu instid0(VALU_DEP_1) | instskip(NEXT) | instid1(VALU_DEP_1)
	v_sub_nc_u32_e32 v2, v15, v8
	v_cmp_lt_i32_e32 vcc_lo, 0, v2
	s_and_b32 exec_lo, exec_lo, vcc_lo
	s_cbranch_execz .LBB4_5388
; %bb.5361:                             ;   in Loop: Header=BB4_2119 Depth=2
	s_cbranch_execnz .LBB4_6513
; %bb.5362:                             ;   in Loop: Header=BB4_2119 Depth=2
	ds_load_b128 v[9:12], v0
	ds_load_b64 v[15:16], v0
	v_add_nc_u32_e32 v13, v8, v14
	s_mov_b32 s16, 0
	s_delay_alu instid0(VALU_DEP_1) | instskip(SKIP_2) | instid1(VALU_DEP_2)
	v_ashrrev_i32_e32 v14, 31, v13
	s_waitcnt lgkmcnt(1)
	v_add_co_u32 v8, vcc_lo, v9, v13
	v_add_co_ci_u32_e32 v9, vcc_lo, v10, v14, vcc_lo
	v_add_co_u32 v10, vcc_lo, v11, v13
	v_add_co_ci_u32_e32 v11, vcc_lo, v12, v14, vcc_lo
	s_waitcnt lgkmcnt(0)
	v_add_co_u32 v12, vcc_lo, v15, v13
	v_add_co_ci_u32_e32 v13, vcc_lo, v16, v14, vcc_lo
	s_branch .LBB4_5366
.LBB4_5363:                             ;   in Loop: Header=BB4_5366 Depth=3
	s_or_b32 exec_lo, exec_lo, s13
	s_delay_alu instid0(VALU_DEP_1) | instskip(NEXT) | instid1(VALU_DEP_2)
	v_lshrrev_b32_e32 v16, 20, v16
	v_cmp_gt_i32_e32 vcc_lo, 16, v15
	v_min_i32_e32 v17, 15, v15
	v_lshrrev_b32_e32 v14, 24, v14
	s_delay_alu instid0(VALU_DEP_2) | instskip(NEXT) | instid1(VALU_DEP_2)
	v_dual_cndmask_b32 v16, 7, v16 :: v_dual_lshlrev_b32 v17, 3, v17
	v_and_b32_e32 v14, 0x80, v14
	s_delay_alu instid0(VALU_DEP_2) | instskip(NEXT) | instid1(VALU_DEP_1)
	v_or_b32_e32 v15, v15, v16
	v_cmp_ne_u32_e32 vcc_lo, 0, v15
	v_and_b32_e32 v18, 7, v16
	s_delay_alu instid0(VALU_DEP_1) | instskip(NEXT) | instid1(VALU_DEP_1)
	v_or3_b32 v14, v17, v14, v18
	v_cndmask_b32_e32 v15, 0, v14, vcc_lo
.LBB4_5364:                             ;   in Loop: Header=BB4_5366 Depth=3
	s_or_b32 exec_lo, exec_lo, s29
.LBB4_5365:                             ;   in Loop: Header=BB4_5366 Depth=3
	s_delay_alu instid0(SALU_CYCLE_1)
	s_or_b32 exec_lo, exec_lo, s17
	v_add_co_u32 v8, vcc_lo, v8, v128
	v_sub_nc_u32_e32 v2, v2, v98
	v_add_co_ci_u32_e32 v9, vcc_lo, v9, v129, vcc_lo
	v_add_co_u32 v10, vcc_lo, v10, v128
	v_add_co_ci_u32_e32 v11, vcc_lo, v11, v129, vcc_lo
	flat_store_b8 v[12:13], v15 glc slc dlc
	v_cmp_gt_i32_e32 vcc_lo, 1, v2
	v_add_co_u32 v12, s13, v12, v128
	s_delay_alu instid0(VALU_DEP_1) | instskip(SKIP_1) | instid1(SALU_CYCLE_1)
	v_add_co_ci_u32_e64 v13, s13, v13, v129, s13
	s_or_b32 s16, vcc_lo, s16
	s_and_not1_b32 exec_lo, exec_lo, s16
	s_cbranch_execz .LBB4_5388
.LBB4_5366:                             ;   Parent Loop BB4_51 Depth=1
                                        ;     Parent Loop BB4_2119 Depth=2
                                        ; =>    This Inner Loop Header: Depth=3
	flat_load_u8 v16, v[8:9] slc dlc
	flat_load_u8 v14, v[10:11] slc dlc
	s_mov_b32 s13, 0
	s_mov_b32 s29, exec_lo
                                        ; implicit-def: $sgpr17
	s_waitcnt vmcnt(1) lgkmcnt(1)
	v_cmpx_lt_i16_e32 0x7f, v16
	s_xor_b32 s29, exec_lo, s29
	s_cbranch_execnz .LBB4_5380
; %bb.5367:                             ;   in Loop: Header=BB4_5366 Depth=3
	s_or_saveexec_b32 s29, s29
	v_mov_b32_e32 v15, s17
	s_xor_b32 exec_lo, exec_lo, s29
	s_cbranch_execnz .LBB4_5383
.LBB4_5368:                             ;   in Loop: Header=BB4_5366 Depth=3
	s_or_b32 exec_lo, exec_lo, s29
	s_and_saveexec_b32 s17, s13
	s_cbranch_execz .LBB4_5370
.LBB4_5369:                             ;   in Loop: Header=BB4_5366 Depth=3
	v_and_b32_e32 v15, 0xffff, v16
	s_delay_alu instid0(VALU_DEP_1) | instskip(NEXT) | instid1(VALU_DEP_1)
	v_and_b32_e32 v17, 7, v15
	v_clz_i32_u32_e32 v18, v17
	s_delay_alu instid0(VALU_DEP_1) | instskip(NEXT) | instid1(VALU_DEP_1)
	v_min_u32_e32 v18, 32, v18
	v_subrev_nc_u32_e32 v19, 28, v18
	v_sub_nc_u32_e32 v18, 29, v18
	s_delay_alu instid0(VALU_DEP_2) | instskip(SKIP_1) | instid1(VALU_DEP_2)
	v_lshlrev_b32_e32 v19, v19, v15
	v_bfe_u32 v15, v15, 3, 4
	v_and_b32_e32 v19, 7, v19
	s_delay_alu instid0(VALU_DEP_2) | instskip(SKIP_1) | instid1(VALU_DEP_1)
	v_cmp_eq_u32_e32 vcc_lo, 0, v15
	v_dual_cndmask_b32 v15, v15, v18 :: v_dual_lshlrev_b32 v16, 24, v16
	v_dual_cndmask_b32 v17, v17, v19 :: v_dual_and_b32 v16, 0x80000000, v16
	s_delay_alu instid0(VALU_DEP_2) | instskip(NEXT) | instid1(VALU_DEP_2)
	v_lshl_add_u32 v15, v15, 23, 0x3b800000
	v_lshlrev_b32_e32 v17, 20, v17
	s_delay_alu instid0(VALU_DEP_1)
	v_or3_b32 v15, v16, v15, v17
.LBB4_5370:                             ;   in Loop: Header=BB4_5366 Depth=3
	s_or_b32 exec_lo, exec_lo, s17
	s_waitcnt vmcnt(0) lgkmcnt(0)
	v_and_b32_e32 v17, 0xff, v14
	s_mov_b32 s13, 0
	s_mov_b32 s29, exec_lo
                                        ; implicit-def: $sgpr17
	s_delay_alu instid0(VALU_DEP_1)
	v_cmpx_lt_i16_e32 0x7f, v17
	s_xor_b32 s29, exec_lo, s29
	s_cbranch_execnz .LBB4_5384
; %bb.5371:                             ;   in Loop: Header=BB4_5366 Depth=3
	s_or_saveexec_b32 s29, s29
	v_mov_b32_e32 v16, s17
	s_xor_b32 exec_lo, exec_lo, s29
	s_cbranch_execnz .LBB4_5387
.LBB4_5372:                             ;   in Loop: Header=BB4_5366 Depth=3
	s_or_b32 exec_lo, exec_lo, s29
	s_and_saveexec_b32 s17, s13
	s_cbranch_execz .LBB4_5374
.LBB4_5373:                             ;   in Loop: Header=BB4_5366 Depth=3
	v_lshrrev_b16 v19, 3, v14
	s_delay_alu instid0(VALU_DEP_1) | instskip(NEXT) | instid1(VALU_DEP_1)
	v_and_b32_e32 v19, 15, v19
	v_cmp_eq_u32_e32 vcc_lo, 0, v19
	v_and_b32_e32 v16, 7, v14
	s_delay_alu instid0(VALU_DEP_1) | instskip(NEXT) | instid1(VALU_DEP_1)
	v_clz_i32_u32_e32 v17, v16
	v_min_u32_e32 v17, 32, v17
	s_delay_alu instid0(VALU_DEP_1) | instskip(SKIP_1) | instid1(VALU_DEP_1)
	v_subrev_nc_u32_e32 v18, 28, v17
	v_sub_nc_u32_e32 v17, 29, v17
	v_dual_cndmask_b32 v17, v19, v17 :: v_dual_lshlrev_b32 v18, v18, v14
	v_lshlrev_b32_e32 v14, 24, v14
	s_delay_alu instid0(VALU_DEP_2) | instskip(NEXT) | instid1(VALU_DEP_3)
	v_and_b32_e32 v18, 7, v18
	v_lshl_add_u32 v17, v17, 23, 0x3b800000
	s_delay_alu instid0(VALU_DEP_3) | instskip(NEXT) | instid1(VALU_DEP_3)
	v_and_b32_e32 v14, 0x80000000, v14
	v_cndmask_b32_e32 v16, v16, v18, vcc_lo
	s_delay_alu instid0(VALU_DEP_1) | instskip(NEXT) | instid1(VALU_DEP_1)
	v_lshlrev_b32_e32 v16, 20, v16
	v_or3_b32 v16, v14, v17, v16
.LBB4_5374:                             ;   in Loop: Header=BB4_5366 Depth=3
	s_or_b32 exec_lo, exec_lo, s17
	s_delay_alu instid0(VALU_DEP_1) | instskip(NEXT) | instid1(VALU_DEP_1)
	v_add_f32_e32 v14, v15, v16
	v_and_b32_e32 v15, 0x7f800000, v14
	s_delay_alu instid0(VALU_DEP_1)
	v_cmp_ne_u32_e32 vcc_lo, 0x7f800000, v15
	v_mov_b32_e32 v15, 0x80
	s_and_saveexec_b32 s17, vcc_lo
	s_cbranch_execz .LBB4_5365
; %bb.5375:                             ;   in Loop: Header=BB4_5366 Depth=3
	v_mov_b32_e32 v15, 0
	s_mov_b32 s29, exec_lo
	v_cmpx_ne_u32_e32 0, v14
	s_cbranch_execz .LBB4_5364
; %bb.5376:                             ;   in Loop: Header=BB4_5366 Depth=3
	v_bfe_u32 v15, v14, 23, 8
	s_delay_alu instid0(VALU_DEP_1) | instskip(SKIP_1) | instid1(VALU_DEP_2)
	v_sub_nc_u32_e32 v17, 0x78, v15
	v_cmp_gt_u32_e32 vcc_lo, 0x79, v15
	v_dual_cndmask_b32 v17, 0, v17 :: v_dual_and_b32 v16, 0x7fffff, v14
	s_delay_alu instid0(VALU_DEP_1) | instskip(SKIP_2) | instid1(VALU_DEP_4)
	v_or_b32_e32 v18, 0x800000, v16
	v_cmp_eq_u32_e32 vcc_lo, 0, v15
	v_add_nc_u32_e32 v15, 0xffffff89, v15
	v_cndmask_b32_e64 v17, v17, 0x77, vcc_lo
	s_delay_alu instid0(VALU_DEP_4) | instskip(NEXT) | instid1(VALU_DEP_3)
	v_cndmask_b32_e32 v16, v18, v16, vcc_lo
	v_cndmask_b32_e64 v15, v15, 0xffffff8a, vcc_lo
	s_delay_alu instid0(VALU_DEP_3) | instskip(NEXT) | instid1(VALU_DEP_3)
	v_lshl_add_u32 v18, 0x100000, v17, -1
	v_lshrrev_b32_e32 v19, v17, v16
	v_lshlrev_b32_e64 v21, v17, 0x80000
	s_delay_alu instid0(VALU_DEP_4) | instskip(NEXT) | instid1(VALU_DEP_4)
	v_add_nc_u32_e32 v17, v17, v15
	v_and_b32_e32 v16, v18, v16
	s_delay_alu instid0(VALU_DEP_4) | instskip(NEXT) | instid1(VALU_DEP_2)
	v_bfe_u32 v20, v19, 20, 1
	v_cmp_eq_u32_e64 s13, v16, v21
	s_delay_alu instid0(VALU_DEP_2) | instskip(NEXT) | instid1(VALU_DEP_1)
	v_add_nc_u32_e32 v18, -1, v20
	v_cndmask_b32_e64 v16, 0, v18, s13
	v_lshrrev_b32_e32 v18, 23, v19
	s_mov_b32 s13, exec_lo
	s_delay_alu instid0(VALU_DEP_2) | instskip(NEXT) | instid1(VALU_DEP_2)
	v_add_nc_u32_e32 v16, v16, v19
	v_xor_b32_e32 v18, 1, v18
	s_delay_alu instid0(VALU_DEP_2) | instskip(NEXT) | instid1(VALU_DEP_1)
	v_and_b32_e32 v15, 0xfffff, v16
	v_add_nc_u32_e32 v16, v15, v19
                                        ; implicit-def: $vgpr15
	s_delay_alu instid0(VALU_DEP_3)
	v_cmpx_ne_u32_e64 v17, v18
	s_xor_b32 s13, exec_lo, s13
; %bb.5377:                             ;   in Loop: Header=BB4_5366 Depth=3
	s_delay_alu instid0(VALU_DEP_2) | instskip(SKIP_2) | instid1(VALU_DEP_2)
	v_cmp_lt_u32_e32 vcc_lo, 0xffffff, v16
	v_sub_nc_u32_e32 v15, v17, v18
	v_cndmask_b32_e64 v17, 0, 1, vcc_lo
	v_add_co_ci_u32_e32 v15, vcc_lo, 0, v15, vcc_lo
	s_delay_alu instid0(VALU_DEP_2)
	v_lshrrev_b32_e32 v16, v17, v16
; %bb.5378:                             ;   in Loop: Header=BB4_5366 Depth=3
	s_and_not1_saveexec_b32 s13, s13
	s_cbranch_execz .LBB4_5363
; %bb.5379:                             ;   in Loop: Header=BB4_5366 Depth=3
	s_delay_alu instid0(VALU_DEP_1)
	v_bfe_u32 v15, v16, 23, 1
	s_branch .LBB4_5363
.LBB4_5380:                             ;   in Loop: Header=BB4_5366 Depth=3
	s_mov_b32 s13, -1
	s_mov_b32 s30, exec_lo
                                        ; implicit-def: $sgpr17
	v_cmpx_eq_u16_e32 0x80, v16
; %bb.5381:                             ;   in Loop: Header=BB4_5366 Depth=3
	s_mov_b32 s17, 0x7f800001
	s_xor_b32 s13, exec_lo, -1
; %bb.5382:                             ;   in Loop: Header=BB4_5366 Depth=3
	s_or_b32 exec_lo, exec_lo, s30
	s_delay_alu instid0(SALU_CYCLE_1)
	s_and_b32 s13, s13, exec_lo
	s_or_saveexec_b32 s29, s29
	v_mov_b32_e32 v15, s17
	s_xor_b32 exec_lo, exec_lo, s29
	s_cbranch_execz .LBB4_5368
.LBB4_5383:                             ;   in Loop: Header=BB4_5366 Depth=3
	v_cmp_ne_u16_e32 vcc_lo, 0, v16
	v_mov_b32_e32 v15, 0
	s_and_not1_b32 s13, s13, exec_lo
	s_and_b32 s17, vcc_lo, exec_lo
	s_delay_alu instid0(SALU_CYCLE_1)
	s_or_b32 s13, s13, s17
	s_or_b32 exec_lo, exec_lo, s29
	s_and_saveexec_b32 s17, s13
	s_cbranch_execnz .LBB4_5369
	s_branch .LBB4_5370
.LBB4_5384:                             ;   in Loop: Header=BB4_5366 Depth=3
	s_mov_b32 s13, -1
	s_mov_b32 s30, exec_lo
                                        ; implicit-def: $sgpr17
	v_cmpx_eq_u16_e32 0x80, v17
; %bb.5385:                             ;   in Loop: Header=BB4_5366 Depth=3
	s_mov_b32 s17, 0x7f800001
	s_xor_b32 s13, exec_lo, -1
; %bb.5386:                             ;   in Loop: Header=BB4_5366 Depth=3
	s_or_b32 exec_lo, exec_lo, s30
	s_delay_alu instid0(SALU_CYCLE_1)
	s_and_b32 s13, s13, exec_lo
                                        ; implicit-def: $vgpr17
	s_or_saveexec_b32 s29, s29
	v_mov_b32_e32 v16, s17
	s_xor_b32 exec_lo, exec_lo, s29
	s_cbranch_execz .LBB4_5372
.LBB4_5387:                             ;   in Loop: Header=BB4_5366 Depth=3
	v_cmp_ne_u16_e32 vcc_lo, 0, v17
	v_mov_b32_e32 v16, 0
	s_and_not1_b32 s13, s13, exec_lo
	s_and_b32 s17, vcc_lo, exec_lo
	s_delay_alu instid0(SALU_CYCLE_1)
	s_or_b32 s13, s13, s17
	s_or_b32 exec_lo, exec_lo, s29
	s_and_saveexec_b32 s17, s13
	s_cbranch_execnz .LBB4_5373
	s_branch .LBB4_5374
.LBB4_5388:                             ;   in Loop: Header=BB4_2119 Depth=2
	s_or_b32 exec_lo, exec_lo, s15
.LBB4_5389:                             ;   in Loop: Header=BB4_2119 Depth=2
	s_delay_alu instid0(SALU_CYCLE_1)
	s_or_b32 exec_lo, exec_lo, s14
.LBB4_5390:                             ;   in Loop: Header=BB4_2119 Depth=2
	s_and_saveexec_b32 s13, s3
	s_cbranch_execz .LBB4_5412
; %bb.5391:                             ;   in Loop: Header=BB4_2119 Depth=2
	s_and_saveexec_b32 s14, s4
	s_delay_alu instid0(SALU_CYCLE_1)
	s_xor_b32 s14, exec_lo, s14
	s_cbranch_execz .LBB4_5409
; %bb.5392:                             ;   in Loop: Header=BB4_2119 Depth=2
	s_and_saveexec_b32 s15, s1
	s_cbranch_execz .LBB4_5408
; %bb.5393:                             ;   in Loop: Header=BB4_2119 Depth=2
	s_mov_b32 s17, exec_lo
	s_mov_b32 s16, exec_lo
	v_mbcnt_lo_u32_b32 v2, s17, 0
	s_waitcnt lgkmcnt(0)
	s_waitcnt_vscnt null, 0x0
	buffer_gl1_inv
	buffer_gl0_inv
	v_cmpx_eq_u32_e32 0, v2
	s_cbranch_execz .LBB4_5395
; %bb.5394:                             ;   in Loop: Header=BB4_2119 Depth=2
	s_bcnt1_i32_b32 s17, s17
	s_delay_alu instid0(SALU_CYCLE_1)
	v_mov_b32_e32 v2, s17
	ds_add_u64 v0, v[2:3]
	s_cbranch_execnz .LBB4_6417
.LBB4_5395:                             ;   in Loop: Header=BB4_2119 Depth=2
	s_or_b32 exec_lo, exec_lo, s16
	s_cbranch_execnz .LBB4_6389
; %bb.5396:                             ;   in Loop: Header=BB4_2119 Depth=2
	ds_load_b64 v[8:9], v0
	v_add_co_u32 v48, vcc_lo, v48, v97
	v_add_co_ci_u32_e32 v49, vcc_lo, 0, v49, vcc_lo
	s_mov_b32 s16, exec_lo
	s_waitcnt lgkmcnt(0)
	s_delay_alu instid0(VALU_DEP_1)
	v_cmpx_lt_u64_e64 v[8:9], v[48:49]
	s_cbranch_execz .LBB4_5407
; %bb.5397:                             ;   in Loop: Header=BB4_2119 Depth=2
	s_mov_b32 s17, 0
	s_mov_b32 s31, 0
                                        ; implicit-def: $sgpr29
                                        ; implicit-def: $sgpr30
	s_branch .LBB4_5399
.LBB4_5398:                             ;   in Loop: Header=BB4_5399 Depth=3
	s_or_b32 exec_lo, exec_lo, s35
	s_delay_alu instid0(SALU_CYCLE_1) | instskip(NEXT) | instid1(SALU_CYCLE_1)
	s_and_b32 vcc_lo, exec_lo, vcc_lo
	s_or_b32 s17, vcc_lo, s17
	s_and_not1_b32 s29, s29, exec_lo
	s_and_b32 vcc_lo, s30, exec_lo
	s_delay_alu instid0(SALU_CYCLE_1)
	s_or_b32 s29, s29, vcc_lo
	s_and_not1_b32 exec_lo, exec_lo, s17
	s_cbranch_execz .LBB4_5405
.LBB4_5399:                             ;   Parent Loop BB4_51 Depth=1
                                        ;     Parent Loop BB4_2119 Depth=2
                                        ; =>    This Inner Loop Header: Depth=3
	s_add_i32 s31, s31, 1
                                        ; implicit-def: $sgpr35
	s_delay_alu instid0(SALU_CYCLE_1) | instskip(SKIP_1) | instid1(SALU_CYCLE_1)
	s_cmpk_lg_i32 s31, 0x2710
	s_cselect_b32 s34, -1, 0
	s_and_b32 vcc_lo, exec_lo, s34
	s_cbranch_vccz .LBB4_5403
.LBB4_5400:                             ;   in Loop: Header=BB4_5399 Depth=3
	s_and_not1_b32 s30, s30, exec_lo
	s_and_b32 s35, s35, exec_lo
	s_mov_b32 vcc_lo, -1
	s_or_b32 s30, s30, s35
	s_and_saveexec_b32 s35, s34
	s_cbranch_execz .LBB4_5398
; %bb.5401:                             ;   in Loop: Header=BB4_5399 Depth=3
	s_sleep 1
	s_cbranch_execnz .LBB4_6469
; %bb.5402:                             ;   in Loop: Header=BB4_5399 Depth=3
	ds_load_b64 v[8:9], v0
	s_and_not1_b32 s30, s30, exec_lo
	s_waitcnt lgkmcnt(0)
	v_cmp_ge_u64_e32 vcc_lo, v[8:9], v[48:49]
	s_or_not1_b32 vcc_lo, vcc_lo, exec_lo
	s_branch .LBB4_5398
.LBB4_5403:                             ;   in Loop: Header=BB4_5399 Depth=3
	s_cbranch_execnz .LBB4_6487
; %bb.5404:                             ;   in Loop: Header=BB4_5399 Depth=3
	ds_load_b64 v[8:9], v0
	s_and_not1_b32 s34, s34, exec_lo
	s_mov_b32 s31, 0
	s_mov_b32 s35, -1
	s_waitcnt lgkmcnt(0)
	flat_load_b32 v2, v[8:9] glc
	s_waitcnt vmcnt(0) lgkmcnt(0)
	buffer_gl1_inv
	buffer_gl0_inv
	v_cmp_eq_u32_e32 vcc_lo, 0, v2
	s_and_b32 vcc_lo, vcc_lo, exec_lo
	s_delay_alu instid0(SALU_CYCLE_1)
	s_or_b32 s34, s34, vcc_lo
	s_branch .LBB4_5400
.LBB4_5405:                             ;   in Loop: Header=BB4_2119 Depth=2
	s_or_b32 exec_lo, exec_lo, s17
	s_and_saveexec_b32 s17, s29
	s_delay_alu instid0(SALU_CYCLE_1)
	s_xor_b32 s17, exec_lo, s17
	s_cbranch_execz .LBB4_5407
; %bb.5406:                             ;   in Loop: Header=BB4_2119 Depth=2
	ds_store_b32 v0, v134
	s_cbranch_execnz .LBB4_6593
.LBB4_5407:                             ;   in Loop: Header=BB4_2119 Depth=2
	s_or_b32 exec_lo, exec_lo, s16
	;;#ASMSTART
	s_wakeup
	;;#ASMEND
.LBB4_5408:                             ;   in Loop: Header=BB4_2119 Depth=2
	s_or_b32 exec_lo, exec_lo, s15
.LBB4_5409:                             ;   in Loop: Header=BB4_2119 Depth=2
	s_and_not1_saveexec_b32 s14, s14
	s_cbranch_execz .LBB4_5411
; %bb.5410:                             ;   in Loop: Header=BB4_2119 Depth=2
	s_waitcnt lgkmcnt(0)
	s_waitcnt_vscnt null, 0x0
	buffer_gl1_inv
	buffer_gl0_inv
	s_barrier
.LBB4_5411:                             ;   in Loop: Header=BB4_2119 Depth=2
	s_or_b32 exec_lo, exec_lo, s14
.LBB4_5412:                             ;   in Loop: Header=BB4_2119 Depth=2
	s_delay_alu instid0(SALU_CYCLE_1) | instskip(SKIP_1) | instid1(SALU_CYCLE_1)
	s_or_b32 exec_lo, exec_lo, s13
                                        ; implicit-def: $vgpr2
	s_and_saveexec_b32 s13, s7
	s_xor_b32 s14, exec_lo, s13
	s_cbranch_execz .LBB4_5416
; %bb.5413:                             ;   in Loop: Header=BB4_2119 Depth=2
	v_and_b32_e32 v2, 16, v30
	v_cmp_lt_i32_e32 vcc_lo, 0, v148
	s_delay_alu instid0(VALU_DEP_2) | instskip(SKIP_1) | instid1(VALU_DEP_2)
	v_cmp_ne_u32_e64 s13, 0, v2
	v_and_b32_e32 v2, 16, v30
	s_and_b32 s15, s13, vcc_lo
	s_delay_alu instid0(SALU_CYCLE_1)
	s_and_saveexec_b32 s13, s15
	s_cbranch_execz .LBB4_5415
; %bb.5414:                             ;   in Loop: Header=BB4_2119 Depth=2
	v_mov_b32_e32 v2, 1
	s_waitcnt lgkmcnt(0)
	s_waitcnt_vscnt null, 0x0
	buffer_gl1_inv
	buffer_gl0_inv
.LBB4_5415:                             ;   in Loop: Header=BB4_2119 Depth=2
	s_or_b32 exec_lo, exec_lo, s13
.LBB4_5416:                             ;   in Loop: Header=BB4_2119 Depth=2
	s_and_not1_saveexec_b32 s13, s14
	s_cbranch_execz .LBB4_5438
; %bb.5417:                             ;   in Loop: Header=BB4_2119 Depth=2
	s_and_saveexec_b32 s14, s4
	s_delay_alu instid0(SALU_CYCLE_1)
	s_xor_b32 s14, exec_lo, s14
	s_cbranch_execz .LBB4_5435
; %bb.5418:                             ;   in Loop: Header=BB4_2119 Depth=2
	s_and_saveexec_b32 s15, s1
	s_cbranch_execz .LBB4_5434
; %bb.5419:                             ;   in Loop: Header=BB4_2119 Depth=2
	s_mov_b32 s17, exec_lo
	s_mov_b32 s16, exec_lo
	v_mbcnt_lo_u32_b32 v2, s17, 0
	;;#ASMSTART
	s_waitcnt lgkmcnt(0) vmcnt(0)
	;;#ASMEND
	s_delay_alu instid0(VALU_DEP_1)
	v_cmpx_eq_u32_e32 0, v2
	s_cbranch_execz .LBB4_5421
; %bb.5420:                             ;   in Loop: Header=BB4_2119 Depth=2
	s_bcnt1_i32_b32 s17, s17
	s_delay_alu instid0(SALU_CYCLE_1)
	v_mov_b32_e32 v2, s17
	ds_add_u64 v0, v[2:3]
	s_cbranch_execnz .LBB4_6421
.LBB4_5421:                             ;   in Loop: Header=BB4_2119 Depth=2
	s_or_b32 exec_lo, exec_lo, s16
	s_cbranch_execnz .LBB4_6397
; %bb.5422:                             ;   in Loop: Header=BB4_2119 Depth=2
	ds_load_b64 v[8:9], v0
	v_add_co_u32 v48, vcc_lo, v48, v97
	v_add_co_ci_u32_e32 v49, vcc_lo, 0, v49, vcc_lo
	s_mov_b32 s16, exec_lo
	s_waitcnt lgkmcnt(0)
	s_delay_alu instid0(VALU_DEP_1)
	v_cmpx_lt_u64_e64 v[8:9], v[48:49]
	s_cbranch_execz .LBB4_5433
; %bb.5423:                             ;   in Loop: Header=BB4_2119 Depth=2
	s_mov_b32 s17, 0
	s_mov_b32 s31, 0
                                        ; implicit-def: $sgpr29
                                        ; implicit-def: $sgpr30
	s_branch .LBB4_5425
.LBB4_5424:                             ;   in Loop: Header=BB4_5425 Depth=3
	s_or_b32 exec_lo, exec_lo, s35
	s_delay_alu instid0(SALU_CYCLE_1) | instskip(NEXT) | instid1(SALU_CYCLE_1)
	s_and_b32 vcc_lo, exec_lo, vcc_lo
	s_or_b32 s17, vcc_lo, s17
	s_and_not1_b32 s29, s29, exec_lo
	s_and_b32 vcc_lo, s30, exec_lo
	s_delay_alu instid0(SALU_CYCLE_1)
	s_or_b32 s29, s29, vcc_lo
	s_and_not1_b32 exec_lo, exec_lo, s17
	s_cbranch_execz .LBB4_5431
.LBB4_5425:                             ;   Parent Loop BB4_51 Depth=1
                                        ;     Parent Loop BB4_2119 Depth=2
                                        ; =>    This Inner Loop Header: Depth=3
	s_add_i32 s31, s31, 1
                                        ; implicit-def: $sgpr35
	s_delay_alu instid0(SALU_CYCLE_1) | instskip(SKIP_1) | instid1(SALU_CYCLE_1)
	s_cmpk_lg_i32 s31, 0x2710
	s_cselect_b32 s34, -1, 0
	s_and_b32 vcc_lo, exec_lo, s34
	s_cbranch_vccz .LBB4_5429
.LBB4_5426:                             ;   in Loop: Header=BB4_5425 Depth=3
	s_and_not1_b32 s30, s30, exec_lo
	s_and_b32 s35, s35, exec_lo
	s_mov_b32 vcc_lo, -1
	s_or_b32 s30, s30, s35
	s_and_saveexec_b32 s35, s34
	s_cbranch_execz .LBB4_5424
; %bb.5427:                             ;   in Loop: Header=BB4_5425 Depth=3
	s_sleep 1
	s_cbranch_execnz .LBB4_6479
; %bb.5428:                             ;   in Loop: Header=BB4_5425 Depth=3
	ds_load_b64 v[8:9], v0
	s_and_not1_b32 s30, s30, exec_lo
	s_waitcnt lgkmcnt(0)
	v_cmp_ge_u64_e32 vcc_lo, v[8:9], v[48:49]
	s_or_not1_b32 vcc_lo, vcc_lo, exec_lo
	s_branch .LBB4_5424
.LBB4_5429:                             ;   in Loop: Header=BB4_5425 Depth=3
	s_cbranch_execnz .LBB4_6495
; %bb.5430:                             ;   in Loop: Header=BB4_5425 Depth=3
	ds_load_b64 v[8:9], v0
	s_and_not1_b32 s34, s34, exec_lo
	s_mov_b32 s31, 0
	s_mov_b32 s35, -1
	s_waitcnt lgkmcnt(0)
	s_waitcnt_vscnt null, 0x0
	flat_load_b32 v2, v[8:9] glc
	s_waitcnt vmcnt(0) lgkmcnt(0)
	buffer_gl1_inv
	buffer_gl0_inv
	v_cmp_eq_u32_e32 vcc_lo, 0, v2
	s_and_b32 vcc_lo, vcc_lo, exec_lo
	s_delay_alu instid0(SALU_CYCLE_1)
	s_or_b32 s34, s34, vcc_lo
	s_branch .LBB4_5426
.LBB4_5431:                             ;   in Loop: Header=BB4_2119 Depth=2
	s_or_b32 exec_lo, exec_lo, s17
	s_and_saveexec_b32 s17, s29
	s_delay_alu instid0(SALU_CYCLE_1)
	s_xor_b32 s17, exec_lo, s17
	s_cbranch_execz .LBB4_5433
; %bb.5432:                             ;   in Loop: Header=BB4_2119 Depth=2
	ds_store_b32 v0, v134
	s_cbranch_execnz .LBB4_6597
.LBB4_5433:                             ;   in Loop: Header=BB4_2119 Depth=2
	s_or_b32 exec_lo, exec_lo, s16
	;;#ASMSTART
	s_wakeup
	;;#ASMEND
.LBB4_5434:                             ;   in Loop: Header=BB4_2119 Depth=2
	s_or_b32 exec_lo, exec_lo, s15
.LBB4_5435:                             ;   in Loop: Header=BB4_2119 Depth=2
	s_and_not1_saveexec_b32 s14, s14
	s_cbranch_execz .LBB4_5437
; %bb.5436:                             ;   in Loop: Header=BB4_2119 Depth=2
	;;#ASMSTART
	s_waitcnt lgkmcnt(0) vmcnt(0)
	;;#ASMEND
	s_waitcnt lgkmcnt(0)
	s_waitcnt_vscnt null, 0x0
	s_barrier
.LBB4_5437:                             ;   in Loop: Header=BB4_2119 Depth=2
	s_or_b32 exec_lo, exec_lo, s14
	v_and_b32_e32 v2, 16, v30
.LBB4_5438:                             ;   in Loop: Header=BB4_2119 Depth=2
	s_or_b32 exec_lo, exec_lo, s13
	s_delay_alu instid0(VALU_DEP_1) | instskip(SKIP_1) | instid1(SALU_CYCLE_1)
	v_cmp_ne_u32_e32 vcc_lo, 0, v2
	s_xor_b32 s13, s10, -1
	s_and_b32 s14, vcc_lo, s13
	s_delay_alu instid0(SALU_CYCLE_1)
	s_and_saveexec_b32 s13, s14
	s_cbranch_execz .LBB4_5440
; %bb.5439:                             ;   in Loop: Header=BB4_2119 Depth=2
	s_waitcnt lgkmcnt(0)
	s_waitcnt_vscnt null, 0x0
	flat_store_b32 v[38:39], v134
.LBB4_5440:                             ;   in Loop: Header=BB4_2119 Depth=2
	s_or_b32 exec_lo, exec_lo, s13
	v_and_b32_e32 v2, 48, v30
	s_mov_b32 s13, exec_lo
	s_delay_alu instid0(VALU_DEP_1)
	v_cmpx_ne_u32_e32 0, v2
	s_cbranch_execz .LBB4_5442
; %bb.5441:                             ;   in Loop: Header=BB4_2119 Depth=2
	v_add_co_u32 v34, vcc_lo, v34, 2
	v_add_co_ci_u32_e32 v35, vcc_lo, 0, v35, vcc_lo
	s_waitcnt lgkmcnt(0)
	s_waitcnt_vscnt null, 0x0
	flat_store_b64 v[32:33], v[34:35]
.LBB4_5442:                             ;   in Loop: Header=BB4_2119 Depth=2
	s_or_b32 exec_lo, exec_lo, s13
	v_add_nc_u32_e32 v145, v68, v145
	v_readlane_b32 s13, v56, 2
	v_readlane_b32 s16, v56, 4
	;; [unrolled: 1-line block ×4, first 2 shown]
	v_cmp_ge_i32_e32 vcc_lo, v145, v71
	s_xor_b32 s13, s13, -1
	v_readlane_b32 s30, v56, 9
	v_readlane_b32 s35, v56, 8
	;; [unrolled: 1-line block ×3, first 2 shown]
	s_or_b32 s13, s13, vcc_lo
	s_mov_b32 s37, 0
	s_and_b32 s14, exec_lo, s13
	v_readlane_b32 s13, v56, 3
	s_or_b32 s16, s14, s16
	v_readlane_b32 s14, v56, 5
	s_mov_b32 s38, 2
	s_mov_b32 s29, s2
	v_mov_b32_e32 v2, s13
	s_and_not1_b32 exec_lo, exec_lo, s16
	s_cbranch_execz .LBB4_5443
; %bb.6865:                             ;   in Loop: Header=BB4_2119 Depth=2
	s_getpc_b64 s[46:47]
.Lpost_getpc206:
	s_add_u32 s46, s46, (.LBB4_2119-.Lpost_getpc206)&4294967295
	s_addc_u32 s47, s47, (.LBB4_2119-.Lpost_getpc206)>>32
	s_setpc_b64 s[46:47]
.LBB4_5443:                             ;   in Loop: Header=BB4_51 Depth=1
	s_or_b32 exec_lo, exec_lo, s16
	v_readlane_b32 s2, v56, 1
.LBB4_5444:                             ;   in Loop: Header=BB4_51 Depth=1
	s_delay_alu instid0(VALU_DEP_1) | instskip(NEXT) | instid1(SALU_CYCLE_1)
	s_or_b32 exec_lo, exec_lo, s2
	s_mov_b32 s15, exec_lo
	v_cmpx_gt_i32_e32 2, v2
	s_cbranch_execz .LBB4_5530
; %bb.5445:                             ;   in Loop: Header=BB4_51 Depth=1
	v_cmp_eq_u32_e64 s13, 0, v2
	s_mov_b32 s16, 0
.LBB4_5446:                             ;   Parent Loop BB4_51 Depth=1
                                        ; =>  This Loop Header: Depth=2
                                        ;       Child Loop BB4_5452 Depth 3
                                        ;       Child Loop BB4_5484 Depth 3
	;; [unrolled: 1-line block ×3, first 2 shown]
	v_and_b32_e32 v2, 12, v30
	s_mov_b32 s17, -1
	s_mov_b32 s2, exec_lo
	s_delay_alu instid0(VALU_DEP_1)
	v_cmpx_ne_u32_e32 0, v2
	s_cbranch_execz .LBB4_5460
; %bb.5447:                             ;   in Loop: Header=BB4_5446 Depth=2
	v_and_b32_e32 v2, 8, v30
	s_delay_alu instid0(VALU_DEP_1) | instskip(SKIP_3) | instid1(VALU_DEP_1)
	v_add_co_u32 v10, vcc_lo, v50, v2
	v_add_co_ci_u32_e32 v11, vcc_lo, 0, v51, vcc_lo
	v_add_co_u32 v8, vcc_lo, v34, 2
	v_add_co_ci_u32_e32 v9, vcc_lo, 0, v35, vcc_lo
	v_cmp_lt_u64_e32 vcc_lo, v[10:11], v[8:9]
	v_mov_b32_e32 v10, 1
	s_and_saveexec_b32 s17, vcc_lo
	s_cbranch_execz .LBB4_5459
; %bb.5448:                             ;   in Loop: Header=BB4_5446 Depth=2
	v_mov_b32_e32 v10, 0
	s_mov_b32 s36, 0
                                        ; implicit-def: $sgpr37
	s_branch .LBB4_5452
.LBB4_5449:                             ;   in Loop: Header=BB4_5452 Depth=3
	s_or_b32 exec_lo, exec_lo, s41
	v_mov_b32_e32 v11, 0
	s_or_not1_b32 s40, s40, exec_lo
.LBB4_5450:                             ;   in Loop: Header=BB4_5452 Depth=3
	s_or_b32 exec_lo, exec_lo, s39
	s_delay_alu instid0(VALU_DEP_1) | instskip(SKIP_2) | instid1(SALU_CYCLE_1)
	v_mov_b32_e32 v10, v11
	s_and_not1_b32 vcc_lo, s37, exec_lo
	s_and_b32 s37, s40, exec_lo
	s_or_b32 s37, vcc_lo, s37
.LBB4_5451:                             ;   in Loop: Header=BB4_5452 Depth=3
	s_or_b32 exec_lo, exec_lo, s38
	s_waitcnt vmcnt(0) lgkmcnt(0)
	v_add_co_u32 v11, vcc_lo, v50, v2
	v_add_co_ci_u32_e32 v12, vcc_lo, 0, v51, vcc_lo
	s_xor_b32 s38, s37, -1
	s_delay_alu instid0(VALU_DEP_1) | instskip(SKIP_1) | instid1(SALU_CYCLE_1)
	v_cmp_ge_u64_e32 vcc_lo, v[11:12], v[8:9]
	s_or_b32 vcc_lo, s38, vcc_lo
	s_and_b32 vcc_lo, exec_lo, vcc_lo
	s_delay_alu instid0(SALU_CYCLE_1) | instskip(NEXT) | instid1(SALU_CYCLE_1)
	s_or_b32 s36, vcc_lo, s36
	s_and_not1_b32 exec_lo, exec_lo, s36
	s_cbranch_execz .LBB4_5458
.LBB4_5452:                             ;   Parent Loop BB4_51 Depth=1
                                        ;     Parent Loop BB4_5446 Depth=2
                                        ; =>    This Inner Loop Header: Depth=3
	s_sleep 1
	flat_load_b64 v[50:51], v[32:33] glc
	v_and_b32_e32 v11, 64, v30
	s_and_not1_b32 s37, s37, exec_lo
	s_mov_b32 s38, exec_lo
	s_delay_alu instid0(VALU_DEP_1)
	v_cmpx_eq_u32_e32 0, v11
	s_cbranch_execz .LBB4_5451
; %bb.5453:                             ;   in Loop: Header=BB4_5452 Depth=3
	v_add_nc_u32_e32 v11, 1, v10
	s_mov_b32 s40, -1
	s_mov_b32 s39, exec_lo
	v_cmpx_lt_i32_e32 0x270e, v10
	s_cbranch_execz .LBB4_5450
; %bb.5454:                             ;   in Loop: Header=BB4_5452 Depth=3
	s_cbranch_execnz .LBB4_6193
; %bb.5455:                             ;   in Loop: Header=BB4_5452 Depth=3
	ds_load_b64 v[10:11], v0
	s_mov_b32 s41, exec_lo
	s_waitcnt vmcnt(0) lgkmcnt(0)
	s_waitcnt_vscnt null, 0x0
	flat_load_b32 v10, v[10:11] glc
	s_waitcnt vmcnt(0) lgkmcnt(0)
	buffer_gl1_inv
	buffer_gl0_inv
	v_cmpx_ne_u32_e32 0, v10
	s_cbranch_execz .LBB4_5449
; %bb.5456:                             ;   in Loop: Header=BB4_5452 Depth=3
	ds_store_b32 v0, v10
	s_cbranch_execnz .LBB4_6247
; %bb.5457:                             ;   in Loop: Header=BB4_5452 Depth=3
	v_or_b32_e32 v30, 64, v30
	s_xor_b32 s40, exec_lo, -1
	s_branch .LBB4_5449
.LBB4_5458:                             ;   in Loop: Header=BB4_5446 Depth=2
	s_or_b32 exec_lo, exec_lo, s36
	v_and_b32_e32 v10, 12, v30
.LBB4_5459:                             ;   in Loop: Header=BB4_5446 Depth=2
	s_or_b32 exec_lo, exec_lo, s17
	s_delay_alu instid0(VALU_DEP_1)
	v_cmp_eq_u32_e32 vcc_lo, 0, v10
	;;#ASMSTART
	s_wakeup
	;;#ASMEND
	s_or_not1_b32 s17, vcc_lo, exec_lo
.LBB4_5460:                             ;   in Loop: Header=BB4_5446 Depth=2
	s_or_b32 exec_lo, exec_lo, s2
	v_sub_nc_u32_e32 v2, v71, v145
	s_xor_b32 s2, s13, -1
	s_delay_alu instid0(SALU_CYCLE_1) | instskip(NEXT) | instid1(SALU_CYCLE_1)
	s_and_b32 s2, exec_lo, s2
	s_or_b32 s16, s2, s16
	s_delay_alu instid0(VALU_DEP_1) | instskip(SKIP_1) | instid1(SALU_CYCLE_1)
	v_min_i32_e32 v68, v68, v2
	s_xor_b32 s13, s17, -1
	s_and_saveexec_b32 s2, s13
	s_cbranch_execz .LBB4_5475
; %bb.5461:                             ;   in Loop: Header=BB4_5446 Depth=2
	v_and_b32_e32 v2, 0x108, v30
	s_mov_b32 s13, exec_lo
	s_delay_alu instid0(VALU_DEP_1)
	v_cmpx_ne_u32_e32 0x108, v2
	s_xor_b32 s13, exec_lo, s13
                                        ; implicit-def: $vgpr8_vgpr9
; %bb.5462:                             ;   in Loop: Header=BB4_5446 Depth=2
	v_and_b32_e32 v8, 7, v34
; %bb.5463:                             ;   in Loop: Header=BB4_5446 Depth=2
	s_and_not1_saveexec_b32 s13, s13
	s_cbranch_execz .LBB4_5465
; %bb.5464:                             ;   in Loop: Header=BB4_5446 Depth=2
	v_and_b32_e32 v8, 7, v34
	v_ashrrev_i32_e32 v69, 31, v68
	s_delay_alu instid0(VALU_DEP_2)
	v_mad_u64_u32 v[9:10], null, v8, 24, v[6:7]
	flat_store_b64 v[9:10], v[68:69] offset:8
.LBB4_5465:                             ;   in Loop: Header=BB4_5446 Depth=2
	s_or_b32 exec_lo, exec_lo, s13
	v_and_b32_e32 v2, 0x100, v30
	s_mov_b32 s13, -1
	s_mov_b32 s17, exec_lo
                                        ; implicit-def: $vgpr9_vgpr10
	s_delay_alu instid0(VALU_DEP_1)
	v_cmpx_ne_u32_e32 0, v2
	s_cbranch_execnz .LBB4_5468
; %bb.5466:                             ;   in Loop: Header=BB4_5446 Depth=2
	s_or_b32 exec_lo, exec_lo, s17
	s_and_saveexec_b32 s17, s13
	s_cbranch_execnz .LBB4_5471
.LBB4_5467:                             ;   in Loop: Header=BB4_5446 Depth=2
	s_or_b32 exec_lo, exec_lo, s17
	s_cbranch_execnz .LBB4_6189
	s_branch .LBB4_5472
.LBB4_5468:                             ;   in Loop: Header=BB4_5446 Depth=2
	v_mad_u64_u32 v[11:12], null, v8, 24, v[6:7]
	s_mov_b32 s36, exec_lo
	s_delay_alu instid0(VALU_DEP_1) | instskip(NEXT) | instid1(VALU_DEP_1)
	v_mov_b32_e32 v2, v12
	v_mad_u64_u32 v[9:10], null, v3, 24, v[2:3]
	s_delay_alu instid0(VALU_DEP_1)
	v_mov_b32_e32 v12, v9
                                        ; implicit-def: $vgpr9_vgpr10
	flat_load_b32 v2, v[11:12]
	s_waitcnt vmcnt(0) lgkmcnt(0)
	v_cmp_ne_u32_e32 vcc_lo, 1, v2
	v_cmpx_eq_u32_e32 1, v2
	s_cbranch_execz .LBB4_5470
; %bb.5469:                             ;   in Loop: Header=BB4_5446 Depth=2
	flat_load_b32 v9, v[11:12] offset:4 glc
	s_waitcnt vmcnt(0) lgkmcnt(0)
	v_ashrrev_i32_e32 v10, 31, v9
.LBB4_5470:                             ;   in Loop: Header=BB4_5446 Depth=2
	s_or_b32 exec_lo, exec_lo, s36
	s_delay_alu instid0(SALU_CYCLE_1)
	s_or_not1_b32 s13, vcc_lo, exec_lo
	s_or_b32 exec_lo, exec_lo, s17
	s_and_saveexec_b32 s17, s13
	s_cbranch_execz .LBB4_5467
.LBB4_5471:                             ;   in Loop: Header=BB4_5446 Depth=2
	v_mul_lo_u32 v2, v3, v86
	v_mul_lo_u32 v11, v8, v96
	v_mad_u64_u32 v[9:10], null, v8, v86, 0
	s_delay_alu instid0(VALU_DEP_1)
	v_add3_u32 v10, v10, v11, v2
	s_or_b32 exec_lo, exec_lo, s17
	s_cbranch_execnz .LBB4_6189
.LBB4_5472:                             ;   in Loop: Header=BB4_5446 Depth=2
	s_delay_alu instid0(VALU_DEP_2)
	v_add_co_u32 v8, vcc_lo, v36, v9
	v_and_b32_e32 v2, 0x2000, v30
	v_add_co_ci_u32_e32 v9, vcc_lo, v37, v10, vcc_lo
	s_mov_b32 s13, exec_lo
	ds_store_b64 v0, v[8:9]
	v_cmpx_ne_u32_e32 0, v2
	s_cbranch_execz .LBB4_5474
; %bb.5473:                             ;   in Loop: Header=BB4_5446 Depth=2
	ds_load_b64 v[8:9], v0 offset:584
	s_waitcnt lgkmcnt(0)
	v_add_co_u32 v8, vcc_lo, v8, 1
	v_add_co_ci_u32_e32 v9, vcc_lo, 0, v9, vcc_lo
	ds_store_b64 v0, v[8:9] offset:584
.LBB4_5474:                             ;   in Loop: Header=BB4_5446 Depth=2
	s_or_b32 exec_lo, exec_lo, s13
	v_add_co_u32 v34, vcc_lo, v34, 2
	v_add_co_ci_u32_e32 v35, vcc_lo, 0, v35, vcc_lo
.LBB4_5475:                             ;   in Loop: Header=BB4_5446 Depth=2
	s_or_b32 exec_lo, exec_lo, s2
	s_and_saveexec_b32 s13, s3
	s_cbranch_execz .LBB4_5497
; %bb.5476:                             ;   in Loop: Header=BB4_5446 Depth=2
	s_and_saveexec_b32 s2, s4
	s_delay_alu instid0(SALU_CYCLE_1)
	s_xor_b32 s2, exec_lo, s2
	s_cbranch_execz .LBB4_5494
; %bb.5477:                             ;   in Loop: Header=BB4_5446 Depth=2
	s_and_saveexec_b32 s17, s1
	s_cbranch_execz .LBB4_5493
; %bb.5478:                             ;   in Loop: Header=BB4_5446 Depth=2
	s_mov_b32 s37, exec_lo
	s_mov_b32 s36, exec_lo
	v_mbcnt_lo_u32_b32 v2, s37, 0
	s_waitcnt lgkmcnt(0)
	s_waitcnt_vscnt null, 0x0
	buffer_gl1_inv
	buffer_gl0_inv
	v_cmpx_eq_u32_e32 0, v2
	s_cbranch_execz .LBB4_5480
; %bb.5479:                             ;   in Loop: Header=BB4_5446 Depth=2
	s_bcnt1_i32_b32 vcc_lo, s37
	s_delay_alu instid0(SALU_CYCLE_1)
	v_mov_b32_e32 v2, vcc_lo
	ds_add_u64 v0, v[2:3]
	s_cbranch_execnz .LBB4_6303
.LBB4_5480:                             ;   in Loop: Header=BB4_5446 Depth=2
	s_or_b32 exec_lo, exec_lo, s36
	s_cbranch_execnz .LBB4_6277
; %bb.5481:                             ;   in Loop: Header=BB4_5446 Depth=2
	ds_load_b64 v[8:9], v0
	v_add_co_u32 v48, vcc_lo, v48, v97
	v_add_co_ci_u32_e32 v49, vcc_lo, 0, v49, vcc_lo
	s_mov_b32 s36, exec_lo
	s_waitcnt lgkmcnt(0)
	s_delay_alu instid0(VALU_DEP_1)
	v_cmpx_lt_u64_e64 v[8:9], v[48:49]
	s_cbranch_execz .LBB4_5492
; %bb.5482:                             ;   in Loop: Header=BB4_5446 Depth=2
	s_mov_b32 s37, 0
	s_mov_b32 s40, 0
                                        ; implicit-def: $sgpr38
                                        ; implicit-def: $sgpr39
	s_branch .LBB4_5484
.LBB4_5483:                             ;   in Loop: Header=BB4_5484 Depth=3
	s_or_b32 exec_lo, exec_lo, s42
	s_delay_alu instid0(SALU_CYCLE_1) | instskip(NEXT) | instid1(SALU_CYCLE_1)
	s_and_b32 vcc_lo, exec_lo, vcc_lo
	s_or_b32 s37, vcc_lo, s37
	s_and_not1_b32 vcc_lo, s38, exec_lo
	s_and_b32 s38, s39, exec_lo
	s_delay_alu instid0(SALU_CYCLE_1)
	s_or_b32 s38, vcc_lo, s38
	s_and_not1_b32 exec_lo, exec_lo, s37
	s_cbranch_execz .LBB4_5490
.LBB4_5484:                             ;   Parent Loop BB4_51 Depth=1
                                        ;     Parent Loop BB4_5446 Depth=2
                                        ; =>    This Inner Loop Header: Depth=3
	s_add_i32 s40, s40, 1
                                        ; implicit-def: $sgpr42
	s_delay_alu instid0(SALU_CYCLE_1) | instskip(SKIP_1) | instid1(SALU_CYCLE_1)
	s_cmpk_lg_i32 s40, 0x2710
	s_cselect_b32 s41, -1, 0
	s_and_b32 vcc_lo, exec_lo, s41
	s_cbranch_vccz .LBB4_5488
.LBB4_5485:                             ;   in Loop: Header=BB4_5484 Depth=3
	s_and_not1_b32 s39, s39, exec_lo
	s_and_b32 s42, s42, exec_lo
	s_mov_b32 vcc_lo, -1
	s_or_b32 s39, s39, s42
	s_and_saveexec_b32 s42, s41
	s_cbranch_execz .LBB4_5483
; %bb.5486:                             ;   in Loop: Header=BB4_5484 Depth=3
	s_sleep 1
	s_cbranch_execnz .LBB4_6351
; %bb.5487:                             ;   in Loop: Header=BB4_5484 Depth=3
	ds_load_b64 v[8:9], v0
	s_and_not1_b32 s39, s39, exec_lo
	s_waitcnt lgkmcnt(0)
	v_cmp_ge_u64_e32 vcc_lo, v[8:9], v[48:49]
	s_or_not1_b32 vcc_lo, vcc_lo, exec_lo
	s_branch .LBB4_5483
.LBB4_5488:                             ;   in Loop: Header=BB4_5484 Depth=3
	s_cbranch_execnz .LBB4_6367
; %bb.5489:                             ;   in Loop: Header=BB4_5484 Depth=3
	ds_load_b64 v[8:9], v0
	s_and_not1_b32 s41, s41, exec_lo
	s_mov_b32 s40, 0
	s_mov_b32 s42, -1
	s_waitcnt lgkmcnt(0)
	flat_load_b32 v2, v[8:9] glc
	s_waitcnt vmcnt(0) lgkmcnt(0)
	buffer_gl1_inv
	buffer_gl0_inv
	v_cmp_eq_u32_e32 vcc_lo, 0, v2
	s_and_b32 vcc_lo, vcc_lo, exec_lo
	s_delay_alu instid0(SALU_CYCLE_1)
	s_or_b32 s41, s41, vcc_lo
	s_branch .LBB4_5485
.LBB4_5490:                             ;   in Loop: Header=BB4_5446 Depth=2
	s_or_b32 exec_lo, exec_lo, s37
	s_and_saveexec_b32 vcc_lo, s38
	s_delay_alu instid0(SALU_CYCLE_1)
	s_xor_b32 vcc_lo, exec_lo, vcc_lo
	s_cbranch_execz .LBB4_5492
; %bb.5491:                             ;   in Loop: Header=BB4_5446 Depth=2
	ds_store_b32 v0, v134
	s_cbranch_execnz .LBB4_6557
.LBB4_5492:                             ;   in Loop: Header=BB4_5446 Depth=2
	s_or_b32 exec_lo, exec_lo, s36
	;;#ASMSTART
	s_wakeup
	;;#ASMEND
.LBB4_5493:                             ;   in Loop: Header=BB4_5446 Depth=2
	s_or_b32 exec_lo, exec_lo, s17
.LBB4_5494:                             ;   in Loop: Header=BB4_5446 Depth=2
	s_and_not1_saveexec_b32 s2, s2
	s_cbranch_execz .LBB4_5496
; %bb.5495:                             ;   in Loop: Header=BB4_5446 Depth=2
	s_waitcnt lgkmcnt(0)
	s_waitcnt_vscnt null, 0x0
	buffer_gl1_inv
	buffer_gl0_inv
	s_barrier
.LBB4_5496:                             ;   in Loop: Header=BB4_5446 Depth=2
	s_or_b32 exec_lo, exec_lo, s2
.LBB4_5497:                             ;   in Loop: Header=BB4_5446 Depth=2
	s_delay_alu instid0(SALU_CYCLE_1) | instskip(SKIP_1) | instid1(SALU_CYCLE_1)
	s_or_b32 exec_lo, exec_lo, s13
                                        ; implicit-def: $vgpr2
	s_and_saveexec_b32 s2, s7
	s_xor_b32 s2, exec_lo, s2
	s_cbranch_execz .LBB4_5502
; %bb.5498:                             ;   in Loop: Header=BB4_5446 Depth=2
	s_cbranch_execnz .LBB4_6203
; %bb.5499:                             ;   in Loop: Header=BB4_5446 Depth=2
	ds_load_b32 v2, v0
	v_cmp_lt_i32_e32 vcc_lo, 0, v68
	s_waitcnt lgkmcnt(0)
	v_readfirstlane_b32 s13, v2
	v_and_b32_e32 v2, 16, v30
	s_delay_alu instid0(VALU_DEP_2) | instskip(NEXT) | instid1(VALU_DEP_1)
	s_cmp_eq_u32 s13, 0
	v_cmp_ne_u32_e64 s13, 0, v2
	s_cselect_b32 s17, -1, 0
	v_and_b32_e32 v2, 16, v30
	s_and_b32 s17, vcc_lo, s17
	s_delay_alu instid0(VALU_DEP_2) | instid1(SALU_CYCLE_1)
	s_and_b32 s17, s13, s17
	s_delay_alu instid0(SALU_CYCLE_1)
	s_and_saveexec_b32 s13, s17
	s_cbranch_execz .LBB4_5501
; %bb.5500:                             ;   in Loop: Header=BB4_5446 Depth=2
	v_mov_b32_e32 v2, 1
	s_waitcnt_vscnt null, 0x0
	buffer_gl1_inv
	buffer_gl0_inv
.LBB4_5501:                             ;   in Loop: Header=BB4_5446 Depth=2
	s_or_b32 exec_lo, exec_lo, s13
.LBB4_5502:                             ;   in Loop: Header=BB4_5446 Depth=2
	s_and_not1_saveexec_b32 s13, s2
	s_cbranch_execz .LBB4_5524
; %bb.5503:                             ;   in Loop: Header=BB4_5446 Depth=2
	s_and_saveexec_b32 s2, s4
	s_delay_alu instid0(SALU_CYCLE_1)
	s_xor_b32 s2, exec_lo, s2
	s_cbranch_execz .LBB4_5521
; %bb.5504:                             ;   in Loop: Header=BB4_5446 Depth=2
	s_and_saveexec_b32 s17, s1
	s_cbranch_execz .LBB4_5520
; %bb.5505:                             ;   in Loop: Header=BB4_5446 Depth=2
	s_mov_b32 s37, exec_lo
	s_mov_b32 s36, exec_lo
	v_mbcnt_lo_u32_b32 v2, s37, 0
	;;#ASMSTART
	s_waitcnt lgkmcnt(0) vmcnt(0)
	;;#ASMEND
	s_delay_alu instid0(VALU_DEP_1)
	v_cmpx_eq_u32_e32 0, v2
	s_cbranch_execz .LBB4_5507
; %bb.5506:                             ;   in Loop: Header=BB4_5446 Depth=2
	s_bcnt1_i32_b32 vcc_lo, s37
	s_delay_alu instid0(SALU_CYCLE_1)
	v_mov_b32_e32 v2, vcc_lo
	ds_add_u64 v0, v[2:3]
	s_cbranch_execnz .LBB4_6313
.LBB4_5507:                             ;   in Loop: Header=BB4_5446 Depth=2
	s_or_b32 exec_lo, exec_lo, s36
	s_cbranch_execnz .LBB4_6301
; %bb.5508:                             ;   in Loop: Header=BB4_5446 Depth=2
	ds_load_b64 v[8:9], v0
	v_add_co_u32 v48, vcc_lo, v48, v97
	v_add_co_ci_u32_e32 v49, vcc_lo, 0, v49, vcc_lo
	s_mov_b32 s36, exec_lo
	s_waitcnt lgkmcnt(0)
	s_delay_alu instid0(VALU_DEP_1)
	v_cmpx_lt_u64_e64 v[8:9], v[48:49]
	s_cbranch_execz .LBB4_5519
; %bb.5509:                             ;   in Loop: Header=BB4_5446 Depth=2
	s_mov_b32 s37, 0
	s_mov_b32 s40, 0
                                        ; implicit-def: $sgpr38
                                        ; implicit-def: $sgpr39
	s_branch .LBB4_5511
.LBB4_5510:                             ;   in Loop: Header=BB4_5511 Depth=3
	s_or_b32 exec_lo, exec_lo, s42
	s_delay_alu instid0(SALU_CYCLE_1) | instskip(NEXT) | instid1(SALU_CYCLE_1)
	s_and_b32 vcc_lo, exec_lo, vcc_lo
	s_or_b32 s37, vcc_lo, s37
	s_and_not1_b32 vcc_lo, s38, exec_lo
	s_and_b32 s38, s39, exec_lo
	s_delay_alu instid0(SALU_CYCLE_1)
	s_or_b32 s38, vcc_lo, s38
	s_and_not1_b32 exec_lo, exec_lo, s37
	s_cbranch_execz .LBB4_5517
.LBB4_5511:                             ;   Parent Loop BB4_51 Depth=1
                                        ;     Parent Loop BB4_5446 Depth=2
                                        ; =>    This Inner Loop Header: Depth=3
	s_add_i32 s40, s40, 1
                                        ; implicit-def: $sgpr42
	s_delay_alu instid0(SALU_CYCLE_1) | instskip(SKIP_1) | instid1(SALU_CYCLE_1)
	s_cmpk_lg_i32 s40, 0x2710
	s_cselect_b32 s41, -1, 0
	s_and_b32 vcc_lo, exec_lo, s41
	s_cbranch_vccz .LBB4_5515
.LBB4_5512:                             ;   in Loop: Header=BB4_5511 Depth=3
	s_and_not1_b32 s39, s39, exec_lo
	s_and_b32 s42, s42, exec_lo
	s_mov_b32 vcc_lo, -1
	s_or_b32 s39, s39, s42
	s_and_saveexec_b32 s42, s41
	s_cbranch_execz .LBB4_5510
; %bb.5513:                             ;   in Loop: Header=BB4_5511 Depth=3
	s_sleep 1
	s_cbranch_execnz .LBB4_6375
; %bb.5514:                             ;   in Loop: Header=BB4_5511 Depth=3
	ds_load_b64 v[8:9], v0
	s_and_not1_b32 s39, s39, exec_lo
	s_waitcnt lgkmcnt(0)
	v_cmp_ge_u64_e32 vcc_lo, v[8:9], v[48:49]
	s_or_not1_b32 vcc_lo, vcc_lo, exec_lo
	s_branch .LBB4_5510
.LBB4_5515:                             ;   in Loop: Header=BB4_5511 Depth=3
	s_cbranch_execnz .LBB4_6387
; %bb.5516:                             ;   in Loop: Header=BB4_5511 Depth=3
	ds_load_b64 v[8:9], v0
	s_and_not1_b32 s41, s41, exec_lo
	s_mov_b32 s40, 0
	s_mov_b32 s42, -1
	s_waitcnt lgkmcnt(0)
	s_waitcnt_vscnt null, 0x0
	flat_load_b32 v2, v[8:9] glc
	s_waitcnt vmcnt(0) lgkmcnt(0)
	buffer_gl1_inv
	buffer_gl0_inv
	v_cmp_eq_u32_e32 vcc_lo, 0, v2
	s_and_b32 vcc_lo, vcc_lo, exec_lo
	s_delay_alu instid0(SALU_CYCLE_1)
	s_or_b32 s41, s41, vcc_lo
	s_branch .LBB4_5512
.LBB4_5517:                             ;   in Loop: Header=BB4_5446 Depth=2
	s_or_b32 exec_lo, exec_lo, s37
	s_and_saveexec_b32 vcc_lo, s38
	s_delay_alu instid0(SALU_CYCLE_1)
	s_xor_b32 vcc_lo, exec_lo, vcc_lo
	s_cbranch_execz .LBB4_5519
; %bb.5518:                             ;   in Loop: Header=BB4_5446 Depth=2
	ds_store_b32 v0, v134
	s_cbranch_execnz .LBB4_6569
.LBB4_5519:                             ;   in Loop: Header=BB4_5446 Depth=2
	s_or_b32 exec_lo, exec_lo, s36
	;;#ASMSTART
	s_wakeup
	;;#ASMEND
.LBB4_5520:                             ;   in Loop: Header=BB4_5446 Depth=2
	s_or_b32 exec_lo, exec_lo, s17
.LBB4_5521:                             ;   in Loop: Header=BB4_5446 Depth=2
	s_and_not1_saveexec_b32 s2, s2
	s_cbranch_execz .LBB4_5523
; %bb.5522:                             ;   in Loop: Header=BB4_5446 Depth=2
	;;#ASMSTART
	s_waitcnt lgkmcnt(0) vmcnt(0)
	;;#ASMEND
	s_waitcnt lgkmcnt(0)
	s_waitcnt_vscnt null, 0x0
	s_barrier
.LBB4_5523:                             ;   in Loop: Header=BB4_5446 Depth=2
	s_or_b32 exec_lo, exec_lo, s2
	v_and_b32_e32 v2, 16, v30
.LBB4_5524:                             ;   in Loop: Header=BB4_5446 Depth=2
	s_or_b32 exec_lo, exec_lo, s13
	s_delay_alu instid0(VALU_DEP_1) | instskip(SKIP_1) | instid1(SALU_CYCLE_1)
	v_cmp_ne_u32_e32 vcc_lo, 0, v2
	s_xor_b32 s2, s10, -1
	s_and_b32 s13, vcc_lo, s2
	s_delay_alu instid0(SALU_CYCLE_1)
	s_and_saveexec_b32 s2, s13
	s_cbranch_execz .LBB4_5526
; %bb.5525:                             ;   in Loop: Header=BB4_5446 Depth=2
	s_waitcnt lgkmcnt(0)
	s_waitcnt_vscnt null, 0x0
	flat_store_b32 v[38:39], v134
.LBB4_5526:                             ;   in Loop: Header=BB4_5446 Depth=2
	s_or_b32 exec_lo, exec_lo, s2
	v_and_b32_e32 v2, 48, v30
	s_mov_b32 s2, exec_lo
	s_delay_alu instid0(VALU_DEP_1)
	v_cmpx_ne_u32_e32 0, v2
	s_cbranch_execz .LBB4_5528
; %bb.5527:                             ;   in Loop: Header=BB4_5446 Depth=2
	v_add_co_u32 v34, vcc_lo, v34, 2
	v_add_co_ci_u32_e32 v35, vcc_lo, 0, v35, vcc_lo
	s_waitcnt lgkmcnt(0)
	s_waitcnt_vscnt null, 0x0
	flat_store_b64 v[32:33], v[34:35]
.LBB4_5528:                             ;   in Loop: Header=BB4_5446 Depth=2
	s_or_b32 exec_lo, exec_lo, s2
	v_add_nc_u32_e32 v145, v68, v145
	s_mov_b32 s13, 0
	s_and_not1_b32 exec_lo, exec_lo, s16
	s_cbranch_execnz .LBB4_5446
; %bb.5529:                             ;   in Loop: Header=BB4_51 Depth=1
	s_or_b32 exec_lo, exec_lo, s16
	v_readlane_b32 s17, v56, 0
.LBB4_5530:                             ;   in Loop: Header=BB4_51 Depth=1
	v_writelane_b32 v56, s14, 5
	v_writelane_b32 v56, s35, 8
	;; [unrolled: 1-line block ×4, first 2 shown]
	s_or_b32 exec_lo, exec_lo, s15
	s_mov_b32 s2, s29
	s_and_not1_b32 vcc_lo, exec_lo, s17
	s_cbranch_vccnz .LBB4_5827
; %bb.5531:                             ;   in Loop: Header=BB4_51 Depth=1
	s_mov_b32 s31, 1
.LBB4_5532:                             ;   Parent Loop BB4_51 Depth=1
                                        ; =>  This Loop Header: Depth=2
                                        ;       Child Loop BB4_5534 Depth 3
                                        ;         Child Loop BB4_5543 Depth 4
                                        ;         Child Loop BB4_5573 Depth 4
                                        ;         Child Loop BB4_5596 Depth 4
                                        ;         Child Loop BB4_5621 Depth 4
                                        ;         Child Loop BB4_5627 Depth 4
                                        ;           Child Loop BB4_5628 Depth 5
                                        ;         Child Loop BB4_5639 Depth 4
                                        ;         Child Loop BB4_5645 Depth 4
                                        ;           Child Loop BB4_5646 Depth 5
                                        ;         Child Loop BB4_5660 Depth 4
                                        ;         Child Loop BB4_5666 Depth 4
                                        ;         Child Loop BB4_5676 Depth 4
                                        ;         Child Loop BB4_5682 Depth 4
                                        ;         Child Loop BB4_5694 Depth 4
                                        ;         Child Loop BB4_5720 Depth 4
                                        ;       Child Loop BB4_5741 Depth 3
                                        ;         Child Loop BB4_5747 Depth 4
                                        ;         Child Loop BB4_5779 Depth 4
	;; [unrolled: 1-line block ×3, first 2 shown]
	s_delay_alu instid0(SALU_CYCLE_1) | instskip(SKIP_4) | instid1(SALU_CYCLE_1)
	s_sub_i32 s13, s25, s31
	v_mov_b32_e32 v16, 0
	s_cmp_le_i32 s19, s13
	s_mov_b32 s35, 0
	s_cselect_b32 s14, s19, 0
	s_sub_i32 s13, s13, s14
	s_delay_alu instid0(SALU_CYCLE_1) | instskip(SKIP_3) | instid1(VALU_DEP_1)
	s_ashr_i32 s14, s13, 31
	v_mul_lo_u32 v2, v65, s13
	v_mad_u64_u32 v[8:9], null, v64, s13, 0
	v_mul_lo_u32 v10, v64, s14
	v_add3_u32 v9, v9, v10, v2
	s_delay_alu instid0(VALU_DEP_3) | instskip(NEXT) | instid1(VALU_DEP_2)
	v_sub_co_u32 v10, vcc_lo, v66, v8
	v_sub_co_ci_u32_e32 v11, vcc_lo, v67, v9, vcc_lo
	s_delay_alu instid0(VALU_DEP_1) | instskip(SKIP_1) | instid1(VALU_DEP_1)
	v_cmp_lt_i64_e32 vcc_lo, v[64:65], v[10:11]
	v_cndmask_b32_e32 v10, v10, v64, vcc_lo
	v_max_i32_e32 v15, 0, v10
	s_delay_alu instid0(VALU_DEP_1) | instskip(NEXT) | instid1(VALU_DEP_1)
	v_add_nc_u32_e32 v2, 31, v15
	v_lshrrev_b32_e32 v2, 1, v2
	s_delay_alu instid0(VALU_DEP_1) | instskip(SKIP_2) | instid1(VALU_DEP_3)
	v_and_b32_e32 v11, 0x3ffffff0, v2
	v_cmp_lt_i32_e32 vcc_lo, 0, v10
	v_mov_b32_e32 v2, 0
	v_max_i32_e32 v12, s28, v11
	s_and_b32 s13, s30, vcc_lo
	s_delay_alu instid0(SALU_CYCLE_1)
	s_and_saveexec_b32 s34, s13
	s_cbranch_execz .LBB4_5739
; %bb.5533:                             ;   in Loop: Header=BB4_5532 Depth=2
	v_add_co_u32 v17, vcc_lo, v8, v135
	v_add_co_ci_u32_e32 v18, vcc_lo, v9, v144, vcc_lo
	v_mov_b32_e32 v16, 0
	s_mov_b32 s37, 1
	s_mov_b32 s36, -1
.LBB4_5534:                             ;   Parent Loop BB4_51 Depth=1
                                        ;     Parent Loop BB4_5532 Depth=2
                                        ; =>    This Loop Header: Depth=3
                                        ;         Child Loop BB4_5543 Depth 4
                                        ;         Child Loop BB4_5573 Depth 4
	;; [unrolled: 1-line block ×5, first 2 shown]
                                        ;           Child Loop BB4_5628 Depth 5
                                        ;         Child Loop BB4_5639 Depth 4
                                        ;         Child Loop BB4_5645 Depth 4
                                        ;           Child Loop BB4_5646 Depth 5
                                        ;         Child Loop BB4_5660 Depth 4
                                        ;         Child Loop BB4_5666 Depth 4
	;; [unrolled: 1-line block ×6, first 2 shown]
	s_and_saveexec_b32 s14, s0
	s_cbranch_execz .LBB4_5537
; %bb.5535:                             ;   in Loop: Header=BB4_5534 Depth=3
	s_cbranch_execnz .LBB4_6229
; %bb.5536:                             ;   in Loop: Header=BB4_5534 Depth=3
	ds_load_b128 v[8:11], v0
	v_ashrrev_i32_e32 v2, 31, v16
	s_waitcnt lgkmcnt(0)
	v_add_co_u32 v13, vcc_lo, v10, v17
	v_add_co_ci_u32_e32 v14, vcc_lo, v11, v18, vcc_lo
	v_add_co_u32 v8, vcc_lo, v8, v17
	v_add_co_ci_u32_e32 v9, vcc_lo, v9, v18, vcc_lo
	s_delay_alu instid0(VALU_DEP_4) | instskip(NEXT) | instid1(VALU_DEP_4)
	v_add_co_u32 v13, vcc_lo, v13, v16
	v_add_co_ci_u32_e32 v14, vcc_lo, v14, v2, vcc_lo
	v_cmp_ne_u64_e32 vcc_lo, 0, v[10:11]
	v_add_co_u32 v8, s13, v8, v16
	s_delay_alu instid0(VALU_DEP_1) | instskip(NEXT) | instid1(VALU_DEP_4)
	v_add_co_ci_u32_e64 v9, s13, v9, v2, s13
	v_dual_cndmask_b32 v11, 0, v14 :: v_dual_cndmask_b32 v10, 0, v13
	ds_store_b64 v0, v[8:9]
	ds_store_b64 v0, v[10:11]
.LBB4_5537:                             ;   in Loop: Header=BB4_5534 Depth=3
	s_or_b32 exec_lo, exec_lo, s14
	v_and_b32_e32 v2, 12, v30
	s_mov_b32 s14, -1
	s_mov_b32 s13, exec_lo
	s_delay_alu instid0(VALU_DEP_1)
	v_cmpx_ne_u32_e32 0, v2
	s_cbranch_execz .LBB4_5551
; %bb.5538:                             ;   in Loop: Header=BB4_5534 Depth=3
	v_and_b32_e32 v2, 8, v30
	s_delay_alu instid0(VALU_DEP_1) | instskip(SKIP_3) | instid1(VALU_DEP_1)
	v_add_co_u32 v10, vcc_lo, v50, v2
	v_add_co_ci_u32_e32 v11, vcc_lo, 0, v51, vcc_lo
	v_add_co_u32 v8, vcc_lo, v34, 2
	v_add_co_ci_u32_e32 v9, vcc_lo, 0, v35, vcc_lo
	v_cmp_lt_u64_e32 vcc_lo, v[10:11], v[8:9]
	v_mov_b32_e32 v10, 1
	s_and_saveexec_b32 s14, vcc_lo
	s_cbranch_execz .LBB4_5550
; %bb.5539:                             ;   in Loop: Header=BB4_5534 Depth=3
	v_mov_b32_e32 v10, 0
	s_mov_b32 s15, 0
                                        ; implicit-def: $sgpr16
	s_branch .LBB4_5543
.LBB4_5540:                             ;   in Loop: Header=BB4_5543 Depth=4
	s_or_b32 exec_lo, exec_lo, s39
	v_mov_b32_e32 v11, 0
	s_or_not1_b32 s38, s38, exec_lo
.LBB4_5541:                             ;   in Loop: Header=BB4_5543 Depth=4
	s_or_b32 exec_lo, exec_lo, s29
	s_delay_alu instid0(VALU_DEP_1) | instskip(SKIP_2) | instid1(SALU_CYCLE_1)
	v_mov_b32_e32 v10, v11
	s_and_not1_b32 s16, s16, exec_lo
	s_and_b32 s29, s38, exec_lo
	s_or_b32 s16, s16, s29
.LBB4_5542:                             ;   in Loop: Header=BB4_5543 Depth=4
	s_or_b32 exec_lo, exec_lo, s17
	s_waitcnt vmcnt(0) lgkmcnt(0)
	v_add_co_u32 v13, vcc_lo, v50, v2
	v_add_co_ci_u32_e32 v14, vcc_lo, 0, v51, vcc_lo
	s_xor_b32 s17, s16, -1
	s_delay_alu instid0(VALU_DEP_1) | instskip(SKIP_1) | instid1(SALU_CYCLE_1)
	v_cmp_ge_u64_e32 vcc_lo, v[13:14], v[8:9]
	s_or_b32 s17, s17, vcc_lo
	s_and_b32 s17, exec_lo, s17
	s_delay_alu instid0(SALU_CYCLE_1) | instskip(NEXT) | instid1(SALU_CYCLE_1)
	s_or_b32 s15, s17, s15
	s_and_not1_b32 exec_lo, exec_lo, s15
	s_cbranch_execz .LBB4_5549
.LBB4_5543:                             ;   Parent Loop BB4_51 Depth=1
                                        ;     Parent Loop BB4_5532 Depth=2
                                        ;       Parent Loop BB4_5534 Depth=3
                                        ; =>      This Inner Loop Header: Depth=4
	s_sleep 1
	flat_load_b64 v[50:51], v[32:33] glc
	v_and_b32_e32 v11, 64, v30
	s_and_not1_b32 s16, s16, exec_lo
	s_mov_b32 s17, exec_lo
	s_delay_alu instid0(VALU_DEP_1)
	v_cmpx_eq_u32_e32 0, v11
	s_cbranch_execz .LBB4_5542
; %bb.5544:                             ;   in Loop: Header=BB4_5543 Depth=4
	v_add_nc_u32_e32 v11, 1, v10
	s_mov_b32 s38, -1
	s_mov_b32 s29, exec_lo
	v_cmpx_lt_i32_e32 0x270e, v10
	s_cbranch_execz .LBB4_5541
; %bb.5545:                             ;   in Loop: Header=BB4_5543 Depth=4
	s_cbranch_execnz .LBB4_6267
; %bb.5546:                             ;   in Loop: Header=BB4_5543 Depth=4
	ds_load_b64 v[10:11], v0
	s_mov_b32 s39, exec_lo
	s_waitcnt vmcnt(0) lgkmcnt(0)
	s_waitcnt_vscnt null, 0x0
	flat_load_b32 v10, v[10:11] glc
	s_waitcnt vmcnt(0) lgkmcnt(0)
	buffer_gl1_inv
	buffer_gl0_inv
	v_cmpx_ne_u32_e32 0, v10
	s_cbranch_execz .LBB4_5540
; %bb.5547:                             ;   in Loop: Header=BB4_5543 Depth=4
	ds_store_b32 v0, v10
	s_cbranch_execnz .LBB4_6349
; %bb.5548:                             ;   in Loop: Header=BB4_5543 Depth=4
	v_or_b32_e32 v30, 64, v30
	s_xor_b32 s38, exec_lo, -1
	s_branch .LBB4_5540
.LBB4_5549:                             ;   in Loop: Header=BB4_5534 Depth=3
	s_or_b32 exec_lo, exec_lo, s15
	v_and_b32_e32 v10, 12, v30
.LBB4_5550:                             ;   in Loop: Header=BB4_5534 Depth=3
	s_or_b32 exec_lo, exec_lo, s14
	s_delay_alu instid0(VALU_DEP_1)
	v_cmp_eq_u32_e32 vcc_lo, 0, v10
	;;#ASMSTART
	s_wakeup
	;;#ASMEND
	s_or_not1_b32 s14, vcc_lo, exec_lo
.LBB4_5551:                             ;   in Loop: Header=BB4_5534 Depth=3
	s_or_b32 exec_lo, exec_lo, s13
	v_sub_nc_u32_e32 v2, v15, v16
	s_xor_b32 s13, s14, -1
	s_delay_alu instid0(VALU_DEP_1)
	v_min_i32_e32 v12, v12, v2
	s_and_saveexec_b32 s14, s13
	s_cbranch_execz .LBB4_5564
; %bb.5552:                             ;   in Loop: Header=BB4_5534 Depth=3
	v_and_b32_e32 v2, 0x108, v30
	s_delay_alu instid0(VALU_DEP_1) | instskip(SKIP_2) | instid1(SALU_CYCLE_1)
	v_cmp_ne_u32_e32 vcc_lo, 0x108, v2
	v_and_b32_e32 v2, 7, v34
	s_and_saveexec_b32 s13, vcc_lo
	s_xor_b32 s13, exec_lo, s13
	s_delay_alu instid0(SALU_CYCLE_1)
	s_and_not1_saveexec_b32 s13, s13
	s_cbranch_execz .LBB4_5554
; %bb.5553:                             ;   in Loop: Header=BB4_5534 Depth=3
	v_mad_u64_u32 v[8:9], null, v2, 24, v[6:7]
	v_ashrrev_i32_e32 v13, 31, v12
	flat_store_b64 v[8:9], v[12:13] offset:8
.LBB4_5554:                             ;   in Loop: Header=BB4_5534 Depth=3
	s_or_b32 exec_lo, exec_lo, s13
	v_and_b32_e32 v8, 0x100, v30
	s_mov_b32 s13, -1
	s_delay_alu instid0(VALU_DEP_1)
	v_cmp_ne_u32_e32 vcc_lo, 0, v8
                                        ; implicit-def: $vgpr8_vgpr9
	s_and_saveexec_b32 s15, vcc_lo
	s_cbranch_execnz .LBB4_5557
; %bb.5555:                             ;   in Loop: Header=BB4_5534 Depth=3
	s_or_b32 exec_lo, exec_lo, s15
	s_and_saveexec_b32 s15, s13
	s_cbranch_execnz .LBB4_5560
.LBB4_5556:                             ;   in Loop: Header=BB4_5534 Depth=3
	s_or_b32 exec_lo, exec_lo, s15
	s_cbranch_execnz .LBB4_6257
	s_branch .LBB4_5561
.LBB4_5557:                             ;   in Loop: Header=BB4_5534 Depth=3
	v_mad_u64_u32 v[10:11], null, v2, 24, v[6:7]
	s_delay_alu instid0(VALU_DEP_1) | instskip(NEXT) | instid1(VALU_DEP_1)
	v_mov_b32_e32 v8, v11
	v_mad_u64_u32 v[13:14], null, v3, 24, v[8:9]
	s_delay_alu instid0(VALU_DEP_1) | instskip(SKIP_4) | instid1(VALU_DEP_1)
	v_mov_b32_e32 v11, v13
	flat_load_b32 v8, v[10:11]
	s_waitcnt vmcnt(0) lgkmcnt(0)
	v_cmp_ne_u32_e32 vcc_lo, 1, v8
	v_cmp_eq_u32_e64 s13, 1, v8
                                        ; implicit-def: $vgpr8_vgpr9
	s_and_saveexec_b32 s16, s13
	s_cbranch_execz .LBB4_5559
; %bb.5558:                             ;   in Loop: Header=BB4_5534 Depth=3
	flat_load_b32 v8, v[10:11] offset:4 glc
	s_waitcnt vmcnt(0) lgkmcnt(0)
	v_ashrrev_i32_e32 v9, 31, v8
.LBB4_5559:                             ;   in Loop: Header=BB4_5534 Depth=3
	s_or_b32 exec_lo, exec_lo, s16
	s_delay_alu instid0(SALU_CYCLE_1)
	s_or_not1_b32 s13, vcc_lo, exec_lo
	s_or_b32 exec_lo, exec_lo, s15
	s_and_saveexec_b32 s15, s13
	s_cbranch_execz .LBB4_5556
.LBB4_5560:                             ;   in Loop: Header=BB4_5534 Depth=3
	v_mul_lo_u32 v10, v3, v86
	v_mul_lo_u32 v11, v2, v96
	v_mad_u64_u32 v[8:9], null, v2, v86, 0
	s_delay_alu instid0(VALU_DEP_1)
	v_add3_u32 v9, v9, v11, v10
	s_or_b32 exec_lo, exec_lo, s15
	s_cbranch_execnz .LBB4_6257
.LBB4_5561:                             ;   in Loop: Header=BB4_5534 Depth=3
	s_delay_alu instid0(VALU_DEP_2)
	v_add_co_u32 v8, vcc_lo, v36, v8
	v_and_b32_e32 v2, 0x2000, v30
	v_add_co_ci_u32_e32 v9, vcc_lo, v37, v9, vcc_lo
	s_mov_b32 s13, exec_lo
	ds_store_b64 v0, v[8:9]
	v_cmpx_ne_u32_e32 0, v2
	s_cbranch_execz .LBB4_5563
; %bb.5562:                             ;   in Loop: Header=BB4_5534 Depth=3
	ds_load_b64 v[8:9], v0 offset:584
	s_waitcnt lgkmcnt(0)
	v_add_co_u32 v8, vcc_lo, v8, 1
	v_add_co_ci_u32_e32 v9, vcc_lo, 0, v9, vcc_lo
	ds_store_b64 v0, v[8:9] offset:584
.LBB4_5563:                             ;   in Loop: Header=BB4_5534 Depth=3
	s_or_b32 exec_lo, exec_lo, s13
	v_add_co_u32 v34, vcc_lo, v34, 2
	v_add_co_ci_u32_e32 v35, vcc_lo, 0, v35, vcc_lo
.LBB4_5564:                             ;   in Loop: Header=BB4_5534 Depth=3
	s_or_b32 exec_lo, exec_lo, s14
	s_and_saveexec_b32 s13, s3
	s_cbranch_execz .LBB4_5586
; %bb.5565:                             ;   in Loop: Header=BB4_5534 Depth=3
	s_and_saveexec_b32 s14, s4
	s_delay_alu instid0(SALU_CYCLE_1)
	s_xor_b32 s14, exec_lo, s14
	s_cbranch_execz .LBB4_5583
; %bb.5566:                             ;   in Loop: Header=BB4_5534 Depth=3
	s_and_saveexec_b32 s15, s1
	s_cbranch_execz .LBB4_5582
; %bb.5567:                             ;   in Loop: Header=BB4_5534 Depth=3
	s_mov_b32 s17, exec_lo
	s_mov_b32 s16, exec_lo
	v_mbcnt_lo_u32_b32 v2, s17, 0
	s_waitcnt lgkmcnt(0)
	s_waitcnt_vscnt null, 0x0
	buffer_gl1_inv
	buffer_gl0_inv
	v_cmpx_eq_u32_e32 0, v2
	s_cbranch_execz .LBB4_5569
; %bb.5568:                             ;   in Loop: Header=BB4_5534 Depth=3
	s_bcnt1_i32_b32 s17, s17
	s_delay_alu instid0(SALU_CYCLE_1)
	v_mov_b32_e32 v2, s17
	ds_add_u64 v0, v[2:3]
	s_cbranch_execnz .LBB4_6405
.LBB4_5569:                             ;   in Loop: Header=BB4_5534 Depth=3
	s_or_b32 exec_lo, exec_lo, s16
	s_cbranch_execnz .LBB4_6377
; %bb.5570:                             ;   in Loop: Header=BB4_5534 Depth=3
	ds_load_b64 v[8:9], v0
	v_add_co_u32 v48, vcc_lo, v48, v97
	v_add_co_ci_u32_e32 v49, vcc_lo, 0, v49, vcc_lo
	s_mov_b32 s16, exec_lo
	s_waitcnt lgkmcnt(0)
	s_delay_alu instid0(VALU_DEP_1)
	v_cmpx_lt_u64_e64 v[8:9], v[48:49]
	s_cbranch_execz .LBB4_5581
; %bb.5571:                             ;   in Loop: Header=BB4_5534 Depth=3
	s_mov_b32 s17, 0
	s_mov_b32 s39, 0
                                        ; implicit-def: $sgpr29
                                        ; implicit-def: $sgpr38
	s_branch .LBB4_5573
.LBB4_5572:                             ;   in Loop: Header=BB4_5573 Depth=4
	s_or_b32 exec_lo, exec_lo, s41
	s_delay_alu instid0(SALU_CYCLE_1) | instskip(NEXT) | instid1(SALU_CYCLE_1)
	s_and_b32 vcc_lo, exec_lo, vcc_lo
	s_or_b32 s17, vcc_lo, s17
	s_and_not1_b32 s29, s29, exec_lo
	s_and_b32 vcc_lo, s38, exec_lo
	s_delay_alu instid0(SALU_CYCLE_1)
	s_or_b32 s29, s29, vcc_lo
	s_and_not1_b32 exec_lo, exec_lo, s17
	s_cbranch_execz .LBB4_5579
.LBB4_5573:                             ;   Parent Loop BB4_51 Depth=1
                                        ;     Parent Loop BB4_5532 Depth=2
                                        ;       Parent Loop BB4_5534 Depth=3
                                        ; =>      This Inner Loop Header: Depth=4
	s_add_i32 s39, s39, 1
                                        ; implicit-def: $sgpr41
	s_delay_alu instid0(SALU_CYCLE_1) | instskip(SKIP_1) | instid1(SALU_CYCLE_1)
	s_cmpk_lg_i32 s39, 0x2710
	s_cselect_b32 s40, -1, 0
	s_and_b32 vcc_lo, exec_lo, s40
	s_cbranch_vccz .LBB4_5577
.LBB4_5574:                             ;   in Loop: Header=BB4_5573 Depth=4
	s_and_not1_b32 s38, s38, exec_lo
	s_and_b32 s41, s41, exec_lo
	s_mov_b32 vcc_lo, -1
	s_or_b32 s38, s38, s41
	s_and_saveexec_b32 s41, s40
	s_cbranch_execz .LBB4_5572
; %bb.5575:                             ;   in Loop: Header=BB4_5573 Depth=4
	s_sleep 1
	s_cbranch_execnz .LBB4_6455
; %bb.5576:                             ;   in Loop: Header=BB4_5573 Depth=4
	ds_load_b64 v[8:9], v0
	s_and_not1_b32 s38, s38, exec_lo
	s_waitcnt lgkmcnt(0)
	v_cmp_ge_u64_e32 vcc_lo, v[8:9], v[48:49]
	s_or_not1_b32 vcc_lo, vcc_lo, exec_lo
	s_branch .LBB4_5572
.LBB4_5577:                             ;   in Loop: Header=BB4_5573 Depth=4
	s_cbranch_execnz .LBB4_6475
; %bb.5578:                             ;   in Loop: Header=BB4_5573 Depth=4
	ds_load_b64 v[8:9], v0
	s_and_not1_b32 s40, s40, exec_lo
	s_mov_b32 s39, 0
	s_mov_b32 s41, -1
	s_waitcnt lgkmcnt(0)
	flat_load_b32 v2, v[8:9] glc
	s_waitcnt vmcnt(0) lgkmcnt(0)
	buffer_gl1_inv
	buffer_gl0_inv
	v_cmp_eq_u32_e32 vcc_lo, 0, v2
	s_and_b32 vcc_lo, vcc_lo, exec_lo
	s_delay_alu instid0(SALU_CYCLE_1)
	s_or_b32 s40, s40, vcc_lo
	s_branch .LBB4_5574
.LBB4_5579:                             ;   in Loop: Header=BB4_5534 Depth=3
	s_or_b32 exec_lo, exec_lo, s17
	s_and_saveexec_b32 s17, s29
	s_delay_alu instid0(SALU_CYCLE_1)
	s_xor_b32 s17, exec_lo, s17
	s_cbranch_execz .LBB4_5581
; %bb.5580:                             ;   in Loop: Header=BB4_5534 Depth=3
	ds_store_b32 v0, v134
	s_cbranch_execnz .LBB4_6589
.LBB4_5581:                             ;   in Loop: Header=BB4_5534 Depth=3
	s_or_b32 exec_lo, exec_lo, s16
	;;#ASMSTART
	s_wakeup
	;;#ASMEND
.LBB4_5582:                             ;   in Loop: Header=BB4_5534 Depth=3
	s_or_b32 exec_lo, exec_lo, s15
.LBB4_5583:                             ;   in Loop: Header=BB4_5534 Depth=3
	s_and_not1_saveexec_b32 s14, s14
	s_cbranch_execz .LBB4_5585
; %bb.5584:                             ;   in Loop: Header=BB4_5534 Depth=3
	s_waitcnt lgkmcnt(0)
	s_waitcnt_vscnt null, 0x0
	buffer_gl1_inv
	buffer_gl0_inv
	s_barrier
.LBB4_5585:                             ;   in Loop: Header=BB4_5534 Depth=3
	s_or_b32 exec_lo, exec_lo, s14
.LBB4_5586:                             ;   in Loop: Header=BB4_5534 Depth=3
	s_delay_alu instid0(SALU_CYCLE_1)
	s_or_b32 exec_lo, exec_lo, s13
	s_cbranch_execnz .LBB4_6241
; %bb.5587:                             ;   in Loop: Header=BB4_5534 Depth=3
	ds_load_b32 v8, v0
	v_and_b32_e32 v2, 0x4000, v30
	s_xor_b32 s13, s2, -1
	s_delay_alu instid0(VALU_DEP_1) | instskip(SKIP_1) | instid1(SALU_CYCLE_1)
	v_cmp_ne_u32_e32 vcc_lo, 0, v2
	s_and_b32 s14, s13, vcc_lo
	s_and_saveexec_b32 s13, s14
	s_cbranch_execz .LBB4_5609
; %bb.5588:                             ;   in Loop: Header=BB4_5534 Depth=3
	s_and_saveexec_b32 s14, s4
	s_delay_alu instid0(SALU_CYCLE_1)
	s_xor_b32 s14, exec_lo, s14
	s_cbranch_execz .LBB4_5606
; %bb.5589:                             ;   in Loop: Header=BB4_5534 Depth=3
	s_and_saveexec_b32 s15, s1
	s_cbranch_execz .LBB4_5605
; %bb.5590:                             ;   in Loop: Header=BB4_5534 Depth=3
	s_mov_b32 s17, exec_lo
	s_mov_b32 s16, exec_lo
	v_mbcnt_lo_u32_b32 v2, s17, 0
	s_waitcnt lgkmcnt(0)
	s_waitcnt_vscnt null, 0x0
	buffer_gl1_inv
	buffer_gl0_inv
	v_cmpx_eq_u32_e32 0, v2
	s_cbranch_execz .LBB4_5592
; %bb.5591:                             ;   in Loop: Header=BB4_5534 Depth=3
	s_bcnt1_i32_b32 s17, s17
	s_delay_alu instid0(SALU_CYCLE_1)
	v_mov_b32_e32 v2, s17
	ds_add_u64 v0, v[2:3]
	s_cbranch_execnz .LBB4_6445
.LBB4_5592:                             ;   in Loop: Header=BB4_5534 Depth=3
	s_or_b32 exec_lo, exec_lo, s16
	s_cbranch_execnz .LBB4_6425
; %bb.5593:                             ;   in Loop: Header=BB4_5534 Depth=3
	ds_load_b64 v[9:10], v0
	v_add_co_u32 v48, vcc_lo, v48, v97
	v_add_co_ci_u32_e32 v49, vcc_lo, 0, v49, vcc_lo
	s_mov_b32 s16, exec_lo
	s_waitcnt lgkmcnt(0)
	s_delay_alu instid0(VALU_DEP_1)
	v_cmpx_lt_u64_e64 v[9:10], v[48:49]
	s_cbranch_execz .LBB4_5604
; %bb.5594:                             ;   in Loop: Header=BB4_5534 Depth=3
	s_mov_b32 s17, 0
	s_mov_b32 s39, 0
                                        ; implicit-def: $sgpr29
                                        ; implicit-def: $sgpr38
	s_branch .LBB4_5596
.LBB4_5595:                             ;   in Loop: Header=BB4_5596 Depth=4
	s_or_b32 exec_lo, exec_lo, s41
	s_delay_alu instid0(SALU_CYCLE_1) | instskip(NEXT) | instid1(SALU_CYCLE_1)
	s_and_b32 vcc_lo, exec_lo, vcc_lo
	s_or_b32 s17, vcc_lo, s17
	s_and_not1_b32 s29, s29, exec_lo
	s_and_b32 vcc_lo, s38, exec_lo
	s_delay_alu instid0(SALU_CYCLE_1)
	s_or_b32 s29, s29, vcc_lo
	s_and_not1_b32 exec_lo, exec_lo, s17
	s_cbranch_execz .LBB4_5602
.LBB4_5596:                             ;   Parent Loop BB4_51 Depth=1
                                        ;     Parent Loop BB4_5532 Depth=2
                                        ;       Parent Loop BB4_5534 Depth=3
                                        ; =>      This Inner Loop Header: Depth=4
	s_add_i32 s39, s39, 1
                                        ; implicit-def: $sgpr41
	s_delay_alu instid0(SALU_CYCLE_1) | instskip(SKIP_1) | instid1(SALU_CYCLE_1)
	s_cmpk_lg_i32 s39, 0x2710
	s_cselect_b32 s40, -1, 0
	s_and_b32 vcc_lo, exec_lo, s40
	s_cbranch_vccz .LBB4_5600
.LBB4_5597:                             ;   in Loop: Header=BB4_5596 Depth=4
	s_and_not1_b32 s38, s38, exec_lo
	s_and_b32 s41, s41, exec_lo
	s_mov_b32 vcc_lo, -1
	s_or_b32 s38, s38, s41
	s_and_saveexec_b32 s41, s40
	s_cbranch_execz .LBB4_5595
; %bb.5598:                             ;   in Loop: Header=BB4_5596 Depth=4
	s_sleep 1
	s_cbranch_execnz .LBB4_6509
; %bb.5599:                             ;   in Loop: Header=BB4_5596 Depth=4
	ds_load_b64 v[9:10], v0
	s_and_not1_b32 s38, s38, exec_lo
	s_waitcnt lgkmcnt(0)
	v_cmp_ge_u64_e32 vcc_lo, v[9:10], v[48:49]
	s_or_not1_b32 vcc_lo, vcc_lo, exec_lo
	s_branch .LBB4_5595
.LBB4_5600:                             ;   in Loop: Header=BB4_5596 Depth=4
	s_cbranch_execnz .LBB4_6517
; %bb.5601:                             ;   in Loop: Header=BB4_5596 Depth=4
	ds_load_b64 v[9:10], v0
	s_and_not1_b32 s40, s40, exec_lo
	s_mov_b32 s39, 0
	s_mov_b32 s41, -1
	s_waitcnt lgkmcnt(0)
	flat_load_b32 v2, v[9:10] glc
	s_waitcnt vmcnt(0) lgkmcnt(0)
	buffer_gl1_inv
	buffer_gl0_inv
	v_cmp_eq_u32_e32 vcc_lo, 0, v2
	s_and_b32 vcc_lo, vcc_lo, exec_lo
	s_delay_alu instid0(SALU_CYCLE_1)
	s_or_b32 s40, s40, vcc_lo
	s_branch .LBB4_5597
.LBB4_5602:                             ;   in Loop: Header=BB4_5534 Depth=3
	s_or_b32 exec_lo, exec_lo, s17
	s_and_saveexec_b32 s17, s29
	s_delay_alu instid0(SALU_CYCLE_1)
	s_xor_b32 s17, exec_lo, s17
	s_cbranch_execz .LBB4_5604
; %bb.5603:                             ;   in Loop: Header=BB4_5534 Depth=3
	ds_store_b32 v0, v134
	s_cbranch_execnz .LBB4_6603
.LBB4_5604:                             ;   in Loop: Header=BB4_5534 Depth=3
	s_or_b32 exec_lo, exec_lo, s16
	;;#ASMSTART
	s_wakeup
	;;#ASMEND
.LBB4_5605:                             ;   in Loop: Header=BB4_5534 Depth=3
	s_or_b32 exec_lo, exec_lo, s15
.LBB4_5606:                             ;   in Loop: Header=BB4_5534 Depth=3
	s_and_not1_saveexec_b32 s14, s14
	s_cbranch_execz .LBB4_5608
; %bb.5607:                             ;   in Loop: Header=BB4_5534 Depth=3
	s_waitcnt lgkmcnt(0)
	s_waitcnt_vscnt null, 0x0
	buffer_gl1_inv
	buffer_gl0_inv
	s_barrier
.LBB4_5608:                             ;   in Loop: Header=BB4_5534 Depth=3
	s_or_b32 exec_lo, exec_lo, s14
.LBB4_5609:                             ;   in Loop: Header=BB4_5534 Depth=3
	s_delay_alu instid0(SALU_CYCLE_1)
	s_or_b32 exec_lo, exec_lo, s13
	s_cbranch_execnz .LBB4_6297
; %bb.5610:                             ;   in Loop: Header=BB4_5534 Depth=3
	ds_load_b64 v[9:10], v0
	v_mov_b32_e32 v19, 0
	s_waitcnt lgkmcnt(0)
	v_cmp_eq_u64_e32 vcc_lo, 0, v[9:10]
	s_or_b32 s13, vcc_lo, vcc_lo
	s_delay_alu instid0(SALU_CYCLE_1)
	s_and_b32 vcc_lo, exec_lo, s13
	s_cbranch_vccnz .LBB4_5685
; %bb.5611:                             ;   in Loop: Header=BB4_5534 Depth=3
	v_cmp_eq_u32_e32 vcc_lo, 0, v8
	s_cbranch_execnz .LBB4_6371
; %bb.5612:                             ;   in Loop: Header=BB4_5534 Depth=3
	ds_load_b64 v[8:9], v0
	v_cndmask_b32_e32 v19, 0, v12, vcc_lo
	s_waitcnt lgkmcnt(0)
	v_cmp_ne_u64_e64 s13, 0, v[8:9]
	s_delay_alu instid0(VALU_DEP_1)
	s_and_b32 vcc_lo, exec_lo, s13
	s_cbranch_vccz .LBB4_5650
; %bb.5613:                             ;   in Loop: Header=BB4_5534 Depth=3
	s_mov_b32 s13, -1
	s_and_saveexec_b32 s14, s6
	s_cbranch_execz .LBB4_5615
; %bb.5614:                             ;   in Loop: Header=BB4_5534 Depth=3
	ds_load_b32 v2, v0 offset:720
	s_waitcnt lgkmcnt(0)
	v_and_b32_e32 v2, 15, v2
	s_delay_alu instid0(VALU_DEP_1)
	v_cmp_eq_u32_e32 vcc_lo, 0, v2
	s_or_not1_b32 s13, vcc_lo, exec_lo
.LBB4_5615:                             ;   in Loop: Header=BB4_5534 Depth=3
	s_or_b32 exec_lo, exec_lo, s14
	s_and_saveexec_b32 s14, s12
	s_cbranch_execz .LBB4_5617
; %bb.5616:                             ;   in Loop: Header=BB4_5534 Depth=3
	ds_load_b32 v2, v0 offset:784
	s_waitcnt lgkmcnt(0)
	v_and_b32_e32 v2, 15, v2
	s_delay_alu instid0(VALU_DEP_1) | instskip(SKIP_3) | instid1(SALU_CYCLE_1)
	v_cmp_eq_u32_e32 vcc_lo, 0, v2
	s_and_b32 s15, s13, vcc_lo
	s_and_not1_b32 s13, s13, exec_lo
	s_and_b32 s15, s15, exec_lo
	s_or_b32 s13, s13, s15
.LBB4_5617:                             ;   in Loop: Header=BB4_5534 Depth=3
	s_or_b32 exec_lo, exec_lo, s14
	s_xor_b32 s13, s13, -1
	v_mov_b32_e32 v20, v19
	v_cndmask_b32_e64 v2, 0, 1, s13
	;;#ASMSTART
	;;#ASMEND
	s_delay_alu instid0(VALU_DEP_1)
	v_cmp_ne_u32_e32 vcc_lo, 0, v2
	v_dual_mov_b32 v2, 0 :: v_dual_mov_b32 v21, v0
	v_mov_b32_e32 v8, v99
	s_mov_b32 s13, -1
	s_cbranch_vccnz .LBB4_5635
; %bb.5618:                             ;   in Loop: Header=BB4_5534 Depth=3
	v_ashrrev_i32_e32 v2, 31, v19
	s_mov_b32 s14, exec_lo
	s_delay_alu instid0(VALU_DEP_1) | instskip(NEXT) | instid1(VALU_DEP_1)
	v_lshrrev_b32_e32 v2, 22, v2
	v_add_nc_u32_e32 v2, v19, v2
	s_delay_alu instid0(VALU_DEP_1) | instskip(NEXT) | instid1(VALU_DEP_1)
	v_ashrrev_i32_e32 v2, 10, v2
	v_sub_nc_u32_e32 v23, v2, v99
	s_delay_alu instid0(VALU_DEP_1)
	v_cmpx_lt_i32_e32 0, v23
	s_cbranch_execz .LBB4_5623
; %bb.5619:                             ;   in Loop: Header=BB4_5534 Depth=3
	s_cbranch_execnz .LBB4_6533
; %bb.5620:                             ;   in Loop: Header=BB4_5534 Depth=3
	ds_load_b64 v[8:9], v0
	ds_load_b128 v[68:71], v0
	s_mov_b32 s15, 0
	s_waitcnt lgkmcnt(1)
	v_add_co_u32 v8, vcc_lo, v8, v130
	v_add_co_ci_u32_e32 v9, vcc_lo, v9, v131, vcc_lo
	s_waitcnt lgkmcnt(0)
	v_add_co_u32 v10, vcc_lo, v68, v130
	v_add_co_ci_u32_e32 v11, vcc_lo, v69, v131, vcc_lo
	v_add_co_u32 v13, vcc_lo, v70, v130
	v_add_co_ci_u32_e32 v14, vcc_lo, v71, v131, vcc_lo
.LBB4_5621:                             ;   Parent Loop BB4_51 Depth=1
                                        ;     Parent Loop BB4_5532 Depth=2
                                        ;       Parent Loop BB4_5534 Depth=3
                                        ; =>      This Inner Loop Header: Depth=4
	s_clause 0x1
	global_load_b128 v[68:71], v[8:9], off slc dlc
	global_load_b128 v[80:83], v[8:9], off offset:512 slc dlc
	v_sub_nc_u32_e32 v23, v23, v97
	v_add_co_u32 v8, vcc_lo, v8, v132
	v_add_co_ci_u32_e32 v9, vcc_lo, v9, v133, vcc_lo
	s_delay_alu instid0(VALU_DEP_3)
	v_cmp_gt_i32_e32 vcc_lo, 1, v23
	s_waitcnt vmcnt(1)
	global_store_b128 v[10:11], v[68:71], off glc slc dlc
	s_waitcnt vmcnt(0)
	global_store_b128 v[10:11], v[80:83], off offset:512 glc slc dlc
	s_clause 0x1
	global_store_b128 v[13:14], v[68:71], off glc slc dlc
	global_store_b128 v[13:14], v[80:83], off offset:512 glc slc dlc
	v_add_co_u32 v10, s13, v10, v132
	s_delay_alu instid0(VALU_DEP_1) | instskip(SKIP_1) | instid1(VALU_DEP_1)
	v_add_co_ci_u32_e64 v11, s13, v11, v133, s13
	v_add_co_u32 v13, s13, v13, v132
	v_add_co_ci_u32_e64 v14, s13, v14, v133, s13
	s_or_b32 s15, vcc_lo, s15
	s_delay_alu instid0(SALU_CYCLE_1)
	s_and_not1_b32 exec_lo, exec_lo, s15
	s_cbranch_execnz .LBB4_5621
; %bb.5622:                             ;   in Loop: Header=BB4_5534 Depth=3
	s_or_b32 exec_lo, exec_lo, s15
.LBB4_5623:                             ;   in Loop: Header=BB4_5534 Depth=3
	s_delay_alu instid0(SALU_CYCLE_1) | instskip(SKIP_4) | instid1(VALU_DEP_2)
	s_or_b32 exec_lo, exec_lo, s14
	v_lshlrev_b32_e32 v22, 10, v2
	v_mov_b32_e32 v2, 0
	s_mov_b32 s13, 0
	s_mov_b32 s16, exec_lo
                                        ; implicit-def: $vgpr20
                                        ; implicit-def: $vgpr21
                                        ; implicit-def: $vgpr8
	v_cmpx_ne_u32_e64 v19, v22
	s_cbranch_execz .LBB4_5634
; %bb.5624:                             ;   in Loop: Header=BB4_5534 Depth=3
	v_lshlrev_b32_e32 v2, 5, v23
	v_sub_nc_u32_e32 v9, v19, v22
	s_mov_b32 s17, exec_lo
	s_delay_alu instid0(VALU_DEP_2) | instskip(NEXT) | instid1(VALU_DEP_2)
	v_sub_nc_u32_e32 v2, v100, v2
	v_ashrrev_i32_e32 v10, 31, v9
	s_delay_alu instid0(VALU_DEP_2) | instskip(NEXT) | instid1(VALU_DEP_2)
	v_ashrrev_i32_e32 v8, 31, v2
	v_lshrrev_b32_e32 v10, 23, v10
	s_delay_alu instid0(VALU_DEP_2) | instskip(NEXT) | instid1(VALU_DEP_2)
	v_lshrrev_b32_e32 v8, 27, v8
	v_add_nc_u32_e32 v10, v9, v10
	s_delay_alu instid0(VALU_DEP_2) | instskip(NEXT) | instid1(VALU_DEP_2)
	v_add_nc_u32_e32 v8, v2, v8
	v_and_b32_e32 v23, 0xfffffe00, v10
	v_ashrrev_i32_e32 v10, 9, v10
	s_delay_alu instid0(VALU_DEP_3) | instskip(NEXT) | instid1(VALU_DEP_3)
	v_and_b32_e32 v11, 0xffffffe0, v8
	v_sub_nc_u32_e32 v69, v9, v23
	s_delay_alu instid0(VALU_DEP_2) | instskip(SKIP_1) | instid1(VALU_DEP_3)
	v_sub_nc_u32_e32 v68, v2, v11
	v_ashrrev_i32_e32 v11, 5, v8
	v_cmp_lt_i32_e64 s13, 15, v69
	s_delay_alu instid0(VALU_DEP_3) | instskip(NEXT) | instid1(VALU_DEP_2)
	v_lshlrev_b32_e32 v2, 4, v68
	v_add_co_ci_u32_e64 v10, vcc_lo, 0, v10, s13
	s_delay_alu instid0(VALU_DEP_2) | instskip(NEXT) | instid1(VALU_DEP_2)
	v_lshl_add_u32 v8, v11, 9, v2
	v_sub_nc_u32_e32 v70, v10, v11
	s_delay_alu instid0(VALU_DEP_2) | instskip(NEXT) | instid1(VALU_DEP_1)
	v_sub_nc_u32_e32 v2, v9, v8
	v_cmpx_lt_i32_e32 15, v2
	s_cbranch_execz .LBB4_5631
; %bb.5625:                             ;   in Loop: Header=BB4_5534 Depth=3
	s_cbranch_execnz .LBB4_6571
; %bb.5626:                             ;   in Loop: Header=BB4_5534 Depth=3
	ds_load_b64 v[9:10], v0
	ds_load_b128 v[80:83], v0
	v_add_nc_u32_e32 v8, v8, v22
	s_mov_b32 s29, 0
	s_delay_alu instid0(VALU_DEP_1) | instskip(SKIP_2) | instid1(VALU_DEP_2)
	v_ashrrev_i32_e32 v11, 31, v8
	s_waitcnt lgkmcnt(1)
	v_add_co_u32 v13, vcc_lo, v9, v8
	v_add_co_ci_u32_e32 v14, vcc_lo, v10, v11, vcc_lo
	s_waitcnt lgkmcnt(0)
	v_add_co_u32 v20, vcc_lo, v80, v8
	v_add_co_ci_u32_e32 v21, vcc_lo, v81, v11, vcc_lo
	v_add_co_u32 v71, vcc_lo, v82, v8
	v_add_co_ci_u32_e32 v80, vcc_lo, v83, v11, vcc_lo
.LBB4_5627:                             ;   Parent Loop BB4_51 Depth=1
                                        ;     Parent Loop BB4_5532 Depth=2
                                        ;       Parent Loop BB4_5534 Depth=3
                                        ; =>      This Loop Header: Depth=4
                                        ;           Child Loop BB4_5628 Depth 5
	global_load_b128 v[8:11], v[13:14], off slc dlc
	s_mov_b64 s[14:15], 0
	s_mov_b32 s38, -1
.LBB4_5628:                             ;   Parent Loop BB4_51 Depth=1
                                        ;     Parent Loop BB4_5532 Depth=2
                                        ;       Parent Loop BB4_5534 Depth=3
                                        ;         Parent Loop BB4_5627 Depth=4
                                        ; =>        This Inner Loop Header: Depth=5
	s_cmp_eq_u32 s14, 0
	v_cndmask_b32_e64 v83, 0, 1, s38
	s_cselect_b32 vcc_lo, -1, 0
	s_cmp_eq_u32 s14, 1
	s_mov_b32 s38, 0
	s_cselect_b32 s14, -1, 0
	s_delay_alu instid0(SALU_CYCLE_1) | instskip(SKIP_1) | instid1(VALU_DEP_2)
	v_cndmask_b32_e64 v81, v20, v71, s14
	v_cndmask_b32_e64 v82, v21, v80, s14
	v_add_co_u32 v84, s15, 0x200, v81
	s_delay_alu instid0(VALU_DEP_1) | instskip(SKIP_1) | instid1(VALU_DEP_3)
	v_add_co_ci_u32_e64 v85, s15, 0, v82, s15
	v_cmp_ne_u32_e64 s15, 1, v83
	v_cndmask_b32_e64 v71, v71, v84, s14
	v_cndmask_b32_e32 v20, v20, v84, vcc_lo
	s_delay_alu instid0(VALU_DEP_4)
	v_cndmask_b32_e64 v80, v80, v85, s14
	v_cndmask_b32_e32 v21, v21, v85, vcc_lo
	s_and_b32 vcc_lo, exec_lo, s15
	s_mov_b64 s[14:15], 1
	s_waitcnt vmcnt(0)
	global_store_b128 v[81:82], v[8:11], off glc slc dlc
	s_cbranch_vccz .LBB4_5628
; %bb.5629:                             ;   in Loop: Header=BB4_5627 Depth=4
	v_add_co_u32 v20, vcc_lo, v20, v103
	v_sub_nc_u32_e32 v2, v2, v101
	v_add_co_ci_u32_e32 v21, vcc_lo, v21, v115, vcc_lo
	v_add_co_u32 v71, vcc_lo, v71, v103
	v_add_co_ci_u32_e32 v80, vcc_lo, v80, v115, vcc_lo
	s_delay_alu instid0(VALU_DEP_4) | instskip(SKIP_1) | instid1(VALU_DEP_1)
	v_cmp_gt_i32_e32 vcc_lo, 16, v2
	v_add_co_u32 v13, s14, v117, v13
	v_add_co_ci_u32_e64 v14, s14, v118, v14, s14
	v_sub_nc_u32_e32 v70, v70, v97
	s_or_b32 s29, vcc_lo, s29
	s_delay_alu instid0(SALU_CYCLE_1)
	s_and_not1_b32 exec_lo, exec_lo, s29
	s_cbranch_execnz .LBB4_5627
; %bb.5630:                             ;   in Loop: Header=BB4_5534 Depth=3
	s_or_b32 exec_lo, exec_lo, s29
.LBB4_5631:                             ;   in Loop: Header=BB4_5534 Depth=3
	s_delay_alu instid0(SALU_CYCLE_1) | instskip(SKIP_3) | instid1(VALU_DEP_1)
	s_or_b32 exec_lo, exec_lo, s17
	v_dual_mov_b32 v2, 0 :: v_dual_and_b32 v9, 15, v19
	s_mov_b32 s14, 0
	s_mov_b32 s15, exec_lo
                                        ; implicit-def: $vgpr21
                                        ; implicit-def: $vgpr8
	v_cndmask_b32_e64 v20, v69, v9, s13
	s_delay_alu instid0(VALU_DEP_1)
	v_cmpx_ne_u32_e32 0, v20
	s_cbranch_execz .LBB4_5633
; %bb.5632:                             ;   in Loop: Header=BB4_5534 Depth=3
	v_cmp_lt_i32_e32 vcc_lo, 0, v70
	v_sub_nc_u32_e32 v8, v69, v9
	s_mov_b32 s14, exec_lo
	v_cndmask_b32_e32 v2, 0, v97, vcc_lo
	s_delay_alu instid0(VALU_DEP_2) | instskip(NEXT) | instid1(VALU_DEP_2)
	v_cndmask_b32_e64 v8, 0, v8, s13
	v_sub_nc_u32_e32 v2, v2, v70
	s_delay_alu instid0(VALU_DEP_1) | instskip(NEXT) | instid1(VALU_DEP_1)
	v_lshl_add_u32 v21, v2, 5, v68
	v_ashrrev_i32_e32 v2, 31, v21
	s_delay_alu instid0(VALU_DEP_1) | instskip(NEXT) | instid1(VALU_DEP_1)
	v_lshrrev_b32_e32 v2, 27, v2
	v_add_nc_u32_e32 v9, v21, v2
	v_add3_u32 v2, v23, v22, v8
	s_delay_alu instid0(VALU_DEP_2)
	v_ashrrev_i32_e32 v8, 5, v9
.LBB4_5633:                             ;   in Loop: Header=BB4_5534 Depth=3
	s_or_b32 exec_lo, exec_lo, s15
	s_delay_alu instid0(SALU_CYCLE_1)
	s_and_b32 s13, s14, exec_lo
.LBB4_5634:                             ;   in Loop: Header=BB4_5534 Depth=3
	s_or_b32 exec_lo, exec_lo, s16
.LBB4_5635:                             ;   in Loop: Header=BB4_5534 Depth=3
	s_and_saveexec_b32 s15, s13
	s_cbranch_execz .LBB4_5649
; %bb.5636:                             ;   in Loop: Header=BB4_5534 Depth=3
	v_ashrrev_i32_e32 v9, 31, v20
	s_mov_b32 s14, exec_lo
	s_delay_alu instid0(VALU_DEP_1) | instskip(NEXT) | instid1(VALU_DEP_1)
	v_lshrrev_b32_e32 v9, 23, v9
	v_add_nc_u32_e32 v9, v20, v9
	s_delay_alu instid0(VALU_DEP_1) | instskip(NEXT) | instid1(VALU_DEP_1)
	v_ashrrev_i32_e32 v23, 9, v9
	v_sub_nc_u32_e32 v22, v23, v8
	s_delay_alu instid0(VALU_DEP_1)
	v_cmpx_lt_i32_e32 0, v22
	s_cbranch_execz .LBB4_5641
; %bb.5637:                             ;   in Loop: Header=BB4_5534 Depth=3
	s_cbranch_execnz .LBB4_6529
; %bb.5638:                             ;   in Loop: Header=BB4_5534 Depth=3
	v_ashrrev_i32_e32 v9, 31, v21
	v_lshlrev_b32_e32 v8, 9, v8
	s_mov_b32 s16, 0
	ds_load_b128 v[68:71], v0
	v_lshrrev_b32_e32 v9, 27, v9
	s_delay_alu instid0(VALU_DEP_1) | instskip(SKIP_2) | instid1(VALU_DEP_1)
	v_add_nc_u32_e32 v11, v21, v9
	ds_load_b64 v[9:10], v0
	v_and_b32_e32 v11, 0xffffffe0, v11
	v_sub_nc_u32_e32 v11, v21, v11
	s_delay_alu instid0(VALU_DEP_1) | instskip(NEXT) | instid1(VALU_DEP_1)
	v_add3_u32 v13, v2, v11, v8
	v_ashrrev_i32_e32 v14, 31, v13
	s_waitcnt lgkmcnt(0)
	v_add_co_u32 v80, vcc_lo, 0x1e0, v9
	v_add_co_ci_u32_e32 v81, vcc_lo, 0, v10, vcc_lo
	v_add_co_u32 v8, vcc_lo, v68, v13
	v_add_co_ci_u32_e32 v9, vcc_lo, v69, v14, vcc_lo
	;; [unrolled: 2-line block ×4, first 2 shown]
.LBB4_5639:                             ;   Parent Loop BB4_51 Depth=1
                                        ;     Parent Loop BB4_5532 Depth=2
                                        ;       Parent Loop BB4_5534 Depth=3
                                        ; =>      This Inner Loop Header: Depth=4
	s_delay_alu instid0(VALU_DEP_2) | instskip(NEXT) | instid1(VALU_DEP_2)
	v_add_co_u32 v68, vcc_lo, 0xfffffe20, v13
	v_add_co_ci_u32_e32 v69, vcc_lo, -1, v14, vcc_lo
	v_add_co_u32 v70, vcc_lo, 0xfffffe40, v13
	v_add_co_ci_u32_e32 v71, vcc_lo, -1, v14, vcc_lo
	;; [unrolled: 2-line block ×15, first 2 shown]
	flat_load_u8 v151, v[13:14] slc dlc
	flat_load_u8 v68, v[68:69] slc dlc
	;; [unrolled: 1-line block ×16, first 2 shown]
	v_sub_nc_u32_e32 v22, v22, v97
	v_add_co_u32 v13, vcc_lo, v13, v117
	v_add_co_ci_u32_e32 v14, vcc_lo, v14, v118, vcc_lo
	s_delay_alu instid0(VALU_DEP_3)
	v_cmp_gt_i32_e32 vcc_lo, 1, v22
	s_waitcnt vmcnt(14) lgkmcnt(14)
	flat_store_b8 v[8:9], v68 glc slc dlc
	s_waitcnt vmcnt(13) lgkmcnt(14)
	flat_store_b8 v[8:9], v69 offset:32 glc slc dlc
	s_waitcnt vmcnt(12) lgkmcnt(14)
	flat_store_b8 v[8:9], v70 offset:64 glc slc dlc
	s_waitcnt vmcnt(11) lgkmcnt(14)
	flat_store_b8 v[8:9], v71 offset:96 glc slc dlc
	s_waitcnt vmcnt(10) lgkmcnt(14)
	flat_store_b8 v[8:9], v80 offset:128 glc slc dlc
	s_waitcnt vmcnt(9) lgkmcnt(14)
	flat_store_b8 v[8:9], v81 offset:160 glc slc dlc
	s_waitcnt vmcnt(8) lgkmcnt(14)
	flat_store_b8 v[8:9], v82 offset:192 glc slc dlc
	s_waitcnt vmcnt(7) lgkmcnt(14)
	flat_store_b8 v[8:9], v83 offset:224 glc slc dlc
	s_waitcnt vmcnt(6) lgkmcnt(14)
	flat_store_b8 v[8:9], v84 offset:256 glc slc dlc
	s_waitcnt vmcnt(5) lgkmcnt(14)
	flat_store_b8 v[8:9], v85 offset:288 glc slc dlc
	s_waitcnt vmcnt(4) lgkmcnt(14)
	flat_store_b8 v[8:9], v145 offset:320 glc slc dlc
	s_waitcnt vmcnt(3) lgkmcnt(14)
	flat_store_b8 v[8:9], v146 offset:352 glc slc dlc
	s_waitcnt vmcnt(2) lgkmcnt(14)
	flat_store_b8 v[8:9], v147 offset:384 glc slc dlc
	s_waitcnt vmcnt(1) lgkmcnt(14)
	flat_store_b8 v[8:9], v148 offset:416 glc slc dlc
	s_waitcnt vmcnt(0) lgkmcnt(14)
	s_clause 0x1
	flat_store_b8 v[8:9], v149 offset:448 glc slc dlc
	flat_store_b8 v[8:9], v151 offset:480 glc slc dlc
	s_clause 0xf
	flat_store_b8 v[10:11], v68 glc slc dlc
	flat_store_b8 v[10:11], v69 offset:32 glc slc dlc
	flat_store_b8 v[10:11], v70 offset:64 glc slc dlc
	;; [unrolled: 1-line block ×15, first 2 shown]
	v_add_co_u32 v8, s13, v8, v117
	s_delay_alu instid0(VALU_DEP_1) | instskip(SKIP_1) | instid1(VALU_DEP_1)
	v_add_co_ci_u32_e64 v9, s13, v9, v118, s13
	v_add_co_u32 v10, s13, v10, v117
	v_add_co_ci_u32_e64 v11, s13, v11, v118, s13
	s_or_b32 s16, vcc_lo, s16
	s_delay_alu instid0(SALU_CYCLE_1)
	s_and_not1_b32 exec_lo, exec_lo, s16
	s_cbranch_execnz .LBB4_5639
; %bb.5640:                             ;   in Loop: Header=BB4_5534 Depth=3
	s_or_b32 exec_lo, exec_lo, s16
.LBB4_5641:                             ;   in Loop: Header=BB4_5534 Depth=3
	s_delay_alu instid0(SALU_CYCLE_1) | instskip(SKIP_2) | instid1(VALU_DEP_1)
	s_or_b32 exec_lo, exec_lo, s14
	v_lshlrev_b32_e32 v8, 9, v23
	s_mov_b32 s29, exec_lo
	v_cmpx_ne_u32_e64 v20, v8
	s_cbranch_execz .LBB4_5648
; %bb.5642:                             ;   in Loop: Header=BB4_5534 Depth=3
	v_ashrrev_i32_e32 v9, 31, v21
	v_lshlrev_b32_e32 v10, 5, v22
	s_delay_alu instid0(VALU_DEP_2) | instskip(NEXT) | instid1(VALU_DEP_1)
	v_lshrrev_b32_e32 v9, 27, v9
	v_add_nc_u32_e32 v9, v21, v9
	s_delay_alu instid0(VALU_DEP_1) | instskip(NEXT) | instid1(VALU_DEP_1)
	v_and_b32_e32 v9, 0xffffffe0, v9
	v_sub_nc_u32_e32 v9, v21, v9
	s_delay_alu instid0(VALU_DEP_1) | instskip(NEXT) | instid1(VALU_DEP_1)
	v_sub_nc_u32_e32 v9, v9, v10
	v_add_nc_u32_e32 v8, v8, v9
	s_delay_alu instid0(VALU_DEP_1) | instskip(NEXT) | instid1(VALU_DEP_1)
	v_sub_nc_u32_e32 v10, v20, v8
	v_cmp_lt_i32_e32 vcc_lo, 0, v10
	s_and_b32 exec_lo, exec_lo, vcc_lo
	s_cbranch_execz .LBB4_5648
; %bb.5643:                             ;   in Loop: Header=BB4_5534 Depth=3
	s_cbranch_execnz .LBB4_6565
; %bb.5644:                             ;   in Loop: Header=BB4_5534 Depth=3
	ds_load_b64 v[13:14], v0
	ds_load_b128 v[20:23], v0
	v_add_nc_u32_e32 v68, v8, v2
	s_mov_b32 s38, 0
	s_delay_alu instid0(VALU_DEP_1) | instskip(SKIP_2) | instid1(VALU_DEP_2)
	v_ashrrev_i32_e32 v69, 31, v68
	s_waitcnt lgkmcnt(1)
	v_add_co_u32 v8, vcc_lo, v13, v68
	v_add_co_ci_u32_e32 v9, vcc_lo, v14, v69, vcc_lo
	s_waitcnt lgkmcnt(0)
	v_add_co_u32 v2, vcc_lo, v20, v68
	v_add_co_ci_u32_e32 v11, vcc_lo, v21, v69, vcc_lo
	v_add_co_u32 v13, vcc_lo, v22, v68
	v_add_co_ci_u32_e32 v14, vcc_lo, v23, v69, vcc_lo
	s_set_inst_prefetch_distance 0x1
.LBB4_5645:                             ;   Parent Loop BB4_51 Depth=1
                                        ;     Parent Loop BB4_5532 Depth=2
                                        ;       Parent Loop BB4_5534 Depth=3
                                        ; =>      This Loop Header: Depth=4
                                        ;           Child Loop BB4_5646 Depth 5
	flat_load_u8 v20, v[8:9] slc dlc
	s_mov_b64 s[16:17], 0
	s_mov_b32 s39, -1
.LBB4_5646:                             ;   Parent Loop BB4_51 Depth=1
                                        ;     Parent Loop BB4_5532 Depth=2
                                        ;       Parent Loop BB4_5534 Depth=3
                                        ;         Parent Loop BB4_5645 Depth=4
                                        ; =>        This Inner Loop Header: Depth=5
	s_cmp_eq_u32 s16, 1
	s_cselect_b32 vcc_lo, -1, 0
	s_cmp_eq_u32 s16, 0
	v_dual_cndmask_b32 v22, v11, v14 :: v_dual_cndmask_b32 v21, v2, v13
	s_mov_b64 s[16:17], 1
	s_delay_alu instid0(VALU_DEP_1) | instskip(NEXT) | instid1(VALU_DEP_1)
	v_add_co_u32 v23, s13, v21, 32
	v_add_co_ci_u32_e64 v68, s13, 0, v22, s13
	s_cselect_b32 s13, -1, 0
	s_and_b32 s14, exec_lo, s39
	s_delay_alu instid0(VALU_DEP_1)
	v_dual_cndmask_b32 v13, v13, v23 :: v_dual_cndmask_b32 v14, v14, v68
	v_cndmask_b32_e64 v11, v11, v68, s13
	v_cndmask_b32_e64 v2, v2, v23, s13
	s_mov_b32 s39, 0
	s_mov_b32 vcc_lo, s14
	s_waitcnt vmcnt(0) lgkmcnt(0)
	flat_store_b8 v[21:22], v20 glc slc dlc
	s_cbranch_vccnz .LBB4_5646
; %bb.5647:                             ;   in Loop: Header=BB4_5645 Depth=4
	v_add_co_u32 v2, vcc_lo, v2, v116
	v_sub_nc_u32_e32 v10, v10, v98
	v_add_co_ci_u32_e32 v11, vcc_lo, v11, v119, vcc_lo
	v_add_co_u32 v13, vcc_lo, v13, v116
	v_add_co_ci_u32_e32 v14, vcc_lo, v14, v119, vcc_lo
	s_delay_alu instid0(VALU_DEP_4) | instskip(SKIP_1) | instid1(VALU_DEP_1)
	v_cmp_gt_i32_e32 vcc_lo, 1, v10
	v_add_co_u32 v8, s13, v128, v8
	v_add_co_ci_u32_e64 v9, s13, v129, v9, s13
	s_or_b32 s38, vcc_lo, s38
	s_delay_alu instid0(SALU_CYCLE_1)
	s_and_not1_b32 exec_lo, exec_lo, s38
	s_cbranch_execnz .LBB4_5645
.LBB4_5648:                             ;   in Loop: Header=BB4_5534 Depth=3
	s_set_inst_prefetch_distance 0x2
	s_or_b32 exec_lo, exec_lo, s29
.LBB4_5649:                             ;   in Loop: Header=BB4_5534 Depth=3
	s_delay_alu instid0(SALU_CYCLE_1)
	s_or_b32 exec_lo, exec_lo, s15
	s_mov_b32 s13, 0
	s_branch .LBB4_5651
.LBB4_5650:                             ;   in Loop: Header=BB4_5534 Depth=3
	s_mov_b32 s13, -1
.LBB4_5651:                             ;   in Loop: Header=BB4_5534 Depth=3
	s_delay_alu instid0(SALU_CYCLE_1)
	s_and_b32 vcc_lo, exec_lo, s13
	s_cbranch_vccz .LBB4_5685
; %bb.5652:                             ;   in Loop: Header=BB4_5534 Depth=3
	s_mov_b32 s13, -1
	s_and_saveexec_b32 s14, s6
	s_cbranch_execz .LBB4_5654
; %bb.5653:                             ;   in Loop: Header=BB4_5534 Depth=3
	ds_load_b32 v2, v0 offset:720
	s_waitcnt lgkmcnt(0)
	v_and_b32_e32 v2, 15, v2
	s_delay_alu instid0(VALU_DEP_1)
	v_cmp_eq_u32_e32 vcc_lo, 0, v2
	s_or_not1_b32 s13, vcc_lo, exec_lo
.LBB4_5654:                             ;   in Loop: Header=BB4_5534 Depth=3
	s_or_b32 exec_lo, exec_lo, s14
	s_and_saveexec_b32 s14, s5
	s_cbranch_execz .LBB4_5656
; %bb.5655:                             ;   in Loop: Header=BB4_5534 Depth=3
	ds_load_b32 v2, v0 offset:784
	s_waitcnt lgkmcnt(0)
	v_and_b32_e32 v2, 15, v2
	s_delay_alu instid0(VALU_DEP_1) | instskip(SKIP_3) | instid1(SALU_CYCLE_1)
	v_cmp_eq_u32_e32 vcc_lo, 0, v2
	s_and_b32 s15, s13, vcc_lo
	s_and_not1_b32 s13, s13, exec_lo
	s_and_b32 s15, s15, exec_lo
	s_or_b32 s13, s13, s15
.LBB4_5656:                             ;   in Loop: Header=BB4_5534 Depth=3
	s_or_b32 exec_lo, exec_lo, s14
	s_xor_b32 s13, s13, -1
	v_mov_b32_e32 v14, v0
	v_cndmask_b32_e64 v2, 0, 1, s13
	;;#ASMSTART
	;;#ASMEND
	s_delay_alu instid0(VALU_DEP_1)
	v_cmp_ne_u32_e32 vcc_lo, 0, v2
	v_dual_mov_b32 v2, 0 :: v_dual_mov_b32 v13, v19
	v_mov_b32_e32 v22, v99
	s_mov_b32 s13, -1
	s_cbranch_vccnz .LBB4_5672
; %bb.5657:                             ;   in Loop: Header=BB4_5534 Depth=3
	v_ashrrev_i32_e32 v2, 31, v19
	s_mov_b32 s14, exec_lo
	s_delay_alu instid0(VALU_DEP_1) | instskip(NEXT) | instid1(VALU_DEP_1)
	v_lshrrev_b32_e32 v2, 21, v2
	v_add_nc_u32_e32 v2, v19, v2
	s_delay_alu instid0(VALU_DEP_1) | instskip(NEXT) | instid1(VALU_DEP_1)
	v_ashrrev_i32_e32 v2, 11, v2
	v_sub_nc_u32_e32 v20, v2, v99
	s_delay_alu instid0(VALU_DEP_1)
	v_cmpx_lt_i32_e32 0, v20
	s_cbranch_execz .LBB4_5662
; %bb.5658:                             ;   in Loop: Header=BB4_5534 Depth=3
	s_cbranch_execnz .LBB4_6549
; %bb.5659:                             ;   in Loop: Header=BB4_5534 Depth=3
	ds_load_b64 v[8:9], v0
	s_mov_b32 s15, 0
	s_waitcnt lgkmcnt(0)
	v_dual_mov_b32 v11, v9 :: v_dual_mov_b32 v10, v8
	s_set_inst_prefetch_distance 0x1
.LBB4_5660:                             ;   Parent Loop BB4_51 Depth=1
                                        ;     Parent Loop BB4_5532 Depth=2
                                        ;       Parent Loop BB4_5534 Depth=3
                                        ; =>      This Inner Loop Header: Depth=4
	s_delay_alu instid0(VALU_DEP_1) | instskip(NEXT) | instid1(VALU_DEP_2)
	v_add_co_u32 v13, vcc_lo, v102, v10
	v_add_co_ci_u32_e32 v14, vcc_lo, v112, v11, vcc_lo
	v_sub_nc_u32_e32 v20, v20, v97
	s_clause 0x3
	global_load_b128 v[68:71], v[13:14], off slc dlc
	global_load_b128 v[80:83], v[13:14], off offset:512 slc dlc
	global_load_b128 v[145:148], v[13:14], off offset:1024 slc dlc
	;; [unrolled: 1-line block ×3, first 2 shown]
	v_add_co_u32 v13, vcc_lo, v102, v8
	v_add_co_ci_u32_e32 v14, vcc_lo, v112, v9, vcc_lo
	v_add_co_u32 v10, vcc_lo, v10, v113
	v_add_co_ci_u32_e32 v11, vcc_lo, v11, v114, vcc_lo
	v_add_co_u32 v8, vcc_lo, v8, v113
	v_cmp_gt_i32_e64 s13, 1, v20
	v_add_co_ci_u32_e32 v9, vcc_lo, v9, v114, vcc_lo
	s_waitcnt vmcnt(3)
	global_store_b128 v[13:14], v[68:71], off glc slc dlc
	s_waitcnt vmcnt(2)
	global_store_b128 v[13:14], v[80:83], off offset:512 glc slc dlc
	s_waitcnt vmcnt(1)
	global_store_b128 v[13:14], v[145:148], off offset:1024 glc slc dlc
	;; [unrolled: 2-line block ×3, first 2 shown]
	s_or_b32 s15, s13, s15
	s_delay_alu instid0(SALU_CYCLE_1)
	s_and_not1_b32 exec_lo, exec_lo, s15
	s_cbranch_execnz .LBB4_5660
; %bb.5661:                             ;   in Loop: Header=BB4_5534 Depth=3
	s_set_inst_prefetch_distance 0x2
	s_or_b32 exec_lo, exec_lo, s15
.LBB4_5662:                             ;   in Loop: Header=BB4_5534 Depth=3
	s_delay_alu instid0(SALU_CYCLE_1) | instskip(SKIP_4) | instid1(VALU_DEP_2)
	s_or_b32 exec_lo, exec_lo, s14
	v_lshlrev_b32_e32 v10, 11, v2
	v_mov_b32_e32 v2, 0
	s_mov_b32 s13, 0
	s_mov_b32 s15, exec_lo
                                        ; implicit-def: $vgpr13
                                        ; implicit-def: $vgpr14
                                        ; implicit-def: $vgpr22
	v_cmpx_ne_u32_e64 v19, v10
	s_cbranch_execz .LBB4_5671
; %bb.5663:                             ;   in Loop: Header=BB4_5534 Depth=3
	v_lshlrev_b32_e32 v2, 5, v20
	v_sub_nc_u32_e32 v9, v19, v10
	s_mov_b32 s16, exec_lo
	s_delay_alu instid0(VALU_DEP_2) | instskip(NEXT) | instid1(VALU_DEP_2)
	v_sub_nc_u32_e32 v2, v100, v2
	v_ashrrev_i32_e32 v11, 31, v9
	s_delay_alu instid0(VALU_DEP_2) | instskip(NEXT) | instid1(VALU_DEP_2)
	v_ashrrev_i32_e32 v8, 31, v2
	v_lshrrev_b32_e32 v11, 23, v11
	s_delay_alu instid0(VALU_DEP_2) | instskip(NEXT) | instid1(VALU_DEP_2)
	v_lshrrev_b32_e32 v8, 27, v8
	v_add_nc_u32_e32 v14, v9, v11
	s_delay_alu instid0(VALU_DEP_2) | instskip(NEXT) | instid1(VALU_DEP_2)
	v_add_nc_u32_e32 v8, v2, v8
	v_and_b32_e32 v11, 0xfffffe00, v14
	v_ashrrev_i32_e32 v14, 9, v14
	s_delay_alu instid0(VALU_DEP_3) | instskip(NEXT) | instid1(VALU_DEP_3)
	v_and_b32_e32 v13, 0xffffffe0, v8
	v_sub_nc_u32_e32 v21, v9, v11
	v_ashrrev_i32_e32 v8, 5, v8
	s_delay_alu instid0(VALU_DEP_3) | instskip(NEXT) | instid1(VALU_DEP_3)
	v_sub_nc_u32_e32 v20, v2, v13
	v_cmp_lt_i32_e32 vcc_lo, 15, v21
	s_delay_alu instid0(VALU_DEP_2) | instskip(SKIP_1) | instid1(VALU_DEP_2)
	v_lshlrev_b32_e32 v2, 4, v20
	v_add_co_ci_u32_e64 v14, s13, 0, v14, vcc_lo
	v_lshl_add_u32 v13, v8, 9, v2
	s_delay_alu instid0(VALU_DEP_2) | instskip(NEXT) | instid1(VALU_DEP_2)
	v_sub_nc_u32_e32 v23, v14, v8
	v_sub_nc_u32_e32 v2, v9, v13
	s_delay_alu instid0(VALU_DEP_1)
	v_cmpx_lt_i32_e32 15, v2
	s_cbranch_execz .LBB4_5668
; %bb.5664:                             ;   in Loop: Header=BB4_5534 Depth=3
	s_cbranch_execnz .LBB4_6579
; %bb.5665:                             ;   in Loop: Header=BB4_5534 Depth=3
	ds_load_b64 v[8:9], v0
	v_add_nc_u32_e32 v13, v13, v10
	s_mov_b32 s17, 0
	s_delay_alu instid0(VALU_DEP_1)
	v_ashrrev_i32_e32 v14, 31, v13
.LBB4_5666:                             ;   Parent Loop BB4_51 Depth=1
                                        ;     Parent Loop BB4_5532 Depth=2
                                        ;       Parent Loop BB4_5534 Depth=3
                                        ; =>      This Inner Loop Header: Depth=4
	s_waitcnt lgkmcnt(0)
	v_add_co_u32 v80, s13, v8, v13
	s_delay_alu instid0(VALU_DEP_1)
	v_add_co_ci_u32_e64 v81, s13, v9, v14, s13
	v_sub_nc_u32_e32 v2, v2, v101
	v_add_co_u32 v13, s14, v13, v117
	global_load_b128 v[68:71], v[80:81], off slc dlc
	v_sub_nc_u32_e32 v23, v23, v97
	v_cmp_gt_i32_e64 s13, 16, v2
	v_add_co_ci_u32_e64 v14, s14, v14, v118, s14
	s_delay_alu instid0(VALU_DEP_2)
	s_or_b32 s17, s13, s17
	s_waitcnt vmcnt(0)
	global_store_b128 v[80:81], v[68:71], off glc slc dlc
	s_and_not1_b32 exec_lo, exec_lo, s17
	s_cbranch_execnz .LBB4_5666
; %bb.5667:                             ;   in Loop: Header=BB4_5534 Depth=3
	s_or_b32 exec_lo, exec_lo, s17
.LBB4_5668:                             ;   in Loop: Header=BB4_5534 Depth=3
	s_delay_alu instid0(SALU_CYCLE_1) | instskip(SKIP_3) | instid1(VALU_DEP_1)
	s_or_b32 exec_lo, exec_lo, s16
	v_and_b32_e32 v8, 15, v19
	s_mov_b32 s14, 0
	s_mov_b32 s16, exec_lo
                                        ; implicit-def: $vgpr14
                                        ; implicit-def: $vgpr22
	v_dual_mov_b32 v2, 0 :: v_dual_cndmask_b32 v13, v21, v8
	s_delay_alu instid0(VALU_DEP_1)
	v_cmpx_ne_u32_e32 0, v13
; %bb.5669:                             ;   in Loop: Header=BB4_5534 Depth=3
	v_cmp_lt_i32_e64 s13, 0, v23
	v_sub_nc_u32_e32 v8, v21, v8
	s_mov_b32 s14, exec_lo
	s_delay_alu instid0(VALU_DEP_2) | instskip(NEXT) | instid1(VALU_DEP_1)
	v_cndmask_b32_e64 v2, 0, v97, s13
	v_sub_nc_u32_e32 v2, v2, v23
	s_delay_alu instid0(VALU_DEP_1) | instskip(NEXT) | instid1(VALU_DEP_1)
	v_lshl_add_u32 v14, v2, 5, v20
	v_ashrrev_i32_e32 v2, 31, v14
	s_delay_alu instid0(VALU_DEP_1) | instskip(NEXT) | instid1(VALU_DEP_1)
	v_lshrrev_b32_e32 v2, 27, v2
	v_dual_cndmask_b32 v8, 0, v8 :: v_dual_add_nc_u32 v9, v14, v2
	s_delay_alu instid0(VALU_DEP_1) | instskip(NEXT) | instid1(VALU_DEP_2)
	v_add3_u32 v2, v11, v10, v8
	v_ashrrev_i32_e32 v22, 5, v9
; %bb.5670:                             ;   in Loop: Header=BB4_5534 Depth=3
	s_or_b32 exec_lo, exec_lo, s16
	s_delay_alu instid0(SALU_CYCLE_1)
	s_and_b32 s13, s14, exec_lo
.LBB4_5671:                             ;   in Loop: Header=BB4_5534 Depth=3
	s_or_b32 exec_lo, exec_lo, s15
.LBB4_5672:                             ;   in Loop: Header=BB4_5534 Depth=3
	s_and_saveexec_b32 s14, s13
	s_cbranch_execz .LBB4_5684
; %bb.5673:                             ;   in Loop: Header=BB4_5534 Depth=3
	v_ashrrev_i32_e32 v8, 31, v13
	s_mov_b32 s13, exec_lo
	s_delay_alu instid0(VALU_DEP_1) | instskip(NEXT) | instid1(VALU_DEP_1)
	v_lshrrev_b32_e32 v8, 23, v8
	v_add_nc_u32_e32 v8, v13, v8
	s_delay_alu instid0(VALU_DEP_1) | instskip(NEXT) | instid1(VALU_DEP_1)
	v_ashrrev_i32_e32 v21, 9, v8
	v_sub_nc_u32_e32 v20, v21, v22
	s_delay_alu instid0(VALU_DEP_1)
	v_cmpx_lt_i32_e32 0, v20
	s_cbranch_execz .LBB4_5678
; %bb.5674:                             ;   in Loop: Header=BB4_5534 Depth=3
	s_cbranch_execnz .LBB4_6539
; %bb.5675:                             ;   in Loop: Header=BB4_5534 Depth=3
	v_ashrrev_i32_e32 v8, 31, v14
	s_mov_b32 s15, 0
	s_delay_alu instid0(VALU_DEP_1) | instskip(NEXT) | instid1(VALU_DEP_1)
	v_lshrrev_b32_e32 v8, 27, v8
	v_add_nc_u32_e32 v10, v14, v8
	ds_load_b64 v[8:9], v0
	v_lshlrev_b32_e32 v11, 9, v22
	v_and_b32_e32 v10, 0xffffffe0, v10
	s_delay_alu instid0(VALU_DEP_1) | instskip(NEXT) | instid1(VALU_DEP_1)
	v_sub_nc_u32_e32 v10, v14, v10
	v_add3_u32 v22, v2, v10, v11
	s_delay_alu instid0(VALU_DEP_1)
	v_ashrrev_i32_e32 v23, 31, v22
	s_waitcnt lgkmcnt(0)
	v_dual_mov_b32 v11, v9 :: v_dual_mov_b32 v10, v8
.LBB4_5676:                             ;   Parent Loop BB4_51 Depth=1
                                        ;     Parent Loop BB4_5532 Depth=2
                                        ;       Parent Loop BB4_5534 Depth=3
                                        ; =>      This Inner Loop Header: Depth=4
	s_delay_alu instid0(VALU_DEP_1) | instskip(NEXT) | instid1(VALU_DEP_2)
	v_add_co_u32 v68, vcc_lo, v22, v10
	v_add_co_ci_u32_e32 v69, vcc_lo, v23, v11, vcc_lo
	v_sub_nc_u32_e32 v20, v20, v97
	s_clause 0xf
	flat_load_u8 v70, v[68:69] slc dlc
	flat_load_u8 v71, v[68:69] offset:32 slc dlc
	flat_load_u8 v80, v[68:69] offset:64 slc dlc
	;; [unrolled: 1-line block ×15, first 2 shown]
	v_add_co_u32 v68, vcc_lo, v22, v8
	v_add_co_ci_u32_e32 v69, vcc_lo, v23, v9, vcc_lo
	v_add_co_u32 v10, vcc_lo, v10, v117
	v_add_co_ci_u32_e32 v11, vcc_lo, v11, v118, vcc_lo
	;; [unrolled: 2-line block ×3, first 2 shown]
	v_cmp_gt_i32_e32 vcc_lo, 1, v20
	s_waitcnt vmcnt(15) lgkmcnt(15)
	flat_store_b8 v[68:69], v70 glc slc dlc
	s_waitcnt vmcnt(14) lgkmcnt(15)
	flat_store_b8 v[68:69], v71 offset:32 glc slc dlc
	s_waitcnt vmcnt(13) lgkmcnt(15)
	flat_store_b8 v[68:69], v80 offset:64 glc slc dlc
	;; [unrolled: 2-line block ×15, first 2 shown]
	s_or_b32 s15, vcc_lo, s15
	s_delay_alu instid0(SALU_CYCLE_1)
	s_and_not1_b32 exec_lo, exec_lo, s15
	s_cbranch_execnz .LBB4_5676
; %bb.5677:                             ;   in Loop: Header=BB4_5534 Depth=3
	s_or_b32 exec_lo, exec_lo, s15
.LBB4_5678:                             ;   in Loop: Header=BB4_5534 Depth=3
	s_delay_alu instid0(SALU_CYCLE_1) | instskip(SKIP_2) | instid1(VALU_DEP_1)
	s_or_b32 exec_lo, exec_lo, s13
	v_lshlrev_b32_e32 v8, 9, v21
	s_mov_b32 s15, exec_lo
	v_cmpx_ne_u32_e64 v13, v8
	s_cbranch_execz .LBB4_5683
; %bb.5679:                             ;   in Loop: Header=BB4_5534 Depth=3
	v_ashrrev_i32_e32 v9, 31, v14
	v_lshlrev_b32_e32 v10, 5, v20
	s_delay_alu instid0(VALU_DEP_2) | instskip(NEXT) | instid1(VALU_DEP_1)
	v_lshrrev_b32_e32 v9, 27, v9
	v_add_nc_u32_e32 v9, v14, v9
	s_delay_alu instid0(VALU_DEP_1) | instskip(NEXT) | instid1(VALU_DEP_1)
	v_and_b32_e32 v9, 0xffffffe0, v9
	v_sub_nc_u32_e32 v9, v14, v9
	s_delay_alu instid0(VALU_DEP_1) | instskip(NEXT) | instid1(VALU_DEP_1)
	v_sub_nc_u32_e32 v9, v9, v10
	v_add_nc_u32_e32 v11, v8, v9
	s_delay_alu instid0(VALU_DEP_1) | instskip(NEXT) | instid1(VALU_DEP_1)
	v_sub_nc_u32_e32 v10, v13, v11
	v_cmp_lt_i32_e32 vcc_lo, 0, v10
	s_and_b32 exec_lo, exec_lo, vcc_lo
	s_cbranch_execz .LBB4_5683
; %bb.5680:                             ;   in Loop: Header=BB4_5534 Depth=3
	s_cbranch_execnz .LBB4_6575
; %bb.5681:                             ;   in Loop: Header=BB4_5534 Depth=3
	ds_load_b64 v[8:9], v0
	v_add_nc_u32_e32 v2, v11, v2
	s_mov_b32 s16, 0
	s_delay_alu instid0(VALU_DEP_1)
	v_ashrrev_i32_e32 v11, 31, v2
.LBB4_5682:                             ;   Parent Loop BB4_51 Depth=1
                                        ;     Parent Loop BB4_5532 Depth=2
                                        ;       Parent Loop BB4_5534 Depth=3
                                        ; =>      This Inner Loop Header: Depth=4
	s_waitcnt lgkmcnt(0)
	v_add_co_u32 v13, vcc_lo, v8, v2
	s_delay_alu instid0(VALU_DEP_2)
	v_add_co_ci_u32_e32 v14, vcc_lo, v9, v11, vcc_lo
	v_sub_nc_u32_e32 v10, v10, v98
	v_add_co_u32 v2, s13, v2, v128
	flat_load_u8 v20, v[13:14] slc dlc
	v_add_co_ci_u32_e64 v11, s13, v11, v129, s13
	v_cmp_gt_i32_e32 vcc_lo, 1, v10
	s_or_b32 s16, vcc_lo, s16
	s_waitcnt vmcnt(0) lgkmcnt(0)
	flat_store_b8 v[13:14], v20 glc slc dlc
	s_and_not1_b32 exec_lo, exec_lo, s16
	s_cbranch_execnz .LBB4_5682
.LBB4_5683:                             ;   in Loop: Header=BB4_5534 Depth=3
	s_or_b32 exec_lo, exec_lo, s15
.LBB4_5684:                             ;   in Loop: Header=BB4_5534 Depth=3
	s_delay_alu instid0(SALU_CYCLE_1)
	s_or_b32 exec_lo, exec_lo, s14
.LBB4_5685:                             ;   in Loop: Header=BB4_5534 Depth=3
	s_and_saveexec_b32 s13, s3
	s_cbranch_execz .LBB4_5707
; %bb.5686:                             ;   in Loop: Header=BB4_5534 Depth=3
	s_and_saveexec_b32 s14, s4
	s_delay_alu instid0(SALU_CYCLE_1)
	s_xor_b32 s14, exec_lo, s14
	s_cbranch_execz .LBB4_5704
; %bb.5687:                             ;   in Loop: Header=BB4_5534 Depth=3
	s_and_saveexec_b32 s15, s1
	s_cbranch_execz .LBB4_5703
; %bb.5688:                             ;   in Loop: Header=BB4_5534 Depth=3
	s_mov_b32 s17, exec_lo
	s_mov_b32 s16, exec_lo
	v_mbcnt_lo_u32_b32 v2, s17, 0
	s_waitcnt lgkmcnt(0)
	s_waitcnt_vscnt null, 0x0
	buffer_gl1_inv
	buffer_gl0_inv
	v_cmpx_eq_u32_e32 0, v2
	s_cbranch_execz .LBB4_5690
; %bb.5689:                             ;   in Loop: Header=BB4_5534 Depth=3
	s_bcnt1_i32_b32 s17, s17
	s_delay_alu instid0(SALU_CYCLE_1)
	v_mov_b32_e32 v2, s17
	ds_add_u64 v0, v[2:3]
	s_cbranch_execnz .LBB4_6523
.LBB4_5690:                             ;   in Loop: Header=BB4_5534 Depth=3
	s_or_b32 exec_lo, exec_lo, s16
	s_cbranch_execnz .LBB4_6501
; %bb.5691:                             ;   in Loop: Header=BB4_5534 Depth=3
	ds_load_b64 v[8:9], v0
	v_add_co_u32 v48, vcc_lo, v48, v97
	v_add_co_ci_u32_e32 v49, vcc_lo, 0, v49, vcc_lo
	s_mov_b32 s16, exec_lo
	s_waitcnt lgkmcnt(0)
	s_delay_alu instid0(VALU_DEP_1)
	v_cmpx_lt_u64_e64 v[8:9], v[48:49]
	s_cbranch_execz .LBB4_5702
; %bb.5692:                             ;   in Loop: Header=BB4_5534 Depth=3
	s_mov_b32 s17, 0
	s_mov_b32 s39, 0
                                        ; implicit-def: $sgpr29
                                        ; implicit-def: $sgpr38
	s_branch .LBB4_5694
.LBB4_5693:                             ;   in Loop: Header=BB4_5694 Depth=4
	s_or_b32 exec_lo, exec_lo, s41
	s_delay_alu instid0(SALU_CYCLE_1) | instskip(NEXT) | instid1(SALU_CYCLE_1)
	s_and_b32 vcc_lo, exec_lo, vcc_lo
	s_or_b32 s17, vcc_lo, s17
	s_and_not1_b32 s29, s29, exec_lo
	s_and_b32 vcc_lo, s38, exec_lo
	s_delay_alu instid0(SALU_CYCLE_1)
	s_or_b32 s29, s29, vcc_lo
	s_and_not1_b32 exec_lo, exec_lo, s17
	s_cbranch_execz .LBB4_5700
.LBB4_5694:                             ;   Parent Loop BB4_51 Depth=1
                                        ;     Parent Loop BB4_5532 Depth=2
                                        ;       Parent Loop BB4_5534 Depth=3
                                        ; =>      This Inner Loop Header: Depth=4
	s_add_i32 s39, s39, 1
                                        ; implicit-def: $sgpr41
	s_delay_alu instid0(SALU_CYCLE_1) | instskip(SKIP_1) | instid1(SALU_CYCLE_1)
	s_cmpk_lg_i32 s39, 0x2710
	s_cselect_b32 s40, -1, 0
	s_and_b32 vcc_lo, exec_lo, s40
	s_cbranch_vccnz .LBB4_5697
; %bb.5695:                             ;   in Loop: Header=BB4_5694 Depth=4
	s_cbranch_execnz .LBB4_6563
; %bb.5696:                             ;   in Loop: Header=BB4_5694 Depth=4
	ds_load_b64 v[8:9], v0
	s_and_not1_b32 s40, s40, exec_lo
	s_mov_b32 s39, 0
	s_mov_b32 s41, -1
	s_waitcnt lgkmcnt(0)
	flat_load_b32 v2, v[8:9] glc
	s_waitcnt vmcnt(0) lgkmcnt(0)
	buffer_gl1_inv
	buffer_gl0_inv
	v_cmp_eq_u32_e32 vcc_lo, 0, v2
	s_and_b32 vcc_lo, vcc_lo, exec_lo
	s_delay_alu instid0(SALU_CYCLE_1)
	s_or_b32 s40, s40, vcc_lo
.LBB4_5697:                             ;   in Loop: Header=BB4_5694 Depth=4
	s_and_not1_b32 s38, s38, exec_lo
	s_and_b32 s41, s41, exec_lo
	s_mov_b32 vcc_lo, -1
	s_or_b32 s38, s38, s41
	s_and_saveexec_b32 s41, s40
	s_cbranch_execz .LBB4_5693
; %bb.5698:                             ;   in Loop: Header=BB4_5694 Depth=4
	s_sleep 1
	s_cbranch_execnz .LBB4_6555
; %bb.5699:                             ;   in Loop: Header=BB4_5694 Depth=4
	ds_load_b64 v[8:9], v0
	s_and_not1_b32 s38, s38, exec_lo
	s_waitcnt lgkmcnt(0)
	v_cmp_ge_u64_e32 vcc_lo, v[8:9], v[48:49]
	s_or_not1_b32 vcc_lo, vcc_lo, exec_lo
	s_branch .LBB4_5693
.LBB4_5700:                             ;   in Loop: Header=BB4_5534 Depth=3
	s_or_b32 exec_lo, exec_lo, s17
	s_and_saveexec_b32 s17, s29
	s_delay_alu instid0(SALU_CYCLE_1)
	s_xor_b32 s17, exec_lo, s17
	s_cbranch_execz .LBB4_5702
; %bb.5701:                             ;   in Loop: Header=BB4_5534 Depth=3
	ds_store_b32 v0, v134
	s_cbranch_execnz .LBB4_6609
.LBB4_5702:                             ;   in Loop: Header=BB4_5534 Depth=3
	s_or_b32 exec_lo, exec_lo, s16
	;;#ASMSTART
	s_wakeup
	;;#ASMEND
.LBB4_5703:                             ;   in Loop: Header=BB4_5534 Depth=3
	s_or_b32 exec_lo, exec_lo, s15
.LBB4_5704:                             ;   in Loop: Header=BB4_5534 Depth=3
	s_and_not1_saveexec_b32 s14, s14
	s_cbranch_execz .LBB4_5706
; %bb.5705:                             ;   in Loop: Header=BB4_5534 Depth=3
	s_waitcnt lgkmcnt(0)
	s_waitcnt_vscnt null, 0x0
	buffer_gl1_inv
	buffer_gl0_inv
	s_barrier
.LBB4_5706:                             ;   in Loop: Header=BB4_5534 Depth=3
	s_or_b32 exec_lo, exec_lo, s14
.LBB4_5707:                             ;   in Loop: Header=BB4_5534 Depth=3
	s_delay_alu instid0(SALU_CYCLE_1) | instskip(SKIP_1) | instid1(SALU_CYCLE_1)
	s_or_b32 exec_lo, exec_lo, s13
                                        ; implicit-def: $vgpr2
	s_and_saveexec_b32 s13, s7
	s_xor_b32 s14, exec_lo, s13
	s_cbranch_execz .LBB4_5711
; %bb.5708:                             ;   in Loop: Header=BB4_5534 Depth=3
	v_and_b32_e32 v2, 16, v30
	v_cmp_lt_i32_e32 vcc_lo, 0, v19
	s_delay_alu instid0(VALU_DEP_2) | instskip(SKIP_1) | instid1(VALU_DEP_2)
	v_cmp_ne_u32_e64 s13, 0, v2
	v_and_b32_e32 v2, 16, v30
	s_and_b32 s15, s13, vcc_lo
	s_delay_alu instid0(SALU_CYCLE_1)
	s_and_saveexec_b32 s13, s15
	s_cbranch_execz .LBB4_5710
; %bb.5709:                             ;   in Loop: Header=BB4_5534 Depth=3
	v_mov_b32_e32 v2, 1
	s_waitcnt lgkmcnt(0)
	s_waitcnt_vscnt null, 0x0
	buffer_gl1_inv
	buffer_gl0_inv
.LBB4_5710:                             ;   in Loop: Header=BB4_5534 Depth=3
	s_or_b32 exec_lo, exec_lo, s13
.LBB4_5711:                             ;   in Loop: Header=BB4_5534 Depth=3
	s_and_not1_saveexec_b32 s13, s14
	s_cbranch_execz .LBB4_5733
; %bb.5712:                             ;   in Loop: Header=BB4_5534 Depth=3
	s_and_saveexec_b32 s14, s4
	s_delay_alu instid0(SALU_CYCLE_1)
	s_xor_b32 s14, exec_lo, s14
	s_cbranch_execz .LBB4_5730
; %bb.5713:                             ;   in Loop: Header=BB4_5534 Depth=3
	s_and_saveexec_b32 s15, s1
	s_cbranch_execz .LBB4_5729
; %bb.5714:                             ;   in Loop: Header=BB4_5534 Depth=3
	s_mov_b32 s17, exec_lo
	s_mov_b32 s16, exec_lo
	v_mbcnt_lo_u32_b32 v2, s17, 0
	;;#ASMSTART
	s_waitcnt lgkmcnt(0) vmcnt(0)
	;;#ASMEND
	s_delay_alu instid0(VALU_DEP_1)
	v_cmpx_eq_u32_e32 0, v2
	s_cbranch_execz .LBB4_5716
; %bb.5715:                             ;   in Loop: Header=BB4_5534 Depth=3
	s_bcnt1_i32_b32 s17, s17
	s_delay_alu instid0(SALU_CYCLE_1)
	v_mov_b32_e32 v2, s17
	ds_add_u64 v0, v[2:3]
	s_cbranch_execnz .LBB4_6525
.LBB4_5716:                             ;   in Loop: Header=BB4_5534 Depth=3
	s_or_b32 exec_lo, exec_lo, s16
	s_cbranch_execnz .LBB4_6505
; %bb.5717:                             ;   in Loop: Header=BB4_5534 Depth=3
	ds_load_b64 v[8:9], v0
	v_add_co_u32 v48, vcc_lo, v48, v97
	v_add_co_ci_u32_e32 v49, vcc_lo, 0, v49, vcc_lo
	s_mov_b32 s16, exec_lo
	s_waitcnt lgkmcnt(0)
	s_delay_alu instid0(VALU_DEP_1)
	v_cmpx_lt_u64_e64 v[8:9], v[48:49]
	s_cbranch_execz .LBB4_5728
; %bb.5718:                             ;   in Loop: Header=BB4_5534 Depth=3
	s_mov_b32 s17, 0
	s_mov_b32 s39, 0
                                        ; implicit-def: $sgpr29
                                        ; implicit-def: $sgpr38
	s_branch .LBB4_5720
.LBB4_5719:                             ;   in Loop: Header=BB4_5720 Depth=4
	s_or_b32 exec_lo, exec_lo, s41
	s_delay_alu instid0(SALU_CYCLE_1) | instskip(NEXT) | instid1(SALU_CYCLE_1)
	s_and_b32 vcc_lo, exec_lo, vcc_lo
	s_or_b32 s17, vcc_lo, s17
	s_and_not1_b32 s29, s29, exec_lo
	s_and_b32 vcc_lo, s38, exec_lo
	s_delay_alu instid0(SALU_CYCLE_1)
	s_or_b32 s29, s29, vcc_lo
	s_and_not1_b32 exec_lo, exec_lo, s17
	s_cbranch_execz .LBB4_5726
.LBB4_5720:                             ;   Parent Loop BB4_51 Depth=1
                                        ;     Parent Loop BB4_5532 Depth=2
                                        ;       Parent Loop BB4_5534 Depth=3
                                        ; =>      This Inner Loop Header: Depth=4
	s_add_i32 s39, s39, 1
                                        ; implicit-def: $sgpr41
	s_delay_alu instid0(SALU_CYCLE_1) | instskip(SKIP_1) | instid1(SALU_CYCLE_1)
	s_cmpk_lg_i32 s39, 0x2710
	s_cselect_b32 s40, -1, 0
	s_and_b32 vcc_lo, exec_lo, s40
	s_cbranch_vccz .LBB4_5724
.LBB4_5721:                             ;   in Loop: Header=BB4_5720 Depth=4
	s_and_not1_b32 s38, s38, exec_lo
	s_and_b32 s41, s41, exec_lo
	s_mov_b32 vcc_lo, -1
	s_or_b32 s38, s38, s41
	s_and_saveexec_b32 s41, s40
	s_cbranch_execz .LBB4_5719
; %bb.5722:                             ;   in Loop: Header=BB4_5720 Depth=4
	s_sleep 1
	s_cbranch_execnz .LBB4_6561
; %bb.5723:                             ;   in Loop: Header=BB4_5720 Depth=4
	ds_load_b64 v[8:9], v0
	s_and_not1_b32 s38, s38, exec_lo
	s_waitcnt lgkmcnt(0)
	v_cmp_ge_u64_e32 vcc_lo, v[8:9], v[48:49]
	s_or_not1_b32 vcc_lo, vcc_lo, exec_lo
	s_branch .LBB4_5719
.LBB4_5724:                             ;   in Loop: Header=BB4_5720 Depth=4
	s_cbranch_execnz .LBB4_6567
; %bb.5725:                             ;   in Loop: Header=BB4_5720 Depth=4
	ds_load_b64 v[8:9], v0
	s_and_not1_b32 s40, s40, exec_lo
	s_mov_b32 s39, 0
	s_mov_b32 s41, -1
	s_waitcnt lgkmcnt(0)
	s_waitcnt_vscnt null, 0x0
	flat_load_b32 v2, v[8:9] glc
	s_waitcnt vmcnt(0) lgkmcnt(0)
	buffer_gl1_inv
	buffer_gl0_inv
	v_cmp_eq_u32_e32 vcc_lo, 0, v2
	s_and_b32 vcc_lo, vcc_lo, exec_lo
	s_delay_alu instid0(SALU_CYCLE_1)
	s_or_b32 s40, s40, vcc_lo
	s_branch .LBB4_5721
.LBB4_5726:                             ;   in Loop: Header=BB4_5534 Depth=3
	s_or_b32 exec_lo, exec_lo, s17
	s_and_saveexec_b32 s17, s29
	s_delay_alu instid0(SALU_CYCLE_1)
	s_xor_b32 s17, exec_lo, s17
	s_cbranch_execz .LBB4_5728
; %bb.5727:                             ;   in Loop: Header=BB4_5534 Depth=3
	ds_store_b32 v0, v134
	s_cbranch_execnz .LBB4_6611
.LBB4_5728:                             ;   in Loop: Header=BB4_5534 Depth=3
	s_or_b32 exec_lo, exec_lo, s16
	;;#ASMSTART
	s_wakeup
	;;#ASMEND
.LBB4_5729:                             ;   in Loop: Header=BB4_5534 Depth=3
	s_or_b32 exec_lo, exec_lo, s15
.LBB4_5730:                             ;   in Loop: Header=BB4_5534 Depth=3
	s_and_not1_saveexec_b32 s14, s14
	s_cbranch_execz .LBB4_5732
; %bb.5731:                             ;   in Loop: Header=BB4_5534 Depth=3
	;;#ASMSTART
	s_waitcnt lgkmcnt(0) vmcnt(0)
	;;#ASMEND
	s_waitcnt lgkmcnt(0)
	s_waitcnt_vscnt null, 0x0
	s_barrier
.LBB4_5732:                             ;   in Loop: Header=BB4_5534 Depth=3
	s_or_b32 exec_lo, exec_lo, s14
	v_and_b32_e32 v2, 16, v30
.LBB4_5733:                             ;   in Loop: Header=BB4_5534 Depth=3
	s_or_b32 exec_lo, exec_lo, s13
	s_delay_alu instid0(VALU_DEP_1) | instskip(SKIP_1) | instid1(SALU_CYCLE_1)
	v_cmp_ne_u32_e32 vcc_lo, 0, v2
	s_xor_b32 s13, s10, -1
	s_and_b32 s14, vcc_lo, s13
	s_delay_alu instid0(SALU_CYCLE_1)
	s_and_saveexec_b32 s13, s14
	s_cbranch_execz .LBB4_5735
; %bb.5734:                             ;   in Loop: Header=BB4_5534 Depth=3
	s_waitcnt lgkmcnt(0)
	s_waitcnt_vscnt null, 0x0
	flat_store_b32 v[38:39], v134
.LBB4_5735:                             ;   in Loop: Header=BB4_5534 Depth=3
	s_or_b32 exec_lo, exec_lo, s13
	v_and_b32_e32 v2, 48, v30
	s_mov_b32 s13, exec_lo
	s_delay_alu instid0(VALU_DEP_1)
	v_cmpx_ne_u32_e32 0, v2
	s_cbranch_execz .LBB4_5737
; %bb.5736:                             ;   in Loop: Header=BB4_5534 Depth=3
	v_add_co_u32 v34, vcc_lo, v34, 2
	v_add_co_ci_u32_e32 v35, vcc_lo, 0, v35, vcc_lo
	s_waitcnt lgkmcnt(0)
	s_waitcnt_vscnt null, 0x0
	flat_store_b64 v[32:33], v[34:35]
.LBB4_5737:                             ;   in Loop: Header=BB4_5534 Depth=3
	s_or_b32 exec_lo, exec_lo, s13
	v_add_nc_u32_e32 v16, v12, v16
	s_xor_b32 s13, s36, -1
	v_mov_b32_e32 v2, s37
	s_mov_b32 s36, 0
	s_mov_b32 s37, 2
	v_cmp_ge_i32_e32 vcc_lo, v16, v15
	s_or_b32 s13, s13, vcc_lo
	s_delay_alu instid0(SALU_CYCLE_1) | instskip(NEXT) | instid1(SALU_CYCLE_1)
	s_and_b32 s13, exec_lo, s13
	s_or_b32 s35, s13, s35
	s_delay_alu instid0(SALU_CYCLE_1)
	s_and_not1_b32 exec_lo, exec_lo, s35
	s_cbranch_execnz .LBB4_5534
; %bb.5738:                             ;   in Loop: Header=BB4_5532 Depth=2
	s_or_b32 exec_lo, exec_lo, s35
.LBB4_5739:                             ;   in Loop: Header=BB4_5532 Depth=2
	s_delay_alu instid0(SALU_CYCLE_1) | instskip(NEXT) | instid1(SALU_CYCLE_1)
	s_or_b32 exec_lo, exec_lo, s34
	s_mov_b32 s14, exec_lo
	v_cmpx_gt_i32_e32 2, v2
	s_cbranch_execz .LBB4_5825
; %bb.5740:                             ;   in Loop: Header=BB4_5532 Depth=2
	v_cmp_eq_u32_e64 s13, 0, v2
	s_mov_b32 s15, 0
.LBB4_5741:                             ;   Parent Loop BB4_51 Depth=1
                                        ;     Parent Loop BB4_5532 Depth=2
                                        ; =>    This Loop Header: Depth=3
                                        ;         Child Loop BB4_5747 Depth 4
                                        ;         Child Loop BB4_5779 Depth 4
	;; [unrolled: 1-line block ×3, first 2 shown]
	v_and_b32_e32 v2, 12, v30
	s_mov_b32 s17, -1
	s_mov_b32 s16, exec_lo
	s_delay_alu instid0(VALU_DEP_1)
	v_cmpx_ne_u32_e32 0, v2
	s_cbranch_execz .LBB4_5755
; %bb.5742:                             ;   in Loop: Header=BB4_5741 Depth=3
	v_and_b32_e32 v2, 8, v30
	s_delay_alu instid0(VALU_DEP_1) | instskip(SKIP_3) | instid1(VALU_DEP_1)
	v_add_co_u32 v10, vcc_lo, v50, v2
	v_add_co_ci_u32_e32 v11, vcc_lo, 0, v51, vcc_lo
	v_add_co_u32 v8, vcc_lo, v34, 2
	v_add_co_ci_u32_e32 v9, vcc_lo, 0, v35, vcc_lo
	v_cmp_lt_u64_e32 vcc_lo, v[10:11], v[8:9]
	v_mov_b32_e32 v10, 1
	s_and_saveexec_b32 s17, vcc_lo
	s_cbranch_execz .LBB4_5754
; %bb.5743:                             ;   in Loop: Header=BB4_5741 Depth=3
	v_mov_b32_e32 v10, 0
	s_mov_b32 s29, 0
                                        ; implicit-def: $sgpr34
	s_branch .LBB4_5747
.LBB4_5744:                             ;   in Loop: Header=BB4_5747 Depth=4
	s_or_b32 exec_lo, exec_lo, s38
	v_mov_b32_e32 v11, 0
	s_or_not1_b32 s37, s37, exec_lo
.LBB4_5745:                             ;   in Loop: Header=BB4_5747 Depth=4
	s_or_b32 exec_lo, exec_lo, s36
	s_delay_alu instid0(VALU_DEP_1) | instskip(SKIP_2) | instid1(SALU_CYCLE_1)
	v_mov_b32_e32 v10, v11
	s_and_not1_b32 vcc_lo, s34, exec_lo
	s_and_b32 s34, s37, exec_lo
	s_or_b32 s34, vcc_lo, s34
.LBB4_5746:                             ;   in Loop: Header=BB4_5747 Depth=4
	s_or_b32 exec_lo, exec_lo, s35
	s_waitcnt vmcnt(0) lgkmcnt(0)
	v_add_co_u32 v13, vcc_lo, v50, v2
	v_add_co_ci_u32_e32 v14, vcc_lo, 0, v51, vcc_lo
	s_xor_b32 s35, s34, -1
	s_delay_alu instid0(VALU_DEP_1) | instskip(SKIP_1) | instid1(SALU_CYCLE_1)
	v_cmp_ge_u64_e32 vcc_lo, v[13:14], v[8:9]
	s_or_b32 vcc_lo, s35, vcc_lo
	s_and_b32 vcc_lo, exec_lo, vcc_lo
	s_delay_alu instid0(SALU_CYCLE_1) | instskip(NEXT) | instid1(SALU_CYCLE_1)
	s_or_b32 s29, vcc_lo, s29
	s_and_not1_b32 exec_lo, exec_lo, s29
	s_cbranch_execz .LBB4_5753
.LBB4_5747:                             ;   Parent Loop BB4_51 Depth=1
                                        ;     Parent Loop BB4_5532 Depth=2
                                        ;       Parent Loop BB4_5741 Depth=3
                                        ; =>      This Inner Loop Header: Depth=4
	s_sleep 1
	flat_load_b64 v[50:51], v[32:33] glc
	v_and_b32_e32 v11, 64, v30
	s_and_not1_b32 s34, s34, exec_lo
	s_mov_b32 s35, exec_lo
	s_delay_alu instid0(VALU_DEP_1)
	v_cmpx_eq_u32_e32 0, v11
	s_cbranch_execz .LBB4_5746
; %bb.5748:                             ;   in Loop: Header=BB4_5747 Depth=4
	v_add_nc_u32_e32 v11, 1, v10
	s_mov_b32 s37, -1
	s_mov_b32 s36, exec_lo
	v_cmpx_lt_i32_e32 0x270e, v10
	s_cbranch_execz .LBB4_5745
; %bb.5749:                             ;   in Loop: Header=BB4_5747 Depth=4
	s_cbranch_execnz .LBB4_6269
; %bb.5750:                             ;   in Loop: Header=BB4_5747 Depth=4
	ds_load_b64 v[10:11], v0
	s_mov_b32 s38, exec_lo
	s_waitcnt vmcnt(0) lgkmcnt(0)
	s_waitcnt_vscnt null, 0x0
	flat_load_b32 v10, v[10:11] glc
	s_waitcnt vmcnt(0) lgkmcnt(0)
	buffer_gl1_inv
	buffer_gl0_inv
	v_cmpx_ne_u32_e32 0, v10
	s_cbranch_execz .LBB4_5744
; %bb.5751:                             ;   in Loop: Header=BB4_5747 Depth=4
	ds_store_b32 v0, v10
	s_cbranch_execnz .LBB4_6353
; %bb.5752:                             ;   in Loop: Header=BB4_5747 Depth=4
	v_or_b32_e32 v30, 64, v30
	s_xor_b32 s37, exec_lo, -1
	s_branch .LBB4_5744
.LBB4_5753:                             ;   in Loop: Header=BB4_5741 Depth=3
	s_or_b32 exec_lo, exec_lo, s29
	v_and_b32_e32 v10, 12, v30
.LBB4_5754:                             ;   in Loop: Header=BB4_5741 Depth=3
	s_or_b32 exec_lo, exec_lo, s17
	s_delay_alu instid0(VALU_DEP_1)
	v_cmp_eq_u32_e32 vcc_lo, 0, v10
	;;#ASMSTART
	s_wakeup
	;;#ASMEND
	s_or_not1_b32 s17, vcc_lo, exec_lo
.LBB4_5755:                             ;   in Loop: Header=BB4_5741 Depth=3
	s_or_b32 exec_lo, exec_lo, s16
	v_sub_nc_u32_e32 v2, v15, v16
	s_xor_b32 s13, s13, -1
	s_delay_alu instid0(SALU_CYCLE_1) | instskip(NEXT) | instid1(SALU_CYCLE_1)
	s_and_b32 s13, exec_lo, s13
	s_or_b32 s15, s13, s15
	s_delay_alu instid0(VALU_DEP_1) | instskip(SKIP_1) | instid1(SALU_CYCLE_1)
	v_min_i32_e32 v12, v12, v2
	s_xor_b32 s13, s17, -1
	s_and_saveexec_b32 s16, s13
	s_cbranch_execz .LBB4_5770
; %bb.5756:                             ;   in Loop: Header=BB4_5741 Depth=3
	v_and_b32_e32 v2, 0x108, v30
	s_mov_b32 s13, exec_lo
	s_delay_alu instid0(VALU_DEP_1)
	v_cmpx_ne_u32_e32 0x108, v2
	s_xor_b32 s13, exec_lo, s13
                                        ; implicit-def: $vgpr8_vgpr9
; %bb.5757:                             ;   in Loop: Header=BB4_5741 Depth=3
	v_and_b32_e32 v8, 7, v34
; %bb.5758:                             ;   in Loop: Header=BB4_5741 Depth=3
	s_and_not1_saveexec_b32 s13, s13
	s_cbranch_execz .LBB4_5760
; %bb.5759:                             ;   in Loop: Header=BB4_5741 Depth=3
	v_and_b32_e32 v8, 7, v34
	v_ashrrev_i32_e32 v13, 31, v12
	s_delay_alu instid0(VALU_DEP_2)
	v_mad_u64_u32 v[9:10], null, v8, 24, v[6:7]
	flat_store_b64 v[9:10], v[12:13] offset:8
.LBB4_5760:                             ;   in Loop: Header=BB4_5741 Depth=3
	s_or_b32 exec_lo, exec_lo, s13
	v_and_b32_e32 v2, 0x100, v30
	s_mov_b32 s13, -1
	s_mov_b32 s17, exec_lo
                                        ; implicit-def: $vgpr9_vgpr10
	s_delay_alu instid0(VALU_DEP_1)
	v_cmpx_ne_u32_e32 0, v2
	s_cbranch_execnz .LBB4_5763
; %bb.5761:                             ;   in Loop: Header=BB4_5741 Depth=3
	s_or_b32 exec_lo, exec_lo, s17
	s_and_saveexec_b32 s17, s13
	s_cbranch_execnz .LBB4_5766
.LBB4_5762:                             ;   in Loop: Header=BB4_5741 Depth=3
	s_or_b32 exec_lo, exec_lo, s17
	s_cbranch_execnz .LBB4_6259
	s_branch .LBB4_5767
.LBB4_5763:                             ;   in Loop: Header=BB4_5741 Depth=3
	v_mad_u64_u32 v[13:14], null, v8, 24, v[6:7]
	s_mov_b32 s29, exec_lo
	s_delay_alu instid0(VALU_DEP_1) | instskip(NEXT) | instid1(VALU_DEP_1)
	v_mov_b32_e32 v2, v14
	v_mad_u64_u32 v[9:10], null, v3, 24, v[2:3]
	s_delay_alu instid0(VALU_DEP_1)
	v_mov_b32_e32 v14, v9
                                        ; implicit-def: $vgpr9_vgpr10
	flat_load_b32 v2, v[13:14]
	s_waitcnt vmcnt(0) lgkmcnt(0)
	v_cmp_ne_u32_e32 vcc_lo, 1, v2
	v_cmpx_eq_u32_e32 1, v2
	s_cbranch_execz .LBB4_5765
; %bb.5764:                             ;   in Loop: Header=BB4_5741 Depth=3
	flat_load_b32 v9, v[13:14] offset:4 glc
	s_waitcnt vmcnt(0) lgkmcnt(0)
	v_ashrrev_i32_e32 v10, 31, v9
.LBB4_5765:                             ;   in Loop: Header=BB4_5741 Depth=3
	s_or_b32 exec_lo, exec_lo, s29
	s_delay_alu instid0(SALU_CYCLE_1)
	s_or_not1_b32 s13, vcc_lo, exec_lo
	s_or_b32 exec_lo, exec_lo, s17
	s_and_saveexec_b32 s17, s13
	s_cbranch_execz .LBB4_5762
.LBB4_5766:                             ;   in Loop: Header=BB4_5741 Depth=3
	v_mul_lo_u32 v2, v3, v86
	v_mul_lo_u32 v11, v8, v96
	v_mad_u64_u32 v[9:10], null, v8, v86, 0
	s_delay_alu instid0(VALU_DEP_1)
	v_add3_u32 v10, v10, v11, v2
	s_or_b32 exec_lo, exec_lo, s17
	s_cbranch_execnz .LBB4_6259
.LBB4_5767:                             ;   in Loop: Header=BB4_5741 Depth=3
	s_delay_alu instid0(VALU_DEP_2)
	v_add_co_u32 v8, vcc_lo, v36, v9
	v_and_b32_e32 v2, 0x2000, v30
	v_add_co_ci_u32_e32 v9, vcc_lo, v37, v10, vcc_lo
	s_mov_b32 s13, exec_lo
	ds_store_b64 v0, v[8:9]
	v_cmpx_ne_u32_e32 0, v2
	s_cbranch_execz .LBB4_5769
; %bb.5768:                             ;   in Loop: Header=BB4_5741 Depth=3
	ds_load_b64 v[8:9], v0 offset:584
	s_waitcnt lgkmcnt(0)
	v_add_co_u32 v8, vcc_lo, v8, 1
	v_add_co_ci_u32_e32 v9, vcc_lo, 0, v9, vcc_lo
	ds_store_b64 v0, v[8:9] offset:584
.LBB4_5769:                             ;   in Loop: Header=BB4_5741 Depth=3
	s_or_b32 exec_lo, exec_lo, s13
	v_add_co_u32 v34, vcc_lo, v34, 2
	v_add_co_ci_u32_e32 v35, vcc_lo, 0, v35, vcc_lo
.LBB4_5770:                             ;   in Loop: Header=BB4_5741 Depth=3
	s_or_b32 exec_lo, exec_lo, s16
	s_and_saveexec_b32 s13, s3
	s_cbranch_execz .LBB4_5792
; %bb.5771:                             ;   in Loop: Header=BB4_5741 Depth=3
	s_and_saveexec_b32 s16, s4
	s_delay_alu instid0(SALU_CYCLE_1)
	s_xor_b32 s16, exec_lo, s16
	s_cbranch_execz .LBB4_5789
; %bb.5772:                             ;   in Loop: Header=BB4_5741 Depth=3
	s_and_saveexec_b32 s17, s1
	s_cbranch_execz .LBB4_5788
; %bb.5773:                             ;   in Loop: Header=BB4_5741 Depth=3
	s_mov_b32 s34, exec_lo
	s_mov_b32 s29, exec_lo
	v_mbcnt_lo_u32_b32 v2, s34, 0
	s_waitcnt lgkmcnt(0)
	s_waitcnt_vscnt null, 0x0
	buffer_gl1_inv
	buffer_gl0_inv
	v_cmpx_eq_u32_e32 0, v2
	s_cbranch_execz .LBB4_5775
; %bb.5774:                             ;   in Loop: Header=BB4_5741 Depth=3
	s_bcnt1_i32_b32 vcc_lo, s34
	s_delay_alu instid0(SALU_CYCLE_1)
	v_mov_b32_e32 v2, vcc_lo
	ds_add_u64 v0, v[2:3]
	s_cbranch_execnz .LBB4_6409
.LBB4_5775:                             ;   in Loop: Header=BB4_5741 Depth=3
	s_or_b32 exec_lo, exec_lo, s29
	s_cbranch_execnz .LBB4_6379
; %bb.5776:                             ;   in Loop: Header=BB4_5741 Depth=3
	ds_load_b64 v[8:9], v0
	v_add_co_u32 v48, vcc_lo, v48, v97
	v_add_co_ci_u32_e32 v49, vcc_lo, 0, v49, vcc_lo
	s_mov_b32 s29, exec_lo
	s_waitcnt lgkmcnt(0)
	s_delay_alu instid0(VALU_DEP_1)
	v_cmpx_lt_u64_e64 v[8:9], v[48:49]
	s_cbranch_execz .LBB4_5787
; %bb.5777:                             ;   in Loop: Header=BB4_5741 Depth=3
	s_mov_b32 s34, 0
	s_mov_b32 s37, 0
                                        ; implicit-def: $sgpr35
                                        ; implicit-def: $sgpr36
	s_branch .LBB4_5779
.LBB4_5778:                             ;   in Loop: Header=BB4_5779 Depth=4
	s_or_b32 exec_lo, exec_lo, s39
	s_delay_alu instid0(SALU_CYCLE_1) | instskip(NEXT) | instid1(SALU_CYCLE_1)
	s_and_b32 vcc_lo, exec_lo, vcc_lo
	s_or_b32 s34, vcc_lo, s34
	s_and_not1_b32 vcc_lo, s35, exec_lo
	s_and_b32 s35, s36, exec_lo
	s_delay_alu instid0(SALU_CYCLE_1)
	s_or_b32 s35, vcc_lo, s35
	s_and_not1_b32 exec_lo, exec_lo, s34
	s_cbranch_execz .LBB4_5785
.LBB4_5779:                             ;   Parent Loop BB4_51 Depth=1
                                        ;     Parent Loop BB4_5532 Depth=2
                                        ;       Parent Loop BB4_5741 Depth=3
                                        ; =>      This Inner Loop Header: Depth=4
	s_add_i32 s37, s37, 1
                                        ; implicit-def: $sgpr39
	s_delay_alu instid0(SALU_CYCLE_1) | instskip(SKIP_1) | instid1(SALU_CYCLE_1)
	s_cmpk_lg_i32 s37, 0x2710
	s_cselect_b32 s38, -1, 0
	s_and_b32 vcc_lo, exec_lo, s38
	s_cbranch_vccz .LBB4_5783
.LBB4_5780:                             ;   in Loop: Header=BB4_5779 Depth=4
	s_and_not1_b32 s36, s36, exec_lo
	s_and_b32 s39, s39, exec_lo
	s_mov_b32 vcc_lo, -1
	s_or_b32 s36, s36, s39
	s_and_saveexec_b32 s39, s38
	s_cbranch_execz .LBB4_5778
; %bb.5781:                             ;   in Loop: Header=BB4_5779 Depth=4
	s_sleep 1
	s_cbranch_execnz .LBB4_6459
; %bb.5782:                             ;   in Loop: Header=BB4_5779 Depth=4
	ds_load_b64 v[8:9], v0
	s_and_not1_b32 s36, s36, exec_lo
	s_waitcnt lgkmcnt(0)
	v_cmp_ge_u64_e32 vcc_lo, v[8:9], v[48:49]
	s_or_not1_b32 vcc_lo, vcc_lo, exec_lo
	s_branch .LBB4_5778
.LBB4_5783:                             ;   in Loop: Header=BB4_5779 Depth=4
	s_cbranch_execnz .LBB4_6477
; %bb.5784:                             ;   in Loop: Header=BB4_5779 Depth=4
	ds_load_b64 v[8:9], v0
	s_and_not1_b32 s38, s38, exec_lo
	s_mov_b32 s37, 0
	s_mov_b32 s39, -1
	s_waitcnt lgkmcnt(0)
	flat_load_b32 v2, v[8:9] glc
	s_waitcnt vmcnt(0) lgkmcnt(0)
	buffer_gl1_inv
	buffer_gl0_inv
	v_cmp_eq_u32_e32 vcc_lo, 0, v2
	s_and_b32 vcc_lo, vcc_lo, exec_lo
	s_delay_alu instid0(SALU_CYCLE_1)
	s_or_b32 s38, s38, vcc_lo
	s_branch .LBB4_5780
.LBB4_5785:                             ;   in Loop: Header=BB4_5741 Depth=3
	s_or_b32 exec_lo, exec_lo, s34
	s_and_saveexec_b32 vcc_lo, s35
	s_delay_alu instid0(SALU_CYCLE_1)
	s_xor_b32 vcc_lo, exec_lo, vcc_lo
	s_cbranch_execz .LBB4_5787
; %bb.5786:                             ;   in Loop: Header=BB4_5741 Depth=3
	ds_store_b32 v0, v134
	s_cbranch_execnz .LBB4_6591
.LBB4_5787:                             ;   in Loop: Header=BB4_5741 Depth=3
	s_or_b32 exec_lo, exec_lo, s29
	;;#ASMSTART
	s_wakeup
	;;#ASMEND
.LBB4_5788:                             ;   in Loop: Header=BB4_5741 Depth=3
	s_or_b32 exec_lo, exec_lo, s17
.LBB4_5789:                             ;   in Loop: Header=BB4_5741 Depth=3
	s_and_not1_saveexec_b32 s16, s16
	s_cbranch_execz .LBB4_5791
; %bb.5790:                             ;   in Loop: Header=BB4_5741 Depth=3
	s_waitcnt lgkmcnt(0)
	s_waitcnt_vscnt null, 0x0
	buffer_gl1_inv
	buffer_gl0_inv
	s_barrier
.LBB4_5791:                             ;   in Loop: Header=BB4_5741 Depth=3
	s_or_b32 exec_lo, exec_lo, s16
.LBB4_5792:                             ;   in Loop: Header=BB4_5741 Depth=3
	s_delay_alu instid0(SALU_CYCLE_1) | instskip(SKIP_1) | instid1(SALU_CYCLE_1)
	s_or_b32 exec_lo, exec_lo, s13
                                        ; implicit-def: $vgpr2
	s_and_saveexec_b32 s13, s7
	s_xor_b32 s16, exec_lo, s13
	s_cbranch_execz .LBB4_5797
; %bb.5793:                             ;   in Loop: Header=BB4_5741 Depth=3
	s_cbranch_execnz .LBB4_6291
; %bb.5794:                             ;   in Loop: Header=BB4_5741 Depth=3
	ds_load_b32 v2, v0
	v_cmp_lt_i32_e32 vcc_lo, 0, v12
	s_waitcnt lgkmcnt(0)
	v_readfirstlane_b32 s13, v2
	v_and_b32_e32 v2, 16, v30
	s_delay_alu instid0(VALU_DEP_2) | instskip(NEXT) | instid1(VALU_DEP_1)
	s_cmp_eq_u32 s13, 0
	v_cmp_ne_u32_e64 s13, 0, v2
	s_cselect_b32 s17, -1, 0
	v_and_b32_e32 v2, 16, v30
	s_and_b32 s17, vcc_lo, s17
	s_delay_alu instid0(VALU_DEP_2) | instid1(SALU_CYCLE_1)
	s_and_b32 s17, s13, s17
	s_delay_alu instid0(SALU_CYCLE_1)
	s_and_saveexec_b32 s13, s17
	s_cbranch_execz .LBB4_5796
; %bb.5795:                             ;   in Loop: Header=BB4_5741 Depth=3
	v_mov_b32_e32 v2, 1
	s_waitcnt_vscnt null, 0x0
	buffer_gl1_inv
	buffer_gl0_inv
.LBB4_5796:                             ;   in Loop: Header=BB4_5741 Depth=3
	s_or_b32 exec_lo, exec_lo, s13
.LBB4_5797:                             ;   in Loop: Header=BB4_5741 Depth=3
	s_and_not1_saveexec_b32 s13, s16
	s_cbranch_execz .LBB4_5819
; %bb.5798:                             ;   in Loop: Header=BB4_5741 Depth=3
	s_and_saveexec_b32 s16, s4
	s_delay_alu instid0(SALU_CYCLE_1)
	s_xor_b32 s16, exec_lo, s16
	s_cbranch_execz .LBB4_5816
; %bb.5799:                             ;   in Loop: Header=BB4_5741 Depth=3
	s_and_saveexec_b32 s17, s1
	s_cbranch_execz .LBB4_5815
; %bb.5800:                             ;   in Loop: Header=BB4_5741 Depth=3
	s_mov_b32 s34, exec_lo
	s_mov_b32 s29, exec_lo
	v_mbcnt_lo_u32_b32 v2, s34, 0
	;;#ASMSTART
	s_waitcnt lgkmcnt(0) vmcnt(0)
	;;#ASMEND
	s_delay_alu instid0(VALU_DEP_1)
	v_cmpx_eq_u32_e32 0, v2
	s_cbranch_execz .LBB4_5802
; %bb.5801:                             ;   in Loop: Header=BB4_5741 Depth=3
	s_bcnt1_i32_b32 vcc_lo, s34
	s_delay_alu instid0(SALU_CYCLE_1)
	v_mov_b32_e32 v2, vcc_lo
	ds_add_u64 v0, v[2:3]
	s_cbranch_execnz .LBB4_6429
.LBB4_5802:                             ;   in Loop: Header=BB4_5741 Depth=3
	s_or_b32 exec_lo, exec_lo, s29
	s_cbranch_execnz .LBB4_6407
; %bb.5803:                             ;   in Loop: Header=BB4_5741 Depth=3
	ds_load_b64 v[8:9], v0
	v_add_co_u32 v48, vcc_lo, v48, v97
	v_add_co_ci_u32_e32 v49, vcc_lo, 0, v49, vcc_lo
	s_mov_b32 s29, exec_lo
	s_waitcnt lgkmcnt(0)
	s_delay_alu instid0(VALU_DEP_1)
	v_cmpx_lt_u64_e64 v[8:9], v[48:49]
	s_cbranch_execz .LBB4_5814
; %bb.5804:                             ;   in Loop: Header=BB4_5741 Depth=3
	s_mov_b32 s34, 0
	s_mov_b32 s37, 0
                                        ; implicit-def: $sgpr35
                                        ; implicit-def: $sgpr36
	s_branch .LBB4_5806
.LBB4_5805:                             ;   in Loop: Header=BB4_5806 Depth=4
	s_or_b32 exec_lo, exec_lo, s39
	s_delay_alu instid0(SALU_CYCLE_1) | instskip(NEXT) | instid1(SALU_CYCLE_1)
	s_and_b32 vcc_lo, exec_lo, vcc_lo
	s_or_b32 s34, vcc_lo, s34
	s_and_not1_b32 vcc_lo, s35, exec_lo
	s_and_b32 s35, s36, exec_lo
	s_delay_alu instid0(SALU_CYCLE_1)
	s_or_b32 s35, vcc_lo, s35
	s_and_not1_b32 exec_lo, exec_lo, s34
	s_cbranch_execz .LBB4_5812
.LBB4_5806:                             ;   Parent Loop BB4_51 Depth=1
                                        ;     Parent Loop BB4_5532 Depth=2
                                        ;       Parent Loop BB4_5741 Depth=3
                                        ; =>      This Inner Loop Header: Depth=4
	s_add_i32 s37, s37, 1
                                        ; implicit-def: $sgpr39
	s_delay_alu instid0(SALU_CYCLE_1) | instskip(SKIP_1) | instid1(SALU_CYCLE_1)
	s_cmpk_lg_i32 s37, 0x2710
	s_cselect_b32 s38, -1, 0
	s_and_b32 vcc_lo, exec_lo, s38
	s_cbranch_vccz .LBB4_5810
.LBB4_5807:                             ;   in Loop: Header=BB4_5806 Depth=4
	s_and_not1_b32 s36, s36, exec_lo
	s_and_b32 s39, s39, exec_lo
	s_mov_b32 vcc_lo, -1
	s_or_b32 s36, s36, s39
	s_and_saveexec_b32 s39, s38
	s_cbranch_execz .LBB4_5805
; %bb.5808:                             ;   in Loop: Header=BB4_5806 Depth=4
	s_sleep 1
	s_cbranch_execnz .LBB4_6485
; %bb.5809:                             ;   in Loop: Header=BB4_5806 Depth=4
	ds_load_b64 v[8:9], v0
	s_and_not1_b32 s36, s36, exec_lo
	s_waitcnt lgkmcnt(0)
	v_cmp_ge_u64_e32 vcc_lo, v[8:9], v[48:49]
	s_or_not1_b32 vcc_lo, vcc_lo, exec_lo
	s_branch .LBB4_5805
.LBB4_5810:                             ;   in Loop: Header=BB4_5806 Depth=4
	s_cbranch_execnz .LBB4_6499
; %bb.5811:                             ;   in Loop: Header=BB4_5806 Depth=4
	ds_load_b64 v[8:9], v0
	s_and_not1_b32 s38, s38, exec_lo
	s_mov_b32 s37, 0
	s_mov_b32 s39, -1
	s_waitcnt lgkmcnt(0)
	s_waitcnt_vscnt null, 0x0
	flat_load_b32 v2, v[8:9] glc
	s_waitcnt vmcnt(0) lgkmcnt(0)
	buffer_gl1_inv
	buffer_gl0_inv
	v_cmp_eq_u32_e32 vcc_lo, 0, v2
	s_and_b32 vcc_lo, vcc_lo, exec_lo
	s_delay_alu instid0(SALU_CYCLE_1)
	s_or_b32 s38, s38, vcc_lo
	s_branch .LBB4_5807
.LBB4_5812:                             ;   in Loop: Header=BB4_5741 Depth=3
	s_or_b32 exec_lo, exec_lo, s34
	s_and_saveexec_b32 vcc_lo, s35
	s_delay_alu instid0(SALU_CYCLE_1)
	s_xor_b32 vcc_lo, exec_lo, vcc_lo
	s_cbranch_execz .LBB4_5814
; %bb.5813:                             ;   in Loop: Header=BB4_5741 Depth=3
	ds_store_b32 v0, v134
	s_cbranch_execnz .LBB4_6599
.LBB4_5814:                             ;   in Loop: Header=BB4_5741 Depth=3
	s_or_b32 exec_lo, exec_lo, s29
	;;#ASMSTART
	s_wakeup
	;;#ASMEND
.LBB4_5815:                             ;   in Loop: Header=BB4_5741 Depth=3
	s_or_b32 exec_lo, exec_lo, s17
.LBB4_5816:                             ;   in Loop: Header=BB4_5741 Depth=3
	s_and_not1_saveexec_b32 s16, s16
	s_cbranch_execz .LBB4_5818
; %bb.5817:                             ;   in Loop: Header=BB4_5741 Depth=3
	;;#ASMSTART
	s_waitcnt lgkmcnt(0) vmcnt(0)
	;;#ASMEND
	s_waitcnt lgkmcnt(0)
	s_waitcnt_vscnt null, 0x0
	s_barrier
.LBB4_5818:                             ;   in Loop: Header=BB4_5741 Depth=3
	s_or_b32 exec_lo, exec_lo, s16
	v_and_b32_e32 v2, 16, v30
.LBB4_5819:                             ;   in Loop: Header=BB4_5741 Depth=3
	s_or_b32 exec_lo, exec_lo, s13
	s_delay_alu instid0(VALU_DEP_1) | instskip(SKIP_1) | instid1(SALU_CYCLE_1)
	v_cmp_ne_u32_e32 vcc_lo, 0, v2
	s_xor_b32 s13, s10, -1
	s_and_b32 s16, vcc_lo, s13
	s_delay_alu instid0(SALU_CYCLE_1)
	s_and_saveexec_b32 s13, s16
	s_cbranch_execz .LBB4_5821
; %bb.5820:                             ;   in Loop: Header=BB4_5741 Depth=3
	s_waitcnt lgkmcnt(0)
	s_waitcnt_vscnt null, 0x0
	flat_store_b32 v[38:39], v134
.LBB4_5821:                             ;   in Loop: Header=BB4_5741 Depth=3
	s_or_b32 exec_lo, exec_lo, s13
	v_and_b32_e32 v2, 48, v30
	s_mov_b32 s13, exec_lo
	s_delay_alu instid0(VALU_DEP_1)
	v_cmpx_ne_u32_e32 0, v2
	s_cbranch_execz .LBB4_5823
; %bb.5822:                             ;   in Loop: Header=BB4_5741 Depth=3
	v_add_co_u32 v34, vcc_lo, v34, 2
	v_add_co_ci_u32_e32 v35, vcc_lo, 0, v35, vcc_lo
	s_waitcnt lgkmcnt(0)
	s_waitcnt_vscnt null, 0x0
	flat_store_b64 v[32:33], v[34:35]
.LBB4_5823:                             ;   in Loop: Header=BB4_5741 Depth=3
	s_or_b32 exec_lo, exec_lo, s13
	v_add_nc_u32_e32 v16, v12, v16
	s_mov_b32 s13, 0
	s_and_not1_b32 exec_lo, exec_lo, s15
	s_cbranch_execnz .LBB4_5741
; %bb.5824:                             ;   in Loop: Header=BB4_5532 Depth=2
	s_or_b32 exec_lo, exec_lo, s15
.LBB4_5825:                             ;   in Loop: Header=BB4_5532 Depth=2
	s_delay_alu instid0(SALU_CYCLE_1) | instskip(SKIP_2) | instid1(VALU_DEP_1)
	s_or_b32 exec_lo, exec_lo, s14
	v_readlane_b32 s14, v56, 7
	s_add_i32 s13, s31, 1
	s_cmp_eq_u32 s31, s14
	s_cbranch_scc1 .LBB4_5827
; %bb.5826:                             ;   in Loop: Header=BB4_5532 Depth=2
	s_mov_b32 s31, s13
	s_branch .LBB4_5532
.LBB4_5827:                             ;   in Loop: Header=BB4_51 Depth=1
	v_readlane_b32 s14, v56, 5
	v_readlane_b32 s13, v56, 6
	v_mov_b32_e32 v14, 0
	s_mov_b32 s16, 0
	s_delay_alu instid0(VALU_DEP_3) | instskip(NEXT) | instid1(VALU_DEP_3)
	v_mul_lo_u32 v2, v65, s14
	v_mul_lo_u32 v10, v64, s13
	v_mad_u64_u32 v[8:9], null, v64, s14, 0
	s_delay_alu instid0(VALU_DEP_1) | instskip(NEXT) | instid1(VALU_DEP_2)
	v_add3_u32 v9, v9, v10, v2
	v_sub_co_u32 v10, vcc_lo, v66, v8
	s_delay_alu instid0(VALU_DEP_2) | instskip(NEXT) | instid1(VALU_DEP_1)
	v_sub_co_ci_u32_e32 v11, vcc_lo, v67, v9, vcc_lo
	v_cmp_lt_i64_e32 vcc_lo, v[64:65], v[10:11]
	v_cndmask_b32_e32 v10, v10, v64, vcc_lo
	s_delay_alu instid0(VALU_DEP_1) | instskip(NEXT) | instid1(VALU_DEP_1)
	v_max_i32_e32 v12, 0, v10
	v_add_nc_u32_e32 v2, 31, v12
	s_delay_alu instid0(VALU_DEP_1) | instskip(NEXT) | instid1(VALU_DEP_1)
	v_lshrrev_b32_e32 v2, 1, v2
	v_and_b32_e32 v11, 0x3ffffff0, v2
	v_cmp_lt_i32_e32 vcc_lo, 0, v10
	v_mov_b32_e32 v2, 0
	s_delay_alu instid0(VALU_DEP_3) | instskip(SKIP_1) | instid1(SALU_CYCLE_1)
	v_max_i32_e32 v13, s28, v11
	s_and_b32 s13, s30, vcc_lo
	s_and_saveexec_b32 s15, s13
	s_cbranch_execz .LBB4_5988
; %bb.5828:                             ;   in Loop: Header=BB4_51 Depth=1
	v_add_co_u32 v15, vcc_lo, v8, v135
	v_add_co_ci_u32_e32 v16, vcc_lo, v9, v144, vcc_lo
	v_mov_b32_e32 v14, 0
	s_mov_b32 s31, 1
	s_mov_b32 s17, -1
.LBB4_5829:                             ;   Parent Loop BB4_51 Depth=1
                                        ; =>  This Loop Header: Depth=2
                                        ;       Child Loop BB4_5838 Depth 3
                                        ;       Child Loop BB4_5865 Depth 3
	;; [unrolled: 1-line block ×9, first 2 shown]
	s_and_saveexec_b32 s14, s0
	s_cbranch_execz .LBB4_5832
; %bb.5830:                             ;   in Loop: Header=BB4_5829 Depth=2
	s_cbranch_execnz .LBB4_6243
; %bb.5831:                             ;   in Loop: Header=BB4_5829 Depth=2
	ds_load_b128 v[8:11], v0
	v_ashrrev_i32_e32 v2, 31, v14
	s_waitcnt lgkmcnt(0)
	v_add_co_u32 v17, vcc_lo, v10, v15
	v_add_co_ci_u32_e32 v18, vcc_lo, v11, v16, vcc_lo
	v_add_co_u32 v8, vcc_lo, v8, v15
	v_add_co_ci_u32_e32 v9, vcc_lo, v9, v16, vcc_lo
	s_delay_alu instid0(VALU_DEP_4) | instskip(NEXT) | instid1(VALU_DEP_4)
	v_add_co_u32 v17, vcc_lo, v17, v14
	v_add_co_ci_u32_e32 v18, vcc_lo, v18, v2, vcc_lo
	v_cmp_ne_u64_e32 vcc_lo, 0, v[10:11]
	v_add_co_u32 v8, s13, v8, v14
	s_delay_alu instid0(VALU_DEP_1) | instskip(NEXT) | instid1(VALU_DEP_4)
	v_add_co_ci_u32_e64 v9, s13, v9, v2, s13
	v_dual_cndmask_b32 v11, 0, v18 :: v_dual_cndmask_b32 v10, 0, v17
	ds_store_b64 v0, v[8:9]
	ds_store_b64 v0, v[10:11]
.LBB4_5832:                             ;   in Loop: Header=BB4_5829 Depth=2
	s_or_b32 exec_lo, exec_lo, s14
	v_and_b32_e32 v2, 4, v30
	s_mov_b32 s14, -1
	s_mov_b32 s13, exec_lo
	s_delay_alu instid0(VALU_DEP_1)
	v_cmpx_ne_u32_e32 0, v2
	s_cbranch_execz .LBB4_5846
; %bb.5833:                             ;   in Loop: Header=BB4_5829 Depth=2
	v_add_co_u32 v8, vcc_lo, v34, 2
	v_add_co_ci_u32_e32 v9, vcc_lo, 0, v35, vcc_lo
	v_mov_b32_e32 v2, 1
	s_mov_b32 s14, exec_lo
	s_delay_alu instid0(VALU_DEP_2)
	v_cmpx_lt_u64_e64 v[50:51], v[8:9]
	s_cbranch_execz .LBB4_5845
; %bb.5834:                             ;   in Loop: Header=BB4_5829 Depth=2
	v_mov_b32_e32 v2, 0
	s_mov_b32 s29, 0
                                        ; implicit-def: $sgpr34
	s_branch .LBB4_5838
.LBB4_5835:                             ;   in Loop: Header=BB4_5838 Depth=3
	s_or_b32 exec_lo, exec_lo, s38
	v_mov_b32_e32 v10, 0
	s_or_not1_b32 s37, s37, exec_lo
.LBB4_5836:                             ;   in Loop: Header=BB4_5838 Depth=3
	s_or_b32 exec_lo, exec_lo, s36
	s_delay_alu instid0(VALU_DEP_1) | instskip(SKIP_2) | instid1(SALU_CYCLE_1)
	v_mov_b32_e32 v2, v10
	s_and_not1_b32 vcc_lo, s34, exec_lo
	s_and_b32 s34, s37, exec_lo
	s_or_b32 s34, vcc_lo, s34
.LBB4_5837:                             ;   in Loop: Header=BB4_5838 Depth=3
	s_or_b32 exec_lo, exec_lo, s35
	s_waitcnt vmcnt(0) lgkmcnt(0)
	v_cmp_ge_u64_e32 vcc_lo, v[50:51], v[8:9]
	s_xor_b32 s35, s34, -1
	s_delay_alu instid0(SALU_CYCLE_1) | instskip(NEXT) | instid1(SALU_CYCLE_1)
	s_or_b32 vcc_lo, s35, vcc_lo
	s_and_b32 vcc_lo, exec_lo, vcc_lo
	s_delay_alu instid0(SALU_CYCLE_1) | instskip(NEXT) | instid1(SALU_CYCLE_1)
	s_or_b32 s29, vcc_lo, s29
	s_and_not1_b32 exec_lo, exec_lo, s29
	s_cbranch_execz .LBB4_5844
.LBB4_5838:                             ;   Parent Loop BB4_51 Depth=1
                                        ;     Parent Loop BB4_5829 Depth=2
                                        ; =>    This Inner Loop Header: Depth=3
	s_sleep 1
	flat_load_b64 v[50:51], v[32:33] glc
	v_and_b32_e32 v10, 64, v30
	s_and_not1_b32 s34, s34, exec_lo
	s_mov_b32 s35, exec_lo
	s_delay_alu instid0(VALU_DEP_1)
	v_cmpx_eq_u32_e32 0, v10
	s_cbranch_execz .LBB4_5837
; %bb.5839:                             ;   in Loop: Header=BB4_5838 Depth=3
	v_add_nc_u32_e32 v10, 1, v2
	s_mov_b32 s37, -1
	s_mov_b32 s36, exec_lo
	v_cmpx_lt_i32_e32 0x270e, v2
	s_cbranch_execz .LBB4_5836
; %bb.5840:                             ;   in Loop: Header=BB4_5838 Depth=3
	s_cbranch_execnz .LBB4_6287
; %bb.5841:                             ;   in Loop: Header=BB4_5838 Depth=3
	ds_load_b64 v[10:11], v0
	s_mov_b32 s38, exec_lo
	s_waitcnt vmcnt(0) lgkmcnt(0)
	s_waitcnt_vscnt null, 0x0
	flat_load_b32 v2, v[10:11] glc
	s_waitcnt vmcnt(0) lgkmcnt(0)
	buffer_gl1_inv
	buffer_gl0_inv
	v_cmpx_ne_u32_e32 0, v2
	s_cbranch_execz .LBB4_5835
; %bb.5842:                             ;   in Loop: Header=BB4_5838 Depth=3
	ds_store_b32 v0, v2
	s_cbranch_execnz .LBB4_6365
; %bb.5843:                             ;   in Loop: Header=BB4_5838 Depth=3
	v_or_b32_e32 v30, 64, v30
	s_xor_b32 s37, exec_lo, -1
	s_branch .LBB4_5835
.LBB4_5844:                             ;   in Loop: Header=BB4_5829 Depth=2
	s_or_b32 exec_lo, exec_lo, s29
	v_and_b32_e32 v2, 4, v30
.LBB4_5845:                             ;   in Loop: Header=BB4_5829 Depth=2
	s_or_b32 exec_lo, exec_lo, s14
	s_delay_alu instid0(VALU_DEP_1)
	v_cmp_eq_u32_e32 vcc_lo, 0, v2
	;;#ASMSTART
	s_wakeup
	;;#ASMEND
	s_or_not1_b32 s14, vcc_lo, exec_lo
.LBB4_5846:                             ;   in Loop: Header=BB4_5829 Depth=2
	s_or_b32 exec_lo, exec_lo, s13
	s_xor_b32 s13, s14, -1
	s_delay_alu instid0(SALU_CYCLE_1)
	s_and_saveexec_b32 s14, s13
	s_cbranch_execz .LBB4_5856
; %bb.5847:                             ;   in Loop: Header=BB4_5829 Depth=2
	v_and_b32_e32 v2, 0x100, v30
	s_mov_b32 s13, -1
                                        ; implicit-def: $vgpr8_vgpr9
	s_delay_alu instid0(VALU_DEP_1)
	v_cmp_ne_u32_e32 vcc_lo, 0, v2
	v_and_b32_e32 v2, 7, v34
	s_and_saveexec_b32 s29, vcc_lo
	s_cbranch_execz .LBB4_5851
; %bb.5848:                             ;   in Loop: Header=BB4_5829 Depth=2
	s_delay_alu instid0(VALU_DEP_1) | instskip(SKIP_4) | instid1(VALU_DEP_1)
	v_mad_u64_u32 v[10:11], null, v2, 24, v[6:7]
	flat_load_b32 v8, v[10:11]
	s_waitcnt vmcnt(0) lgkmcnt(0)
	v_cmp_ne_u32_e32 vcc_lo, 1, v8
	v_cmp_eq_u32_e64 s13, 1, v8
                                        ; implicit-def: $vgpr8_vgpr9
	s_and_saveexec_b32 s34, s13
	s_cbranch_execz .LBB4_5850
; %bb.5849:                             ;   in Loop: Header=BB4_5829 Depth=2
	flat_load_b32 v8, v[10:11] offset:4 glc
	s_waitcnt vmcnt(0) lgkmcnt(0)
	v_ashrrev_i32_e32 v9, 31, v8
.LBB4_5850:                             ;   in Loop: Header=BB4_5829 Depth=2
	s_or_b32 exec_lo, exec_lo, s34
	s_delay_alu instid0(SALU_CYCLE_1)
	s_or_not1_b32 s13, vcc_lo, exec_lo
.LBB4_5851:                             ;   in Loop: Header=BB4_5829 Depth=2
	s_or_b32 exec_lo, exec_lo, s29
	s_and_saveexec_b32 s29, s13
; %bb.5852:                             ;   in Loop: Header=BB4_5829 Depth=2
	v_mad_i64_i32 v[8:9], null, v2, v86, 0
; %bb.5853:                             ;   in Loop: Header=BB4_5829 Depth=2
	s_or_b32 exec_lo, exec_lo, s29
	s_delay_alu instid0(VALU_DEP_1) | instskip(SKIP_1) | instid1(VALU_DEP_3)
	v_add_co_u32 v8, vcc_lo, v36, v8
	v_and_b32_e32 v2, 0x2000, v30
	v_add_co_ci_u32_e32 v9, vcc_lo, v37, v9, vcc_lo
	s_mov_b32 s13, exec_lo
	ds_store_b64 v0, v[8:9] offset:720
	v_cmpx_ne_u32_e32 0, v2
	s_cbranch_execz .LBB4_5855
; %bb.5854:                             ;   in Loop: Header=BB4_5829 Depth=2
	ds_load_b64 v[8:9], v0 offset:584
	s_waitcnt lgkmcnt(0)
	v_add_co_u32 v8, vcc_lo, v8, 1
	v_add_co_ci_u32_e32 v9, vcc_lo, 0, v9, vcc_lo
	ds_store_b64 v0, v[8:9] offset:584
.LBB4_5855:                             ;   in Loop: Header=BB4_5829 Depth=2
	s_or_b32 exec_lo, exec_lo, s13
	v_add_co_u32 v34, vcc_lo, v34, 2
	v_add_co_ci_u32_e32 v35, vcc_lo, 0, v35, vcc_lo
.LBB4_5856:                             ;   in Loop: Header=BB4_5829 Depth=2
	s_or_b32 exec_lo, exec_lo, s14
	s_and_saveexec_b32 s13, s3
	s_cbranch_execz .LBB4_5878
; %bb.5857:                             ;   in Loop: Header=BB4_5829 Depth=2
	s_and_saveexec_b32 s14, s4
	s_delay_alu instid0(SALU_CYCLE_1)
	s_xor_b32 s14, exec_lo, s14
	s_cbranch_execz .LBB4_5875
; %bb.5858:                             ;   in Loop: Header=BB4_5829 Depth=2
	s_and_saveexec_b32 s29, s1
	s_cbranch_execz .LBB4_5874
; %bb.5859:                             ;   in Loop: Header=BB4_5829 Depth=2
	s_mov_b32 s35, exec_lo
	s_mov_b32 s34, exec_lo
	v_mbcnt_lo_u32_b32 v2, s35, 0
	s_waitcnt lgkmcnt(0)
	s_waitcnt_vscnt null, 0x0
	buffer_gl1_inv
	buffer_gl0_inv
	v_cmpx_eq_u32_e32 0, v2
	s_cbranch_execz .LBB4_5861
; %bb.5860:                             ;   in Loop: Header=BB4_5829 Depth=2
	s_bcnt1_i32_b32 vcc_lo, s35
	s_delay_alu instid0(SALU_CYCLE_1)
	v_mov_b32_e32 v2, vcc_lo
	ds_add_u64 v0, v[2:3]
	s_cbranch_execnz .LBB4_6401
.LBB4_5861:                             ;   in Loop: Header=BB4_5829 Depth=2
	s_or_b32 exec_lo, exec_lo, s34
	s_cbranch_execnz .LBB4_6373
; %bb.5862:                             ;   in Loop: Header=BB4_5829 Depth=2
	ds_load_b64 v[8:9], v0
	v_add_co_u32 v48, vcc_lo, v48, v97
	v_add_co_ci_u32_e32 v49, vcc_lo, 0, v49, vcc_lo
	s_mov_b32 s34, exec_lo
	s_waitcnt lgkmcnt(0)
	s_delay_alu instid0(VALU_DEP_1)
	v_cmpx_lt_u64_e64 v[8:9], v[48:49]
	s_cbranch_execz .LBB4_5873
; %bb.5863:                             ;   in Loop: Header=BB4_5829 Depth=2
	s_mov_b32 s35, 0
	s_mov_b32 s38, 0
                                        ; implicit-def: $sgpr36
                                        ; implicit-def: $sgpr37
	s_branch .LBB4_5865
.LBB4_5864:                             ;   in Loop: Header=BB4_5865 Depth=3
	s_or_b32 exec_lo, exec_lo, s40
	s_delay_alu instid0(SALU_CYCLE_1) | instskip(NEXT) | instid1(SALU_CYCLE_1)
	s_and_b32 vcc_lo, exec_lo, vcc_lo
	s_or_b32 s35, vcc_lo, s35
	s_and_not1_b32 vcc_lo, s36, exec_lo
	s_and_b32 s36, s37, exec_lo
	s_delay_alu instid0(SALU_CYCLE_1)
	s_or_b32 s36, vcc_lo, s36
	s_and_not1_b32 exec_lo, exec_lo, s35
	s_cbranch_execz .LBB4_5871
.LBB4_5865:                             ;   Parent Loop BB4_51 Depth=1
                                        ;     Parent Loop BB4_5829 Depth=2
                                        ; =>    This Inner Loop Header: Depth=3
	s_add_i32 s38, s38, 1
                                        ; implicit-def: $sgpr40
	s_delay_alu instid0(SALU_CYCLE_1) | instskip(SKIP_1) | instid1(SALU_CYCLE_1)
	s_cmpk_lg_i32 s38, 0x2710
	s_cselect_b32 s39, -1, 0
	s_and_b32 vcc_lo, exec_lo, s39
	s_cbranch_vccz .LBB4_5869
.LBB4_5866:                             ;   in Loop: Header=BB4_5865 Depth=3
	s_and_not1_b32 s37, s37, exec_lo
	s_and_b32 s40, s40, exec_lo
	s_mov_b32 vcc_lo, -1
	s_or_b32 s37, s37, s40
	s_and_saveexec_b32 s40, s39
	s_cbranch_execz .LBB4_5864
; %bb.5867:                             ;   in Loop: Header=BB4_5865 Depth=3
	s_sleep 1
	s_cbranch_execnz .LBB4_6453
; %bb.5868:                             ;   in Loop: Header=BB4_5865 Depth=3
	ds_load_b64 v[8:9], v0
	s_and_not1_b32 s37, s37, exec_lo
	s_waitcnt lgkmcnt(0)
	v_cmp_ge_u64_e32 vcc_lo, v[8:9], v[48:49]
	s_or_not1_b32 vcc_lo, vcc_lo, exec_lo
	s_branch .LBB4_5864
.LBB4_5869:                             ;   in Loop: Header=BB4_5865 Depth=3
	s_cbranch_execnz .LBB4_6467
; %bb.5870:                             ;   in Loop: Header=BB4_5865 Depth=3
	ds_load_b64 v[8:9], v0
	s_and_not1_b32 s39, s39, exec_lo
	s_mov_b32 s38, 0
	s_mov_b32 s40, -1
	s_waitcnt lgkmcnt(0)
	flat_load_b32 v2, v[8:9] glc
	s_waitcnt vmcnt(0) lgkmcnt(0)
	buffer_gl1_inv
	buffer_gl0_inv
	v_cmp_eq_u32_e32 vcc_lo, 0, v2
	s_and_b32 vcc_lo, vcc_lo, exec_lo
	s_delay_alu instid0(SALU_CYCLE_1)
	s_or_b32 s39, s39, vcc_lo
	s_branch .LBB4_5866
.LBB4_5871:                             ;   in Loop: Header=BB4_5829 Depth=2
	s_or_b32 exec_lo, exec_lo, s35
	s_and_saveexec_b32 vcc_lo, s36
	s_delay_alu instid0(SALU_CYCLE_1)
	s_xor_b32 vcc_lo, exec_lo, vcc_lo
	s_cbranch_execz .LBB4_5873
; %bb.5872:                             ;   in Loop: Header=BB4_5829 Depth=2
	ds_store_b32 v0, v134
	s_cbranch_execnz .LBB4_6587
.LBB4_5873:                             ;   in Loop: Header=BB4_5829 Depth=2
	s_or_b32 exec_lo, exec_lo, s34
	;;#ASMSTART
	s_wakeup
	;;#ASMEND
.LBB4_5874:                             ;   in Loop: Header=BB4_5829 Depth=2
	s_or_b32 exec_lo, exec_lo, s29
.LBB4_5875:                             ;   in Loop: Header=BB4_5829 Depth=2
	s_and_not1_saveexec_b32 s14, s14
	s_cbranch_execz .LBB4_5877
; %bb.5876:                             ;   in Loop: Header=BB4_5829 Depth=2
	s_waitcnt lgkmcnt(0)
	s_waitcnt_vscnt null, 0x0
	buffer_gl1_inv
	buffer_gl0_inv
	s_barrier
.LBB4_5877:                             ;   in Loop: Header=BB4_5829 Depth=2
	s_or_b32 exec_lo, exec_lo, s14
.LBB4_5878:                             ;   in Loop: Header=BB4_5829 Depth=2
	s_delay_alu instid0(SALU_CYCLE_1)
	s_or_b32 exec_lo, exec_lo, s13
	s_cbranch_execnz .LBB4_6237
; %bb.5879:                             ;   in Loop: Header=BB4_5829 Depth=2
	ds_load_b32 v8, v0
	v_and_b32_e32 v2, 0x4000, v30
	s_xor_b32 s13, s2, -1
	s_delay_alu instid0(VALU_DEP_1) | instskip(SKIP_1) | instid1(SALU_CYCLE_1)
	v_cmp_ne_u32_e32 vcc_lo, 0, v2
	s_and_b32 s14, s13, vcc_lo
	s_and_saveexec_b32 s13, s14
	s_cbranch_execz .LBB4_5901
; %bb.5880:                             ;   in Loop: Header=BB4_5829 Depth=2
	s_and_saveexec_b32 s14, s4
	s_delay_alu instid0(SALU_CYCLE_1)
	s_xor_b32 s14, exec_lo, s14
	s_cbranch_execz .LBB4_5898
; %bb.5881:                             ;   in Loop: Header=BB4_5829 Depth=2
	s_and_saveexec_b32 s29, s1
	s_cbranch_execz .LBB4_5897
; %bb.5882:                             ;   in Loop: Header=BB4_5829 Depth=2
	s_mov_b32 s35, exec_lo
	s_mov_b32 s34, exec_lo
	v_mbcnt_lo_u32_b32 v2, s35, 0
	s_waitcnt lgkmcnt(0)
	s_waitcnt_vscnt null, 0x0
	buffer_gl1_inv
	buffer_gl0_inv
	v_cmpx_eq_u32_e32 0, v2
	s_cbranch_execz .LBB4_5884
; %bb.5883:                             ;   in Loop: Header=BB4_5829 Depth=2
	s_bcnt1_i32_b32 vcc_lo, s35
	s_delay_alu instid0(SALU_CYCLE_1)
	v_mov_b32_e32 v2, vcc_lo
	ds_add_u64 v0, v[2:3]
	s_cbranch_execnz .LBB4_6443
.LBB4_5884:                             ;   in Loop: Header=BB4_5829 Depth=2
	s_or_b32 exec_lo, exec_lo, s34
	s_cbranch_execnz .LBB4_6423
; %bb.5885:                             ;   in Loop: Header=BB4_5829 Depth=2
	ds_load_b64 v[9:10], v0
	v_add_co_u32 v48, vcc_lo, v48, v97
	v_add_co_ci_u32_e32 v49, vcc_lo, 0, v49, vcc_lo
	s_mov_b32 s34, exec_lo
	s_waitcnt lgkmcnt(0)
	s_delay_alu instid0(VALU_DEP_1)
	v_cmpx_lt_u64_e64 v[9:10], v[48:49]
	s_cbranch_execz .LBB4_5896
; %bb.5886:                             ;   in Loop: Header=BB4_5829 Depth=2
	s_mov_b32 s35, 0
	s_mov_b32 s38, 0
                                        ; implicit-def: $sgpr36
                                        ; implicit-def: $sgpr37
	s_branch .LBB4_5888
.LBB4_5887:                             ;   in Loop: Header=BB4_5888 Depth=3
	s_or_b32 exec_lo, exec_lo, s40
	s_delay_alu instid0(SALU_CYCLE_1) | instskip(NEXT) | instid1(SALU_CYCLE_1)
	s_and_b32 vcc_lo, exec_lo, vcc_lo
	s_or_b32 s35, vcc_lo, s35
	s_and_not1_b32 vcc_lo, s36, exec_lo
	s_and_b32 s36, s37, exec_lo
	s_delay_alu instid0(SALU_CYCLE_1)
	s_or_b32 s36, vcc_lo, s36
	s_and_not1_b32 exec_lo, exec_lo, s35
	s_cbranch_execz .LBB4_5894
.LBB4_5888:                             ;   Parent Loop BB4_51 Depth=1
                                        ;     Parent Loop BB4_5829 Depth=2
                                        ; =>    This Inner Loop Header: Depth=3
	s_add_i32 s38, s38, 1
                                        ; implicit-def: $sgpr40
	s_delay_alu instid0(SALU_CYCLE_1) | instskip(SKIP_1) | instid1(SALU_CYCLE_1)
	s_cmpk_lg_i32 s38, 0x2710
	s_cselect_b32 s39, -1, 0
	s_and_b32 vcc_lo, exec_lo, s39
	s_cbranch_vccz .LBB4_5892
.LBB4_5889:                             ;   in Loop: Header=BB4_5888 Depth=3
	s_and_not1_b32 s37, s37, exec_lo
	s_and_b32 s40, s40, exec_lo
	s_mov_b32 vcc_lo, -1
	s_or_b32 s37, s37, s40
	s_and_saveexec_b32 s40, s39
	s_cbranch_execz .LBB4_5887
; %bb.5890:                             ;   in Loop: Header=BB4_5888 Depth=3
	s_sleep 1
	s_cbranch_execnz .LBB4_6503
; %bb.5891:                             ;   in Loop: Header=BB4_5888 Depth=3
	ds_load_b64 v[9:10], v0
	s_and_not1_b32 s37, s37, exec_lo
	s_waitcnt lgkmcnt(0)
	v_cmp_ge_u64_e32 vcc_lo, v[9:10], v[48:49]
	s_or_not1_b32 vcc_lo, vcc_lo, exec_lo
	s_branch .LBB4_5887
.LBB4_5892:                             ;   in Loop: Header=BB4_5888 Depth=3
	s_cbranch_execnz .LBB4_6515
; %bb.5893:                             ;   in Loop: Header=BB4_5888 Depth=3
	ds_load_b64 v[9:10], v0
	s_and_not1_b32 s39, s39, exec_lo
	s_mov_b32 s38, 0
	s_mov_b32 s40, -1
	s_waitcnt lgkmcnt(0)
	flat_load_b32 v2, v[9:10] glc
	s_waitcnt vmcnt(0) lgkmcnt(0)
	buffer_gl1_inv
	buffer_gl0_inv
	v_cmp_eq_u32_e32 vcc_lo, 0, v2
	s_and_b32 vcc_lo, vcc_lo, exec_lo
	s_delay_alu instid0(SALU_CYCLE_1)
	s_or_b32 s39, s39, vcc_lo
	s_branch .LBB4_5889
.LBB4_5894:                             ;   in Loop: Header=BB4_5829 Depth=2
	s_or_b32 exec_lo, exec_lo, s35
	s_and_saveexec_b32 vcc_lo, s36
	s_delay_alu instid0(SALU_CYCLE_1)
	s_xor_b32 vcc_lo, exec_lo, vcc_lo
	s_cbranch_execz .LBB4_5896
; %bb.5895:                             ;   in Loop: Header=BB4_5829 Depth=2
	ds_store_b32 v0, v134
	s_cbranch_execnz .LBB4_6601
.LBB4_5896:                             ;   in Loop: Header=BB4_5829 Depth=2
	s_or_b32 exec_lo, exec_lo, s34
	;;#ASMSTART
	s_wakeup
	;;#ASMEND
.LBB4_5897:                             ;   in Loop: Header=BB4_5829 Depth=2
	s_or_b32 exec_lo, exec_lo, s29
.LBB4_5898:                             ;   in Loop: Header=BB4_5829 Depth=2
	s_and_not1_saveexec_b32 s14, s14
	s_cbranch_execz .LBB4_5900
; %bb.5899:                             ;   in Loop: Header=BB4_5829 Depth=2
	s_waitcnt lgkmcnt(0)
	s_waitcnt_vscnt null, 0x0
	buffer_gl1_inv
	buffer_gl0_inv
	s_barrier
.LBB4_5900:                             ;   in Loop: Header=BB4_5829 Depth=2
	s_or_b32 exec_lo, exec_lo, s14
.LBB4_5901:                             ;   in Loop: Header=BB4_5829 Depth=2
	s_delay_alu instid0(SALU_CYCLE_1)
	s_or_b32 exec_lo, exec_lo, s13
	s_cbranch_execnz .LBB4_6295
; %bb.5902:                             ;   in Loop: Header=BB4_5829 Depth=2
	ds_load_b64 v[9:10], v0
	v_sub_nc_u32_e32 v2, v12, v14
	v_mov_b32_e32 v17, 0
	s_delay_alu instid0(VALU_DEP_2) | instskip(SKIP_3) | instid1(SALU_CYCLE_1)
	v_min_i32_e32 v13, v13, v2
	s_waitcnt lgkmcnt(0)
	v_cmp_eq_u64_e32 vcc_lo, 0, v[9:10]
	s_or_b32 s13, vcc_lo, vcc_lo
	s_and_b32 vcc_lo, exec_lo, s13
	s_cbranch_vccnz .LBB4_5936
; %bb.5903:                             ;   in Loop: Header=BB4_5829 Depth=2
	s_mov_b32 s13, -1
	s_and_saveexec_b32 s14, s6
	s_cbranch_execz .LBB4_5905
; %bb.5904:                             ;   in Loop: Header=BB4_5829 Depth=2
	ds_load_b32 v2, v0 offset:720
	s_waitcnt lgkmcnt(0)
	v_and_b32_e32 v2, 15, v2
	s_delay_alu instid0(VALU_DEP_1)
	v_cmp_eq_u32_e32 vcc_lo, 0, v2
	s_or_not1_b32 s13, vcc_lo, exec_lo
.LBB4_5905:                             ;   in Loop: Header=BB4_5829 Depth=2
	s_or_b32 exec_lo, exec_lo, s14
	s_and_saveexec_b32 s14, s5
	s_cbranch_execz .LBB4_5907
; %bb.5906:                             ;   in Loop: Header=BB4_5829 Depth=2
	ds_load_b32 v2, v0 offset:784
	s_waitcnt lgkmcnt(0)
	v_and_b32_e32 v2, 15, v2
	s_delay_alu instid0(VALU_DEP_1) | instskip(SKIP_3) | instid1(SALU_CYCLE_1)
	v_cmp_eq_u32_e32 vcc_lo, 0, v2
	s_and_b32 s29, s13, vcc_lo
	s_and_not1_b32 s13, s13, exec_lo
	s_and_b32 s29, s29, exec_lo
	s_or_b32 s13, s13, s29
.LBB4_5907:                             ;   in Loop: Header=BB4_5829 Depth=2
	s_or_b32 exec_lo, exec_lo, s14
	v_cmp_eq_u32_e32 vcc_lo, 0, v8
	s_xor_b32 s13, s13, -1
	v_mov_b32_e32 v22, v99
	v_cndmask_b32_e64 v2, 0, 1, s13
	;;#ASMSTART
	;;#ASMEND
	v_cndmask_b32_e32 v17, 0, v13, vcc_lo
	s_delay_alu instid0(VALU_DEP_2) | instskip(SKIP_2) | instid1(VALU_DEP_3)
	v_cmp_ne_u32_e32 vcc_lo, 0, v2
	v_mov_b32_e32 v2, 0
	s_mov_b32 s13, -1
	v_dual_mov_b32 v19, v0 :: v_dual_mov_b32 v18, v17
	s_cbranch_vccnz .LBB4_5923
; %bb.5908:                             ;   in Loop: Header=BB4_5829 Depth=2
	v_ashrrev_i32_e32 v2, 31, v17
	s_mov_b32 s14, exec_lo
	s_delay_alu instid0(VALU_DEP_1) | instskip(NEXT) | instid1(VALU_DEP_1)
	v_lshrrev_b32_e32 v2, 21, v2
	v_add_nc_u32_e32 v2, v17, v2
	s_delay_alu instid0(VALU_DEP_1) | instskip(NEXT) | instid1(VALU_DEP_1)
	v_ashrrev_i32_e32 v2, 11, v2
	v_sub_nc_u32_e32 v20, v2, v99
	s_delay_alu instid0(VALU_DEP_1)
	v_cmpx_lt_i32_e32 0, v20
	s_cbranch_execz .LBB4_5913
; %bb.5909:                             ;   in Loop: Header=BB4_5829 Depth=2
	s_cbranch_execnz .LBB4_6473
; %bb.5910:                             ;   in Loop: Header=BB4_5829 Depth=2
	ds_load_b64 v[8:9], v0
	s_mov_b32 s29, 0
	s_waitcnt lgkmcnt(0)
	v_dual_mov_b32 v11, v9 :: v_dual_mov_b32 v10, v8
	s_set_inst_prefetch_distance 0x1
.LBB4_5911:                             ;   Parent Loop BB4_51 Depth=1
                                        ;     Parent Loop BB4_5829 Depth=2
                                        ; =>    This Inner Loop Header: Depth=3
	s_delay_alu instid0(VALU_DEP_1) | instskip(NEXT) | instid1(VALU_DEP_2)
	v_add_co_u32 v18, vcc_lo, v102, v10
	v_add_co_ci_u32_e32 v19, vcc_lo, v112, v11, vcc_lo
	v_sub_nc_u32_e32 v20, v20, v97
	s_clause 0x3
	global_load_b128 v[66:69], v[18:19], off slc dlc
	global_load_b128 v[80:83], v[18:19], off offset:512 slc dlc
	global_load_b128 v[144:147], v[18:19], off offset:1024 slc dlc
	;; [unrolled: 1-line block ×3, first 2 shown]
	v_add_co_u32 v18, vcc_lo, v102, v8
	v_add_co_ci_u32_e32 v19, vcc_lo, v112, v9, vcc_lo
	v_add_co_u32 v10, vcc_lo, v10, v113
	v_add_co_ci_u32_e32 v11, vcc_lo, v11, v114, vcc_lo
	v_add_co_u32 v8, vcc_lo, v8, v113
	v_cmp_gt_i32_e64 s13, 1, v20
	v_add_co_ci_u32_e32 v9, vcc_lo, v9, v114, vcc_lo
	s_waitcnt vmcnt(3)
	global_store_b128 v[18:19], v[66:69], off glc slc dlc
	s_waitcnt vmcnt(2)
	global_store_b128 v[18:19], v[80:83], off offset:512 glc slc dlc
	s_waitcnt vmcnt(1)
	global_store_b128 v[18:19], v[144:147], off offset:1024 glc slc dlc
	;; [unrolled: 2-line block ×3, first 2 shown]
	s_or_b32 s29, s13, s29
	s_delay_alu instid0(SALU_CYCLE_1)
	s_and_not1_b32 exec_lo, exec_lo, s29
	s_cbranch_execnz .LBB4_5911
; %bb.5912:                             ;   in Loop: Header=BB4_5829 Depth=2
	s_set_inst_prefetch_distance 0x2
	s_or_b32 exec_lo, exec_lo, s29
.LBB4_5913:                             ;   in Loop: Header=BB4_5829 Depth=2
	s_delay_alu instid0(SALU_CYCLE_1) | instskip(SKIP_4) | instid1(VALU_DEP_2)
	s_or_b32 exec_lo, exec_lo, s14
	v_lshlrev_b32_e32 v10, 11, v2
	v_mov_b32_e32 v2, 0
	s_mov_b32 s13, 0
	s_mov_b32 s29, exec_lo
                                        ; implicit-def: $vgpr18
                                        ; implicit-def: $vgpr19
                                        ; implicit-def: $vgpr22
	v_cmpx_ne_u32_e64 v17, v10
	s_cbranch_execz .LBB4_5922
; %bb.5914:                             ;   in Loop: Header=BB4_5829 Depth=2
	v_lshlrev_b32_e32 v2, 5, v20
	v_sub_nc_u32_e32 v9, v17, v10
	s_mov_b32 s34, exec_lo
	s_delay_alu instid0(VALU_DEP_2) | instskip(NEXT) | instid1(VALU_DEP_2)
	v_sub_nc_u32_e32 v2, v100, v2
	v_ashrrev_i32_e32 v11, 31, v9
	s_delay_alu instid0(VALU_DEP_2) | instskip(NEXT) | instid1(VALU_DEP_2)
	v_ashrrev_i32_e32 v8, 31, v2
	v_lshrrev_b32_e32 v11, 23, v11
	s_delay_alu instid0(VALU_DEP_2) | instskip(NEXT) | instid1(VALU_DEP_2)
	v_lshrrev_b32_e32 v8, 27, v8
	v_add_nc_u32_e32 v19, v9, v11
	s_delay_alu instid0(VALU_DEP_2) | instskip(NEXT) | instid1(VALU_DEP_2)
	v_add_nc_u32_e32 v8, v2, v8
	v_and_b32_e32 v11, 0xfffffe00, v19
	v_ashrrev_i32_e32 v19, 9, v19
	s_delay_alu instid0(VALU_DEP_3) | instskip(NEXT) | instid1(VALU_DEP_3)
	v_and_b32_e32 v18, 0xffffffe0, v8
	v_sub_nc_u32_e32 v21, v9, v11
	v_ashrrev_i32_e32 v8, 5, v8
	s_delay_alu instid0(VALU_DEP_3) | instskip(NEXT) | instid1(VALU_DEP_3)
	v_sub_nc_u32_e32 v20, v2, v18
	v_cmp_lt_i32_e32 vcc_lo, 15, v21
	s_delay_alu instid0(VALU_DEP_2) | instskip(SKIP_1) | instid1(VALU_DEP_2)
	v_lshlrev_b32_e32 v2, 4, v20
	v_add_co_ci_u32_e64 v19, s13, 0, v19, vcc_lo
	v_lshl_add_u32 v18, v8, 9, v2
	s_delay_alu instid0(VALU_DEP_2) | instskip(NEXT) | instid1(VALU_DEP_2)
	v_sub_nc_u32_e32 v23, v19, v8
	v_sub_nc_u32_e32 v2, v9, v18
	s_delay_alu instid0(VALU_DEP_1)
	v_cmpx_lt_i32_e32 15, v2
	s_cbranch_execz .LBB4_5919
; %bb.5915:                             ;   in Loop: Header=BB4_5829 Depth=2
	s_cbranch_execnz .LBB4_6527
; %bb.5916:                             ;   in Loop: Header=BB4_5829 Depth=2
	ds_load_b64 v[8:9], v0
	v_add_nc_u32_e32 v18, v18, v10
	s_mov_b32 s35, 0
	s_delay_alu instid0(VALU_DEP_1)
	v_ashrrev_i32_e32 v19, 31, v18
.LBB4_5917:                             ;   Parent Loop BB4_51 Depth=1
                                        ;     Parent Loop BB4_5829 Depth=2
                                        ; =>    This Inner Loop Header: Depth=3
	s_waitcnt lgkmcnt(0)
	v_add_co_u32 v70, s13, v8, v18
	s_delay_alu instid0(VALU_DEP_1)
	v_add_co_ci_u32_e64 v71, s13, v9, v19, s13
	v_sub_nc_u32_e32 v2, v2, v101
	v_add_co_u32 v18, s14, v18, v117
	global_load_b128 v[66:69], v[70:71], off slc dlc
	v_sub_nc_u32_e32 v23, v23, v97
	v_cmp_gt_i32_e64 s13, 16, v2
	v_add_co_ci_u32_e64 v19, s14, v19, v118, s14
	s_delay_alu instid0(VALU_DEP_2)
	s_or_b32 s35, s13, s35
	s_waitcnt vmcnt(0)
	global_store_b128 v[70:71], v[66:69], off glc slc dlc
	s_and_not1_b32 exec_lo, exec_lo, s35
	s_cbranch_execnz .LBB4_5917
; %bb.5918:                             ;   in Loop: Header=BB4_5829 Depth=2
	s_or_b32 exec_lo, exec_lo, s35
.LBB4_5919:                             ;   in Loop: Header=BB4_5829 Depth=2
	s_delay_alu instid0(SALU_CYCLE_1) | instskip(SKIP_4) | instid1(VALU_DEP_2)
	s_or_b32 exec_lo, exec_lo, s34
	v_and_b32_e32 v8, 15, v17
	v_mov_b32_e32 v2, 0
	s_mov_b32 s14, 0
	s_mov_b32 s34, exec_lo
                                        ; implicit-def: $vgpr19
                                        ; implicit-def: $vgpr22
	v_cndmask_b32_e32 v18, v21, v8, vcc_lo
	s_delay_alu instid0(VALU_DEP_1)
	v_cmpx_ne_u32_e32 0, v18
; %bb.5920:                             ;   in Loop: Header=BB4_5829 Depth=2
	v_cmp_lt_i32_e64 s13, 0, v23
	v_sub_nc_u32_e32 v8, v21, v8
	s_mov_b32 s14, exec_lo
	s_delay_alu instid0(VALU_DEP_2) | instskip(NEXT) | instid1(VALU_DEP_1)
	v_cndmask_b32_e64 v2, 0, v97, s13
	v_sub_nc_u32_e32 v2, v2, v23
	s_delay_alu instid0(VALU_DEP_1) | instskip(NEXT) | instid1(VALU_DEP_1)
	v_lshl_add_u32 v19, v2, 5, v20
	v_ashrrev_i32_e32 v2, 31, v19
	s_delay_alu instid0(VALU_DEP_1) | instskip(NEXT) | instid1(VALU_DEP_1)
	v_lshrrev_b32_e32 v2, 27, v2
	v_dual_cndmask_b32 v8, 0, v8 :: v_dual_add_nc_u32 v9, v19, v2
	s_delay_alu instid0(VALU_DEP_1) | instskip(NEXT) | instid1(VALU_DEP_2)
	v_add3_u32 v2, v11, v10, v8
	v_ashrrev_i32_e32 v22, 5, v9
; %bb.5921:                             ;   in Loop: Header=BB4_5829 Depth=2
	s_or_b32 exec_lo, exec_lo, s34
	s_delay_alu instid0(SALU_CYCLE_1)
	s_and_b32 s13, s14, exec_lo
.LBB4_5922:                             ;   in Loop: Header=BB4_5829 Depth=2
	s_or_b32 exec_lo, exec_lo, s29
.LBB4_5923:                             ;   in Loop: Header=BB4_5829 Depth=2
	s_and_saveexec_b32 s14, s13
	s_cbranch_execz .LBB4_5935
; %bb.5924:                             ;   in Loop: Header=BB4_5829 Depth=2
	s_delay_alu instid0(VALU_DEP_1) | instskip(SKIP_1) | instid1(VALU_DEP_1)
	v_ashrrev_i32_e32 v8, 31, v18
	s_mov_b32 s13, exec_lo
	v_lshrrev_b32_e32 v8, 23, v8
	s_delay_alu instid0(VALU_DEP_1) | instskip(NEXT) | instid1(VALU_DEP_1)
	v_add_nc_u32_e32 v8, v18, v8
	v_ashrrev_i32_e32 v21, 9, v8
	s_delay_alu instid0(VALU_DEP_1) | instskip(NEXT) | instid1(VALU_DEP_1)
	v_sub_nc_u32_e32 v20, v21, v22
	v_cmpx_lt_i32_e32 0, v20
	s_cbranch_execz .LBB4_5929
; %bb.5925:                             ;   in Loop: Header=BB4_5829 Depth=2
	s_cbranch_execnz .LBB4_6465
; %bb.5926:                             ;   in Loop: Header=BB4_5829 Depth=2
	v_ashrrev_i32_e32 v8, 31, v19
	s_mov_b32 s29, 0
	s_delay_alu instid0(VALU_DEP_1) | instskip(NEXT) | instid1(VALU_DEP_1)
	v_lshrrev_b32_e32 v8, 27, v8
	v_add_nc_u32_e32 v10, v19, v8
	ds_load_b64 v[8:9], v0
	v_lshlrev_b32_e32 v11, 9, v22
	v_and_b32_e32 v10, 0xffffffe0, v10
	s_delay_alu instid0(VALU_DEP_1) | instskip(NEXT) | instid1(VALU_DEP_1)
	v_sub_nc_u32_e32 v10, v19, v10
	v_add3_u32 v22, v2, v10, v11
	s_delay_alu instid0(VALU_DEP_1)
	v_ashrrev_i32_e32 v23, 31, v22
	s_waitcnt lgkmcnt(0)
	v_dual_mov_b32 v11, v9 :: v_dual_mov_b32 v10, v8
.LBB4_5927:                             ;   Parent Loop BB4_51 Depth=1
                                        ;     Parent Loop BB4_5829 Depth=2
                                        ; =>    This Inner Loop Header: Depth=3
	s_delay_alu instid0(VALU_DEP_1) | instskip(NEXT) | instid1(VALU_DEP_2)
	v_add_co_u32 v66, vcc_lo, v22, v10
	v_add_co_ci_u32_e32 v67, vcc_lo, v23, v11, vcc_lo
	v_sub_nc_u32_e32 v20, v20, v97
	s_clause 0xf
	flat_load_u8 v68, v[66:67] slc dlc
	flat_load_u8 v69, v[66:67] offset:32 slc dlc
	flat_load_u8 v70, v[66:67] offset:64 slc dlc
	;; [unrolled: 1-line block ×15, first 2 shown]
	v_add_co_u32 v66, vcc_lo, v22, v8
	v_add_co_ci_u32_e32 v67, vcc_lo, v23, v9, vcc_lo
	v_add_co_u32 v10, vcc_lo, v10, v117
	v_add_co_ci_u32_e32 v11, vcc_lo, v11, v118, vcc_lo
	;; [unrolled: 2-line block ×3, first 2 shown]
	v_cmp_gt_i32_e32 vcc_lo, 1, v20
	s_waitcnt vmcnt(15) lgkmcnt(15)
	flat_store_b8 v[66:67], v68 glc slc dlc
	s_waitcnt vmcnt(14) lgkmcnt(15)
	flat_store_b8 v[66:67], v69 offset:32 glc slc dlc
	s_waitcnt vmcnt(13) lgkmcnt(15)
	flat_store_b8 v[66:67], v70 offset:64 glc slc dlc
	;; [unrolled: 2-line block ×15, first 2 shown]
	s_or_b32 s29, vcc_lo, s29
	s_delay_alu instid0(SALU_CYCLE_1)
	s_and_not1_b32 exec_lo, exec_lo, s29
	s_cbranch_execnz .LBB4_5927
; %bb.5928:                             ;   in Loop: Header=BB4_5829 Depth=2
	s_or_b32 exec_lo, exec_lo, s29
.LBB4_5929:                             ;   in Loop: Header=BB4_5829 Depth=2
	s_delay_alu instid0(SALU_CYCLE_1) | instskip(SKIP_2) | instid1(VALU_DEP_1)
	s_or_b32 exec_lo, exec_lo, s13
	v_lshlrev_b32_e32 v8, 9, v21
	s_mov_b32 s29, exec_lo
	v_cmpx_ne_u32_e64 v18, v8
	s_cbranch_execz .LBB4_5934
; %bb.5930:                             ;   in Loop: Header=BB4_5829 Depth=2
	v_ashrrev_i32_e32 v9, 31, v19
	v_lshlrev_b32_e32 v10, 5, v20
	s_delay_alu instid0(VALU_DEP_2) | instskip(NEXT) | instid1(VALU_DEP_1)
	v_lshrrev_b32_e32 v9, 27, v9
	v_add_nc_u32_e32 v9, v19, v9
	s_delay_alu instid0(VALU_DEP_1) | instskip(NEXT) | instid1(VALU_DEP_1)
	v_and_b32_e32 v9, 0xffffffe0, v9
	v_sub_nc_u32_e32 v9, v19, v9
	s_delay_alu instid0(VALU_DEP_1) | instskip(NEXT) | instid1(VALU_DEP_1)
	v_sub_nc_u32_e32 v9, v9, v10
	v_add_nc_u32_e32 v11, v8, v9
	s_delay_alu instid0(VALU_DEP_1) | instskip(NEXT) | instid1(VALU_DEP_1)
	v_sub_nc_u32_e32 v10, v18, v11
	v_cmp_lt_i32_e32 vcc_lo, 0, v10
	s_and_b32 exec_lo, exec_lo, vcc_lo
	s_cbranch_execz .LBB4_5934
; %bb.5931:                             ;   in Loop: Header=BB4_5829 Depth=2
	s_cbranch_execnz .LBB4_6521
; %bb.5932:                             ;   in Loop: Header=BB4_5829 Depth=2
	ds_load_b64 v[8:9], v0
	v_add_nc_u32_e32 v2, v11, v2
	s_mov_b32 s34, 0
	s_delay_alu instid0(VALU_DEP_1)
	v_ashrrev_i32_e32 v11, 31, v2
.LBB4_5933:                             ;   Parent Loop BB4_51 Depth=1
                                        ;     Parent Loop BB4_5829 Depth=2
                                        ; =>    This Inner Loop Header: Depth=3
	s_waitcnt lgkmcnt(0)
	v_add_co_u32 v18, vcc_lo, v8, v2
	s_delay_alu instid0(VALU_DEP_2)
	v_add_co_ci_u32_e32 v19, vcc_lo, v9, v11, vcc_lo
	v_sub_nc_u32_e32 v10, v10, v98
	v_add_co_u32 v2, s13, v2, v128
	flat_load_u8 v20, v[18:19] slc dlc
	v_add_co_ci_u32_e64 v11, s13, v11, v129, s13
	v_cmp_gt_i32_e32 vcc_lo, 1, v10
	s_or_b32 s34, vcc_lo, s34
	s_waitcnt vmcnt(0) lgkmcnt(0)
	flat_store_b8 v[18:19], v20 glc slc dlc
	s_and_not1_b32 exec_lo, exec_lo, s34
	s_cbranch_execnz .LBB4_5933
.LBB4_5934:                             ;   in Loop: Header=BB4_5829 Depth=2
	s_or_b32 exec_lo, exec_lo, s29
.LBB4_5935:                             ;   in Loop: Header=BB4_5829 Depth=2
	s_delay_alu instid0(SALU_CYCLE_1)
	s_or_b32 exec_lo, exec_lo, s14
.LBB4_5936:                             ;   in Loop: Header=BB4_5829 Depth=2
	s_and_saveexec_b32 s13, s3
	s_cbranch_execz .LBB4_5958
; %bb.5937:                             ;   in Loop: Header=BB4_5829 Depth=2
	s_and_saveexec_b32 s14, s4
	s_delay_alu instid0(SALU_CYCLE_1)
	s_xor_b32 s14, exec_lo, s14
	s_cbranch_execz .LBB4_5955
; %bb.5938:                             ;   in Loop: Header=BB4_5829 Depth=2
	s_and_saveexec_b32 s29, s1
	s_cbranch_execz .LBB4_5954
; %bb.5939:                             ;   in Loop: Header=BB4_5829 Depth=2
	s_mov_b32 s35, exec_lo
	s_mov_b32 s34, exec_lo
	v_mbcnt_lo_u32_b32 v2, s35, 0
	s_waitcnt lgkmcnt(0)
	s_waitcnt_vscnt null, 0x0
	buffer_gl1_inv
	buffer_gl0_inv
	v_cmpx_eq_u32_e32 0, v2
	s_cbranch_execz .LBB4_5941
; %bb.5940:                             ;   in Loop: Header=BB4_5829 Depth=2
	s_bcnt1_i32_b32 vcc_lo, s35
	s_delay_alu instid0(SALU_CYCLE_1)
	v_mov_b32_e32 v2, vcc_lo
	ds_add_u64 v0, v[2:3]
	s_cbranch_execnz .LBB4_6507
.LBB4_5941:                             ;   in Loop: Header=BB4_5829 Depth=2
	s_or_b32 exec_lo, exec_lo, s34
	s_cbranch_execnz .LBB4_6481
; %bb.5942:                             ;   in Loop: Header=BB4_5829 Depth=2
	ds_load_b64 v[8:9], v0
	v_add_co_u32 v48, vcc_lo, v48, v97
	v_add_co_ci_u32_e32 v49, vcc_lo, 0, v49, vcc_lo
	s_mov_b32 s34, exec_lo
	s_waitcnt lgkmcnt(0)
	s_delay_alu instid0(VALU_DEP_1)
	v_cmpx_lt_u64_e64 v[8:9], v[48:49]
	s_cbranch_execz .LBB4_5953
; %bb.5943:                             ;   in Loop: Header=BB4_5829 Depth=2
	s_mov_b32 s35, 0
	s_mov_b32 s38, 0
                                        ; implicit-def: $sgpr36
                                        ; implicit-def: $sgpr37
	s_branch .LBB4_5945
.LBB4_5944:                             ;   in Loop: Header=BB4_5945 Depth=3
	s_or_b32 exec_lo, exec_lo, s40
	s_delay_alu instid0(SALU_CYCLE_1) | instskip(NEXT) | instid1(SALU_CYCLE_1)
	s_and_b32 vcc_lo, exec_lo, vcc_lo
	s_or_b32 s35, vcc_lo, s35
	s_and_not1_b32 vcc_lo, s36, exec_lo
	s_and_b32 s36, s37, exec_lo
	s_delay_alu instid0(SALU_CYCLE_1)
	s_or_b32 s36, vcc_lo, s36
	s_and_not1_b32 exec_lo, exec_lo, s35
	s_cbranch_execz .LBB4_5951
.LBB4_5945:                             ;   Parent Loop BB4_51 Depth=1
                                        ;     Parent Loop BB4_5829 Depth=2
                                        ; =>    This Inner Loop Header: Depth=3
	s_add_i32 s38, s38, 1
                                        ; implicit-def: $sgpr40
	s_delay_alu instid0(SALU_CYCLE_1) | instskip(SKIP_1) | instid1(SALU_CYCLE_1)
	s_cmpk_lg_i32 s38, 0x2710
	s_cselect_b32 s39, -1, 0
	s_and_b32 vcc_lo, exec_lo, s39
	s_cbranch_vccz .LBB4_5949
.LBB4_5946:                             ;   in Loop: Header=BB4_5945 Depth=3
	s_and_not1_b32 s37, s37, exec_lo
	s_and_b32 s40, s40, exec_lo
	s_mov_b32 vcc_lo, -1
	s_or_b32 s37, s37, s40
	s_and_saveexec_b32 s40, s39
	s_cbranch_execz .LBB4_5944
; %bb.5947:                             ;   in Loop: Header=BB4_5945 Depth=3
	s_sleep 1
	s_cbranch_execnz .LBB4_6541
; %bb.5948:                             ;   in Loop: Header=BB4_5945 Depth=3
	ds_load_b64 v[8:9], v0
	s_and_not1_b32 s37, s37, exec_lo
	s_waitcnt lgkmcnt(0)
	v_cmp_ge_u64_e32 vcc_lo, v[8:9], v[48:49]
	s_or_not1_b32 vcc_lo, vcc_lo, exec_lo
	s_branch .LBB4_5944
.LBB4_5949:                             ;   in Loop: Header=BB4_5945 Depth=3
	s_cbranch_execnz .LBB4_6551
; %bb.5950:                             ;   in Loop: Header=BB4_5945 Depth=3
	ds_load_b64 v[8:9], v0
	s_and_not1_b32 s39, s39, exec_lo
	s_mov_b32 s38, 0
	s_mov_b32 s40, -1
	s_waitcnt lgkmcnt(0)
	flat_load_b32 v2, v[8:9] glc
	s_waitcnt vmcnt(0) lgkmcnt(0)
	buffer_gl1_inv
	buffer_gl0_inv
	v_cmp_eq_u32_e32 vcc_lo, 0, v2
	s_and_b32 vcc_lo, vcc_lo, exec_lo
	s_delay_alu instid0(SALU_CYCLE_1)
	s_or_b32 s39, s39, vcc_lo
	s_branch .LBB4_5946
.LBB4_5951:                             ;   in Loop: Header=BB4_5829 Depth=2
	s_or_b32 exec_lo, exec_lo, s35
	s_and_saveexec_b32 vcc_lo, s36
	s_delay_alu instid0(SALU_CYCLE_1)
	s_xor_b32 vcc_lo, exec_lo, vcc_lo
	s_cbranch_execz .LBB4_5953
; %bb.5952:                             ;   in Loop: Header=BB4_5829 Depth=2
	ds_store_b32 v0, v134
	s_cbranch_execnz .LBB4_6605
.LBB4_5953:                             ;   in Loop: Header=BB4_5829 Depth=2
	s_or_b32 exec_lo, exec_lo, s34
	;;#ASMSTART
	s_wakeup
	;;#ASMEND
.LBB4_5954:                             ;   in Loop: Header=BB4_5829 Depth=2
	s_or_b32 exec_lo, exec_lo, s29
.LBB4_5955:                             ;   in Loop: Header=BB4_5829 Depth=2
	s_and_not1_saveexec_b32 s14, s14
	s_cbranch_execz .LBB4_5957
; %bb.5956:                             ;   in Loop: Header=BB4_5829 Depth=2
	s_waitcnt lgkmcnt(0)
	s_waitcnt_vscnt null, 0x0
	buffer_gl1_inv
	buffer_gl0_inv
	s_barrier
.LBB4_5957:                             ;   in Loop: Header=BB4_5829 Depth=2
	s_or_b32 exec_lo, exec_lo, s14
.LBB4_5958:                             ;   in Loop: Header=BB4_5829 Depth=2
	s_delay_alu instid0(SALU_CYCLE_1) | instskip(SKIP_1) | instid1(SALU_CYCLE_1)
	s_or_b32 exec_lo, exec_lo, s13
	s_and_saveexec_b32 s13, s7
	s_xor_b32 s14, exec_lo, s13
	s_cbranch_execz .LBB4_5962
; %bb.5959:                             ;   in Loop: Header=BB4_5829 Depth=2
	v_and_b32_e32 v2, 16, v30
	v_cmp_lt_i32_e32 vcc_lo, 0, v17
	s_delay_alu instid0(VALU_DEP_2) | instskip(NEXT) | instid1(VALU_DEP_1)
	v_cmp_ne_u32_e64 s13, 0, v2
	s_and_b32 s29, s13, vcc_lo
	s_delay_alu instid0(SALU_CYCLE_1)
	s_and_saveexec_b32 s13, s29
	s_cbranch_execz .LBB4_5961
; %bb.5960:                             ;   in Loop: Header=BB4_5829 Depth=2
	s_waitcnt lgkmcnt(0)
	s_waitcnt_vscnt null, 0x0
	buffer_gl1_inv
	buffer_gl0_inv
.LBB4_5961:                             ;   in Loop: Header=BB4_5829 Depth=2
	s_or_b32 exec_lo, exec_lo, s13
.LBB4_5962:                             ;   in Loop: Header=BB4_5829 Depth=2
	s_and_not1_saveexec_b32 s13, s14
	s_cbranch_execz .LBB4_5984
; %bb.5963:                             ;   in Loop: Header=BB4_5829 Depth=2
	s_and_saveexec_b32 s14, s4
	s_delay_alu instid0(SALU_CYCLE_1)
	s_xor_b32 s14, exec_lo, s14
	s_cbranch_execz .LBB4_5981
; %bb.5964:                             ;   in Loop: Header=BB4_5829 Depth=2
	s_and_saveexec_b32 s29, s1
	s_cbranch_execz .LBB4_5980
; %bb.5965:                             ;   in Loop: Header=BB4_5829 Depth=2
	s_mov_b32 s35, exec_lo
	s_mov_b32 s34, exec_lo
	v_mbcnt_lo_u32_b32 v2, s35, 0
	;;#ASMSTART
	s_waitcnt lgkmcnt(0) vmcnt(0)
	;;#ASMEND
	s_delay_alu instid0(VALU_DEP_1)
	v_cmpx_eq_u32_e32 0, v2
	s_cbranch_execz .LBB4_5967
; %bb.5966:                             ;   in Loop: Header=BB4_5829 Depth=2
	s_bcnt1_i32_b32 vcc_lo, s35
	s_delay_alu instid0(SALU_CYCLE_1)
	v_mov_b32_e32 v2, vcc_lo
	ds_add_u64 v0, v[2:3]
	s_cbranch_execnz .LBB4_6511
.LBB4_5967:                             ;   in Loop: Header=BB4_5829 Depth=2
	s_or_b32 exec_lo, exec_lo, s34
	s_cbranch_execnz .LBB4_6491
; %bb.5968:                             ;   in Loop: Header=BB4_5829 Depth=2
	ds_load_b64 v[8:9], v0
	v_add_co_u32 v48, vcc_lo, v48, v97
	v_add_co_ci_u32_e32 v49, vcc_lo, 0, v49, vcc_lo
	s_mov_b32 s34, exec_lo
	s_waitcnt lgkmcnt(0)
	s_delay_alu instid0(VALU_DEP_1)
	v_cmpx_lt_u64_e64 v[8:9], v[48:49]
	s_cbranch_execz .LBB4_5979
; %bb.5969:                             ;   in Loop: Header=BB4_5829 Depth=2
	s_mov_b32 s35, 0
	s_mov_b32 s38, 0
                                        ; implicit-def: $sgpr36
                                        ; implicit-def: $sgpr37
	s_branch .LBB4_5971
.LBB4_5970:                             ;   in Loop: Header=BB4_5971 Depth=3
	s_or_b32 exec_lo, exec_lo, s40
	s_delay_alu instid0(SALU_CYCLE_1) | instskip(NEXT) | instid1(SALU_CYCLE_1)
	s_and_b32 vcc_lo, exec_lo, vcc_lo
	s_or_b32 s35, vcc_lo, s35
	s_and_not1_b32 vcc_lo, s36, exec_lo
	s_and_b32 s36, s37, exec_lo
	s_delay_alu instid0(SALU_CYCLE_1)
	s_or_b32 s36, vcc_lo, s36
	s_and_not1_b32 exec_lo, exec_lo, s35
	s_cbranch_execz .LBB4_5977
.LBB4_5971:                             ;   Parent Loop BB4_51 Depth=1
                                        ;     Parent Loop BB4_5829 Depth=2
                                        ; =>    This Inner Loop Header: Depth=3
	s_add_i32 s38, s38, 1
                                        ; implicit-def: $sgpr40
	s_delay_alu instid0(SALU_CYCLE_1) | instskip(SKIP_1) | instid1(SALU_CYCLE_1)
	s_cmpk_lg_i32 s38, 0x2710
	s_cselect_b32 s39, -1, 0
	s_and_b32 vcc_lo, exec_lo, s39
	s_cbranch_vccnz .LBB4_5974
; %bb.5972:                             ;   in Loop: Header=BB4_5971 Depth=3
	s_cbranch_execnz .LBB4_6559
; %bb.5973:                             ;   in Loop: Header=BB4_5971 Depth=3
	ds_load_b64 v[8:9], v0
	s_and_not1_b32 s39, s39, exec_lo
	s_mov_b32 s38, 0
	s_mov_b32 s40, -1
	s_waitcnt lgkmcnt(0)
	s_waitcnt_vscnt null, 0x0
	flat_load_b32 v2, v[8:9] glc
	s_waitcnt vmcnt(0) lgkmcnt(0)
	buffer_gl1_inv
	buffer_gl0_inv
	v_cmp_eq_u32_e32 vcc_lo, 0, v2
	s_and_b32 vcc_lo, vcc_lo, exec_lo
	s_delay_alu instid0(SALU_CYCLE_1)
	s_or_b32 s39, s39, vcc_lo
.LBB4_5974:                             ;   in Loop: Header=BB4_5971 Depth=3
	s_and_not1_b32 s37, s37, exec_lo
	s_and_b32 s40, s40, exec_lo
	s_mov_b32 vcc_lo, -1
	s_or_b32 s37, s37, s40
	s_and_saveexec_b32 s40, s39
	s_cbranch_execz .LBB4_5970
; %bb.5975:                             ;   in Loop: Header=BB4_5971 Depth=3
	s_sleep 1
	s_cbranch_execnz .LBB4_6545
; %bb.5976:                             ;   in Loop: Header=BB4_5971 Depth=3
	ds_load_b64 v[8:9], v0
	s_and_not1_b32 s37, s37, exec_lo
	s_waitcnt lgkmcnt(0)
	v_cmp_ge_u64_e32 vcc_lo, v[8:9], v[48:49]
	s_or_not1_b32 vcc_lo, vcc_lo, exec_lo
	s_branch .LBB4_5970
.LBB4_5977:                             ;   in Loop: Header=BB4_5829 Depth=2
	s_or_b32 exec_lo, exec_lo, s35
	s_and_saveexec_b32 vcc_lo, s36
	s_delay_alu instid0(SALU_CYCLE_1)
	s_xor_b32 vcc_lo, exec_lo, vcc_lo
	s_cbranch_execz .LBB4_5979
; %bb.5978:                             ;   in Loop: Header=BB4_5829 Depth=2
	ds_store_b32 v0, v134
	s_cbranch_execnz .LBB4_6607
.LBB4_5979:                             ;   in Loop: Header=BB4_5829 Depth=2
	s_or_b32 exec_lo, exec_lo, s34
	;;#ASMSTART
	s_wakeup
	;;#ASMEND
.LBB4_5980:                             ;   in Loop: Header=BB4_5829 Depth=2
	s_or_b32 exec_lo, exec_lo, s29
.LBB4_5981:                             ;   in Loop: Header=BB4_5829 Depth=2
	s_and_not1_saveexec_b32 s14, s14
	s_cbranch_execz .LBB4_5983
; %bb.5982:                             ;   in Loop: Header=BB4_5829 Depth=2
	;;#ASMSTART
	s_waitcnt lgkmcnt(0) vmcnt(0)
	;;#ASMEND
	s_waitcnt lgkmcnt(0)
	s_waitcnt_vscnt null, 0x0
	s_barrier
.LBB4_5983:                             ;   in Loop: Header=BB4_5829 Depth=2
	s_or_b32 exec_lo, exec_lo, s14
.LBB4_5984:                             ;   in Loop: Header=BB4_5829 Depth=2
	s_delay_alu instid0(SALU_CYCLE_1) | instskip(SKIP_2) | instid1(VALU_DEP_1)
	s_or_b32 exec_lo, exec_lo, s13
	v_and_b32_e32 v2, 32, v30
	s_mov_b32 s13, exec_lo
	v_cmpx_ne_u32_e32 0, v2
	s_cbranch_execz .LBB4_5986
; %bb.5985:                             ;   in Loop: Header=BB4_5829 Depth=2
	v_add_co_u32 v34, vcc_lo, v34, 2
	v_add_co_ci_u32_e32 v35, vcc_lo, 0, v35, vcc_lo
	s_waitcnt lgkmcnt(0)
	s_waitcnt_vscnt null, 0x0
	flat_store_b64 v[32:33], v[34:35]
.LBB4_5986:                             ;   in Loop: Header=BB4_5829 Depth=2
	s_or_b32 exec_lo, exec_lo, s13
	v_add_nc_u32_e32 v14, v13, v14
	s_xor_b32 s13, s17, -1
	v_mov_b32_e32 v2, s31
	s_mov_b32 s17, 0
	s_mov_b32 s31, 2
	v_cmp_ge_i32_e32 vcc_lo, v14, v12
	s_or_b32 s13, s13, vcc_lo
	s_delay_alu instid0(SALU_CYCLE_1) | instskip(NEXT) | instid1(SALU_CYCLE_1)
	s_and_b32 s13, exec_lo, s13
	s_or_b32 s16, s13, s16
	s_delay_alu instid0(SALU_CYCLE_1)
	s_and_not1_b32 exec_lo, exec_lo, s16
	s_cbranch_execnz .LBB4_5829
; %bb.5987:                             ;   in Loop: Header=BB4_51 Depth=1
	s_or_b32 exec_lo, exec_lo, s16
.LBB4_5988:                             ;   in Loop: Header=BB4_51 Depth=1
	s_delay_alu instid0(SALU_CYCLE_1) | instskip(NEXT) | instid1(SALU_CYCLE_1)
	s_or_b32 exec_lo, exec_lo, s15
	s_mov_b32 s14, exec_lo
	v_cmpx_gt_i32_e32 2, v2
	s_cbranch_execz .LBB4_6067
; %bb.5989:                             ;   in Loop: Header=BB4_51 Depth=1
	v_cmp_eq_u32_e64 s13, 0, v2
	s_mov_b32 s15, 0
.LBB4_5990:                             ;   Parent Loop BB4_51 Depth=1
                                        ; =>  This Loop Header: Depth=2
                                        ;       Child Loop BB4_5996 Depth 3
                                        ;       Child Loop BB4_6023 Depth 3
	;; [unrolled: 1-line block ×3, first 2 shown]
	v_and_b32_e32 v2, 4, v30
	s_mov_b32 s17, -1
	s_mov_b32 s16, exec_lo
	s_delay_alu instid0(VALU_DEP_1)
	v_cmpx_ne_u32_e32 0, v2
	s_cbranch_execz .LBB4_6004
; %bb.5991:                             ;   in Loop: Header=BB4_5990 Depth=2
	v_add_co_u32 v8, vcc_lo, v34, 2
	v_add_co_ci_u32_e32 v9, vcc_lo, 0, v35, vcc_lo
	v_mov_b32_e32 v2, 1
	s_mov_b32 s17, exec_lo
	s_delay_alu instid0(VALU_DEP_2)
	v_cmpx_lt_u64_e64 v[50:51], v[8:9]
	s_cbranch_execz .LBB4_6003
; %bb.5992:                             ;   in Loop: Header=BB4_5990 Depth=2
	v_mov_b32_e32 v2, 0
	s_mov_b32 s29, 0
                                        ; implicit-def: $sgpr31
	s_branch .LBB4_5996
.LBB4_5993:                             ;   in Loop: Header=BB4_5996 Depth=3
	s_or_b32 exec_lo, exec_lo, s37
	v_mov_b32_e32 v10, 0
	s_or_not1_b32 s36, s36, exec_lo
.LBB4_5994:                             ;   in Loop: Header=BB4_5996 Depth=3
	s_or_b32 exec_lo, exec_lo, s35
	s_delay_alu instid0(VALU_DEP_1) | instskip(SKIP_2) | instid1(SALU_CYCLE_1)
	v_mov_b32_e32 v2, v10
	s_and_not1_b32 vcc_lo, s31, exec_lo
	s_and_b32 s31, s36, exec_lo
	s_or_b32 s31, vcc_lo, s31
.LBB4_5995:                             ;   in Loop: Header=BB4_5996 Depth=3
	s_or_b32 exec_lo, exec_lo, s34
	s_waitcnt vmcnt(0) lgkmcnt(0)
	v_cmp_ge_u64_e32 vcc_lo, v[50:51], v[8:9]
	s_xor_b32 s34, s31, -1
	s_delay_alu instid0(SALU_CYCLE_1) | instskip(NEXT) | instid1(SALU_CYCLE_1)
	s_or_b32 vcc_lo, s34, vcc_lo
	s_and_b32 vcc_lo, exec_lo, vcc_lo
	s_delay_alu instid0(SALU_CYCLE_1) | instskip(NEXT) | instid1(SALU_CYCLE_1)
	s_or_b32 s29, vcc_lo, s29
	s_and_not1_b32 exec_lo, exec_lo, s29
	s_cbranch_execz .LBB4_6002
.LBB4_5996:                             ;   Parent Loop BB4_51 Depth=1
                                        ;     Parent Loop BB4_5990 Depth=2
                                        ; =>    This Inner Loop Header: Depth=3
	s_sleep 1
	flat_load_b64 v[50:51], v[32:33] glc
	v_and_b32_e32 v10, 64, v30
	s_and_not1_b32 s31, s31, exec_lo
	s_mov_b32 s34, exec_lo
	s_delay_alu instid0(VALU_DEP_1)
	v_cmpx_eq_u32_e32 0, v10
	s_cbranch_execz .LBB4_5995
; %bb.5997:                             ;   in Loop: Header=BB4_5996 Depth=3
	v_add_nc_u32_e32 v10, 1, v2
	s_mov_b32 s36, -1
	s_mov_b32 s35, exec_lo
	v_cmpx_lt_i32_e32 0x270e, v2
	s_cbranch_execz .LBB4_5994
; %bb.5998:                             ;   in Loop: Header=BB4_5996 Depth=3
	s_cbranch_execnz .LBB4_6279
; %bb.5999:                             ;   in Loop: Header=BB4_5996 Depth=3
	ds_load_b64 v[10:11], v0
	s_mov_b32 s37, exec_lo
	s_waitcnt vmcnt(0) lgkmcnt(0)
	s_waitcnt_vscnt null, 0x0
	flat_load_b32 v2, v[10:11] glc
	s_waitcnt vmcnt(0) lgkmcnt(0)
	buffer_gl1_inv
	buffer_gl0_inv
	v_cmpx_ne_u32_e32 0, v2
	s_cbranch_execz .LBB4_5993
; %bb.6000:                             ;   in Loop: Header=BB4_5996 Depth=3
	ds_store_b32 v0, v2
	s_cbranch_execnz .LBB4_6357
; %bb.6001:                             ;   in Loop: Header=BB4_5996 Depth=3
	v_or_b32_e32 v30, 64, v30
	s_xor_b32 s36, exec_lo, -1
	s_branch .LBB4_5993
.LBB4_6002:                             ;   in Loop: Header=BB4_5990 Depth=2
	s_or_b32 exec_lo, exec_lo, s29
	v_and_b32_e32 v2, 4, v30
.LBB4_6003:                             ;   in Loop: Header=BB4_5990 Depth=2
	s_or_b32 exec_lo, exec_lo, s17
	s_delay_alu instid0(VALU_DEP_1)
	v_cmp_eq_u32_e32 vcc_lo, 0, v2
	;;#ASMSTART
	s_wakeup
	;;#ASMEND
	s_or_not1_b32 s17, vcc_lo, exec_lo
.LBB4_6004:                             ;   in Loop: Header=BB4_5990 Depth=2
	s_or_b32 exec_lo, exec_lo, s16
	s_xor_b32 s13, s13, -1
	s_delay_alu instid0(SALU_CYCLE_1) | instskip(NEXT) | instid1(SALU_CYCLE_1)
	s_and_b32 s13, exec_lo, s13
	s_or_b32 s15, s13, s15
	s_xor_b32 s13, s17, -1
	s_delay_alu instid0(SALU_CYCLE_1)
	s_and_saveexec_b32 s16, s13
	s_cbranch_execz .LBB4_6014
; %bb.6005:                             ;   in Loop: Header=BB4_5990 Depth=2
	v_and_b32_e32 v2, 0x100, v30
	s_mov_b32 s13, -1
                                        ; implicit-def: $vgpr8_vgpr9
	s_delay_alu instid0(VALU_DEP_1)
	v_cmp_ne_u32_e32 vcc_lo, 0, v2
	v_and_b32_e32 v2, 7, v34
	s_and_saveexec_b32 s17, vcc_lo
	s_cbranch_execz .LBB4_6009
; %bb.6006:                             ;   in Loop: Header=BB4_5990 Depth=2
	s_delay_alu instid0(VALU_DEP_1) | instskip(SKIP_4) | instid1(VALU_DEP_1)
	v_mad_u64_u32 v[10:11], null, v2, 24, v[6:7]
	flat_load_b32 v8, v[10:11]
	s_waitcnt vmcnt(0) lgkmcnt(0)
	v_cmp_ne_u32_e32 vcc_lo, 1, v8
	v_cmp_eq_u32_e64 s13, 1, v8
                                        ; implicit-def: $vgpr8_vgpr9
	s_and_saveexec_b32 s29, s13
	s_cbranch_execz .LBB4_6008
; %bb.6007:                             ;   in Loop: Header=BB4_5990 Depth=2
	flat_load_b32 v8, v[10:11] offset:4 glc
	s_waitcnt vmcnt(0) lgkmcnt(0)
	v_ashrrev_i32_e32 v9, 31, v8
.LBB4_6008:                             ;   in Loop: Header=BB4_5990 Depth=2
	s_or_b32 exec_lo, exec_lo, s29
	s_delay_alu instid0(SALU_CYCLE_1)
	s_or_not1_b32 s13, vcc_lo, exec_lo
.LBB4_6009:                             ;   in Loop: Header=BB4_5990 Depth=2
	s_or_b32 exec_lo, exec_lo, s17
	s_and_saveexec_b32 s17, s13
; %bb.6010:                             ;   in Loop: Header=BB4_5990 Depth=2
	v_mad_i64_i32 v[8:9], null, v2, v86, 0
; %bb.6011:                             ;   in Loop: Header=BB4_5990 Depth=2
	s_or_b32 exec_lo, exec_lo, s17
	s_delay_alu instid0(VALU_DEP_1) | instskip(SKIP_1) | instid1(VALU_DEP_3)
	v_add_co_u32 v8, vcc_lo, v36, v8
	v_and_b32_e32 v2, 0x2000, v30
	v_add_co_ci_u32_e32 v9, vcc_lo, v37, v9, vcc_lo
	s_mov_b32 s13, exec_lo
	ds_store_b64 v0, v[8:9] offset:720
	v_cmpx_ne_u32_e32 0, v2
	s_cbranch_execz .LBB4_6013
; %bb.6012:                             ;   in Loop: Header=BB4_5990 Depth=2
	ds_load_b64 v[8:9], v0 offset:584
	s_waitcnt lgkmcnt(0)
	v_add_co_u32 v8, vcc_lo, v8, 1
	v_add_co_ci_u32_e32 v9, vcc_lo, 0, v9, vcc_lo
	ds_store_b64 v0, v[8:9] offset:584
.LBB4_6013:                             ;   in Loop: Header=BB4_5990 Depth=2
	s_or_b32 exec_lo, exec_lo, s13
	v_add_co_u32 v34, vcc_lo, v34, 2
	v_add_co_ci_u32_e32 v35, vcc_lo, 0, v35, vcc_lo
.LBB4_6014:                             ;   in Loop: Header=BB4_5990 Depth=2
	s_or_b32 exec_lo, exec_lo, s16
	s_and_saveexec_b32 s13, s3
	s_cbranch_execz .LBB4_6036
; %bb.6015:                             ;   in Loop: Header=BB4_5990 Depth=2
	s_and_saveexec_b32 s16, s4
	s_delay_alu instid0(SALU_CYCLE_1)
	s_xor_b32 s16, exec_lo, s16
	s_cbranch_execz .LBB4_6033
; %bb.6016:                             ;   in Loop: Header=BB4_5990 Depth=2
	s_and_saveexec_b32 s17, s1
	s_cbranch_execz .LBB4_6032
; %bb.6017:                             ;   in Loop: Header=BB4_5990 Depth=2
	s_mov_b32 s31, exec_lo
	s_mov_b32 s29, exec_lo
	v_mbcnt_lo_u32_b32 v2, s31, 0
	s_waitcnt lgkmcnt(0)
	s_waitcnt_vscnt null, 0x0
	buffer_gl1_inv
	buffer_gl0_inv
	v_cmpx_eq_u32_e32 0, v2
	s_cbranch_execz .LBB4_6019
; %bb.6018:                             ;   in Loop: Header=BB4_5990 Depth=2
	s_bcnt1_i32_b32 vcc_lo, s31
	s_delay_alu instid0(SALU_CYCLE_1)
	v_mov_b32_e32 v2, vcc_lo
	ds_add_u64 v0, v[2:3]
	s_cbranch_execnz .LBB4_6393
.LBB4_6019:                             ;   in Loop: Header=BB4_5990 Depth=2
	s_or_b32 exec_lo, exec_lo, s29
	s_cbranch_execnz .LBB4_6369
; %bb.6020:                             ;   in Loop: Header=BB4_5990 Depth=2
	ds_load_b64 v[8:9], v0
	v_add_co_u32 v48, vcc_lo, v48, v97
	v_add_co_ci_u32_e32 v49, vcc_lo, 0, v49, vcc_lo
	s_mov_b32 s29, exec_lo
	s_waitcnt lgkmcnt(0)
	s_delay_alu instid0(VALU_DEP_1)
	v_cmpx_lt_u64_e64 v[8:9], v[48:49]
	s_cbranch_execz .LBB4_6031
; %bb.6021:                             ;   in Loop: Header=BB4_5990 Depth=2
	s_mov_b32 s31, 0
	s_mov_b32 s36, 0
                                        ; implicit-def: $sgpr34
                                        ; implicit-def: $sgpr35
	s_branch .LBB4_6023
.LBB4_6022:                             ;   in Loop: Header=BB4_6023 Depth=3
	s_or_b32 exec_lo, exec_lo, s38
	s_delay_alu instid0(SALU_CYCLE_1) | instskip(NEXT) | instid1(SALU_CYCLE_1)
	s_and_b32 vcc_lo, exec_lo, vcc_lo
	s_or_b32 s31, vcc_lo, s31
	s_and_not1_b32 vcc_lo, s34, exec_lo
	s_and_b32 s34, s35, exec_lo
	s_delay_alu instid0(SALU_CYCLE_1)
	s_or_b32 s34, vcc_lo, s34
	s_and_not1_b32 exec_lo, exec_lo, s31
	s_cbranch_execz .LBB4_6029
.LBB4_6023:                             ;   Parent Loop BB4_51 Depth=1
                                        ;     Parent Loop BB4_5990 Depth=2
                                        ; =>    This Inner Loop Header: Depth=3
	s_add_i32 s36, s36, 1
                                        ; implicit-def: $sgpr38
	s_delay_alu instid0(SALU_CYCLE_1) | instskip(SKIP_1) | instid1(SALU_CYCLE_1)
	s_cmpk_lg_i32 s36, 0x2710
	s_cselect_b32 s37, -1, 0
	s_and_b32 vcc_lo, exec_lo, s37
	s_cbranch_vccz .LBB4_6027
.LBB4_6024:                             ;   in Loop: Header=BB4_6023 Depth=3
	s_and_not1_b32 s35, s35, exec_lo
	s_and_b32 s38, s38, exec_lo
	s_mov_b32 vcc_lo, -1
	s_or_b32 s35, s35, s38
	s_and_saveexec_b32 s38, s37
	s_cbranch_execz .LBB4_6022
; %bb.6025:                             ;   in Loop: Header=BB4_6023 Depth=3
	s_sleep 1
	s_cbranch_execnz .LBB4_6441
; %bb.6026:                             ;   in Loop: Header=BB4_6023 Depth=3
	ds_load_b64 v[8:9], v0
	s_and_not1_b32 s35, s35, exec_lo
	s_waitcnt lgkmcnt(0)
	v_cmp_ge_u64_e32 vcc_lo, v[8:9], v[48:49]
	s_or_not1_b32 vcc_lo, vcc_lo, exec_lo
	s_branch .LBB4_6022
.LBB4_6027:                             ;   in Loop: Header=BB4_6023 Depth=3
	s_cbranch_execnz .LBB4_6461
; %bb.6028:                             ;   in Loop: Header=BB4_6023 Depth=3
	ds_load_b64 v[8:9], v0
	s_and_not1_b32 s37, s37, exec_lo
	s_mov_b32 s36, 0
	s_mov_b32 s38, -1
	s_waitcnt lgkmcnt(0)
	flat_load_b32 v2, v[8:9] glc
	s_waitcnt vmcnt(0) lgkmcnt(0)
	buffer_gl1_inv
	buffer_gl0_inv
	v_cmp_eq_u32_e32 vcc_lo, 0, v2
	s_and_b32 vcc_lo, vcc_lo, exec_lo
	s_delay_alu instid0(SALU_CYCLE_1)
	s_or_b32 s37, s37, vcc_lo
	s_branch .LBB4_6024
.LBB4_6029:                             ;   in Loop: Header=BB4_5990 Depth=2
	s_or_b32 exec_lo, exec_lo, s31
	s_and_saveexec_b32 vcc_lo, s34
	s_delay_alu instid0(SALU_CYCLE_1)
	s_xor_b32 vcc_lo, exec_lo, vcc_lo
	s_cbranch_execz .LBB4_6031
; %bb.6030:                             ;   in Loop: Header=BB4_5990 Depth=2
	ds_store_b32 v0, v134
	s_cbranch_execnz .LBB4_6585
.LBB4_6031:                             ;   in Loop: Header=BB4_5990 Depth=2
	s_or_b32 exec_lo, exec_lo, s29
	;;#ASMSTART
	s_wakeup
	;;#ASMEND
.LBB4_6032:                             ;   in Loop: Header=BB4_5990 Depth=2
	s_or_b32 exec_lo, exec_lo, s17
.LBB4_6033:                             ;   in Loop: Header=BB4_5990 Depth=2
	s_and_not1_saveexec_b32 s16, s16
	s_cbranch_execz .LBB4_6035
; %bb.6034:                             ;   in Loop: Header=BB4_5990 Depth=2
	s_waitcnt lgkmcnt(0)
	s_waitcnt_vscnt null, 0x0
	buffer_gl1_inv
	buffer_gl0_inv
	s_barrier
.LBB4_6035:                             ;   in Loop: Header=BB4_5990 Depth=2
	s_or_b32 exec_lo, exec_lo, s16
.LBB4_6036:                             ;   in Loop: Header=BB4_5990 Depth=2
	s_delay_alu instid0(SALU_CYCLE_1) | instskip(SKIP_1) | instid1(VALU_DEP_1)
	s_or_b32 exec_lo, exec_lo, s13
	v_sub_nc_u32_e32 v2, v12, v14
	v_min_i32_e32 v13, v13, v2
	s_and_saveexec_b32 s13, s7
	s_delay_alu instid0(SALU_CYCLE_1)
	s_xor_b32 s16, exec_lo, s13
	s_cbranch_execz .LBB4_6041
; %bb.6037:                             ;   in Loop: Header=BB4_5990 Depth=2
	s_cbranch_execnz .LBB4_6275
; %bb.6038:                             ;   in Loop: Header=BB4_5990 Depth=2
	ds_load_b32 v2, v0
	v_cmp_lt_i32_e32 vcc_lo, 0, v13
	s_waitcnt lgkmcnt(0)
	v_readfirstlane_b32 s13, v2
	v_and_b32_e32 v2, 16, v30
	s_delay_alu instid0(VALU_DEP_2) | instskip(NEXT) | instid1(VALU_DEP_1)
	s_cmp_eq_u32 s13, 0
	v_cmp_ne_u32_e64 s13, 0, v2
	s_cselect_b32 s17, -1, 0
	s_delay_alu instid0(SALU_CYCLE_1)
	s_and_b32 s17, vcc_lo, s17
	s_delay_alu instid0(VALU_DEP_1) | instid1(SALU_CYCLE_1)
	s_and_b32 s17, s13, s17
	s_delay_alu instid0(SALU_CYCLE_1)
	s_and_saveexec_b32 s13, s17
	s_cbranch_execz .LBB4_6040
; %bb.6039:                             ;   in Loop: Header=BB4_5990 Depth=2
	s_waitcnt_vscnt null, 0x0
	buffer_gl1_inv
	buffer_gl0_inv
.LBB4_6040:                             ;   in Loop: Header=BB4_5990 Depth=2
	s_or_b32 exec_lo, exec_lo, s13
.LBB4_6041:                             ;   in Loop: Header=BB4_5990 Depth=2
	s_and_not1_saveexec_b32 s13, s16
	s_cbranch_execz .LBB4_6063
; %bb.6042:                             ;   in Loop: Header=BB4_5990 Depth=2
	s_and_saveexec_b32 s16, s4
	s_delay_alu instid0(SALU_CYCLE_1)
	s_xor_b32 s16, exec_lo, s16
	s_cbranch_execz .LBB4_6060
; %bb.6043:                             ;   in Loop: Header=BB4_5990 Depth=2
	s_and_saveexec_b32 s17, s1
	s_cbranch_execz .LBB4_6059
; %bb.6044:                             ;   in Loop: Header=BB4_5990 Depth=2
	s_mov_b32 s31, exec_lo
	s_mov_b32 s29, exec_lo
	v_mbcnt_lo_u32_b32 v2, s31, 0
	;;#ASMSTART
	s_waitcnt lgkmcnt(0) vmcnt(0)
	;;#ASMEND
	s_delay_alu instid0(VALU_DEP_1)
	v_cmpx_eq_u32_e32 0, v2
	s_cbranch_execz .LBB4_6046
; %bb.6045:                             ;   in Loop: Header=BB4_5990 Depth=2
	s_bcnt1_i32_b32 vcc_lo, s31
	s_delay_alu instid0(SALU_CYCLE_1)
	v_mov_b32_e32 v2, vcc_lo
	ds_add_u64 v0, v[2:3]
	s_cbranch_execnz .LBB4_6419
.LBB4_6046:                             ;   in Loop: Header=BB4_5990 Depth=2
	s_or_b32 exec_lo, exec_lo, s29
	s_cbranch_execnz .LBB4_6391
; %bb.6047:                             ;   in Loop: Header=BB4_5990 Depth=2
	ds_load_b64 v[8:9], v0
	v_add_co_u32 v48, vcc_lo, v48, v97
	v_add_co_ci_u32_e32 v49, vcc_lo, 0, v49, vcc_lo
	s_mov_b32 s29, exec_lo
	s_waitcnt lgkmcnt(0)
	s_delay_alu instid0(VALU_DEP_1)
	v_cmpx_lt_u64_e64 v[8:9], v[48:49]
	s_cbranch_execz .LBB4_6058
; %bb.6048:                             ;   in Loop: Header=BB4_5990 Depth=2
	s_mov_b32 s31, 0
	s_mov_b32 s36, 0
                                        ; implicit-def: $sgpr34
                                        ; implicit-def: $sgpr35
	s_branch .LBB4_6050
.LBB4_6049:                             ;   in Loop: Header=BB4_6050 Depth=3
	s_or_b32 exec_lo, exec_lo, s38
	s_delay_alu instid0(SALU_CYCLE_1) | instskip(NEXT) | instid1(SALU_CYCLE_1)
	s_and_b32 vcc_lo, exec_lo, vcc_lo
	s_or_b32 s31, vcc_lo, s31
	s_and_not1_b32 vcc_lo, s34, exec_lo
	s_and_b32 s34, s35, exec_lo
	s_delay_alu instid0(SALU_CYCLE_1)
	s_or_b32 s34, vcc_lo, s34
	s_and_not1_b32 exec_lo, exec_lo, s31
	s_cbranch_execz .LBB4_6056
.LBB4_6050:                             ;   Parent Loop BB4_51 Depth=1
                                        ;     Parent Loop BB4_5990 Depth=2
                                        ; =>    This Inner Loop Header: Depth=3
	s_add_i32 s36, s36, 1
                                        ; implicit-def: $sgpr38
	s_delay_alu instid0(SALU_CYCLE_1) | instskip(SKIP_1) | instid1(SALU_CYCLE_1)
	s_cmpk_lg_i32 s36, 0x2710
	s_cselect_b32 s37, -1, 0
	s_and_b32 vcc_lo, exec_lo, s37
	s_cbranch_vccz .LBB4_6054
.LBB4_6051:                             ;   in Loop: Header=BB4_6050 Depth=3
	s_and_not1_b32 s35, s35, exec_lo
	s_and_b32 s38, s38, exec_lo
	s_mov_b32 vcc_lo, -1
	s_or_b32 s35, s35, s38
	s_and_saveexec_b32 s38, s37
	s_cbranch_execz .LBB4_6049
; %bb.6052:                             ;   in Loop: Header=BB4_6050 Depth=3
	s_sleep 1
	s_cbranch_execnz .LBB4_6471
; %bb.6053:                             ;   in Loop: Header=BB4_6050 Depth=3
	ds_load_b64 v[8:9], v0
	s_and_not1_b32 s35, s35, exec_lo
	s_waitcnt lgkmcnt(0)
	v_cmp_ge_u64_e32 vcc_lo, v[8:9], v[48:49]
	s_or_not1_b32 vcc_lo, vcc_lo, exec_lo
	s_branch .LBB4_6049
.LBB4_6054:                             ;   in Loop: Header=BB4_6050 Depth=3
	s_cbranch_execnz .LBB4_6489
; %bb.6055:                             ;   in Loop: Header=BB4_6050 Depth=3
	ds_load_b64 v[8:9], v0
	s_and_not1_b32 s37, s37, exec_lo
	s_mov_b32 s36, 0
	s_mov_b32 s38, -1
	s_waitcnt lgkmcnt(0)
	s_waitcnt_vscnt null, 0x0
	flat_load_b32 v2, v[8:9] glc
	s_waitcnt vmcnt(0) lgkmcnt(0)
	buffer_gl1_inv
	buffer_gl0_inv
	v_cmp_eq_u32_e32 vcc_lo, 0, v2
	s_and_b32 vcc_lo, vcc_lo, exec_lo
	s_delay_alu instid0(SALU_CYCLE_1)
	s_or_b32 s37, s37, vcc_lo
	s_branch .LBB4_6051
.LBB4_6056:                             ;   in Loop: Header=BB4_5990 Depth=2
	s_or_b32 exec_lo, exec_lo, s31
	s_and_saveexec_b32 vcc_lo, s34
	s_delay_alu instid0(SALU_CYCLE_1)
	s_xor_b32 vcc_lo, exec_lo, vcc_lo
	s_cbranch_execz .LBB4_6058
; %bb.6057:                             ;   in Loop: Header=BB4_5990 Depth=2
	ds_store_b32 v0, v134
	s_cbranch_execnz .LBB4_6595
.LBB4_6058:                             ;   in Loop: Header=BB4_5990 Depth=2
	s_or_b32 exec_lo, exec_lo, s29
	;;#ASMSTART
	s_wakeup
	;;#ASMEND
.LBB4_6059:                             ;   in Loop: Header=BB4_5990 Depth=2
	s_or_b32 exec_lo, exec_lo, s17
.LBB4_6060:                             ;   in Loop: Header=BB4_5990 Depth=2
	s_and_not1_saveexec_b32 s16, s16
	s_cbranch_execz .LBB4_6062
; %bb.6061:                             ;   in Loop: Header=BB4_5990 Depth=2
	;;#ASMSTART
	s_waitcnt lgkmcnt(0) vmcnt(0)
	;;#ASMEND
	s_waitcnt lgkmcnt(0)
	s_waitcnt_vscnt null, 0x0
	s_barrier
.LBB4_6062:                             ;   in Loop: Header=BB4_5990 Depth=2
	s_or_b32 exec_lo, exec_lo, s16
.LBB4_6063:                             ;   in Loop: Header=BB4_5990 Depth=2
	s_delay_alu instid0(SALU_CYCLE_1) | instskip(SKIP_2) | instid1(VALU_DEP_1)
	s_or_b32 exec_lo, exec_lo, s13
	v_and_b32_e32 v2, 32, v30
	s_mov_b32 s13, exec_lo
	v_cmpx_ne_u32_e32 0, v2
	s_cbranch_execz .LBB4_6065
; %bb.6064:                             ;   in Loop: Header=BB4_5990 Depth=2
	v_add_co_u32 v34, vcc_lo, v34, 2
	v_add_co_ci_u32_e32 v35, vcc_lo, 0, v35, vcc_lo
	s_waitcnt lgkmcnt(0)
	s_waitcnt_vscnt null, 0x0
	flat_store_b64 v[32:33], v[34:35]
.LBB4_6065:                             ;   in Loop: Header=BB4_5990 Depth=2
	s_or_b32 exec_lo, exec_lo, s13
	v_add_nc_u32_e32 v14, v13, v14
	s_mov_b32 s13, 0
	s_and_not1_b32 exec_lo, exec_lo, s15
	s_cbranch_execnz .LBB4_5990
; %bb.6066:                             ;   in Loop: Header=BB4_51 Depth=1
	s_or_b32 exec_lo, exec_lo, s15
.LBB4_6067:                             ;   in Loop: Header=BB4_51 Depth=1
	s_delay_alu instid0(SALU_CYCLE_1)
	s_or_b32 exec_lo, exec_lo, s14
	v_add_co_u32 v54, vcc_lo, v54, v52
	v_add_co_ci_u32_e32 v55, vcc_lo, v55, v53, vcc_lo
	v_readlane_b32 s14, v56, 5
	v_readlane_b32 s31, v56, 6
	;; [unrolled: 1-line block ×3, first 2 shown]
	s_delay_alu instid0(VALU_DEP_4) | instskip(SKIP_4) | instid1(SALU_CYCLE_1)
	v_cmp_ge_i64_e32 vcc_lo, v[54:55], v[4:5]
	v_readlane_b32 s35, v56, 8
	v_readlane_b32 s17, v56, 0
	s_mov_b32 s29, s2
	s_or_b32 s24, vcc_lo, s24
	s_and_not1_b32 exec_lo, exec_lo, s24
	s_cbranch_execz .LBB4_6068
; %bb.6867:                             ;   in Loop: Header=BB4_51 Depth=1
	s_getpc_b64 s[46:47]
.Lpost_getpc207:
	s_add_u32 s46, s46, (.LBB4_51-.Lpost_getpc207)&4294967295
	s_addc_u32 s47, s47, (.LBB4_51-.Lpost_getpc207)>>32
	s_setpc_b64 s[46:47]
.LBB4_6068:
	s_or_b32 exec_lo, exec_lo, s24
.LBB4_6069:
	s_delay_alu instid0(SALU_CYCLE_1)
	s_or_b32 exec_lo, exec_lo, s20
; %bb.6070:
	v_and_b32_e32 v0, 0x800, v30
	s_mov_b32 s0, exec_lo
	s_delay_alu instid0(VALU_DEP_1)
	v_cmpx_eq_u32_e32 0, v0
	s_cbranch_execz .LBB4_6325
; %bb.6071:
	v_and_b32_e32 v0, 48, v30
	s_mov_b32 s1, exec_lo
	s_delay_alu instid0(VALU_DEP_1)
	v_cmpx_ne_u32_e32 0, v0
	s_cbranch_execz .LBB4_6073
; %bb.6072:
	flat_store_b64 v[28:29], v[34:35] offset:104
.LBB4_6073:
	s_or_b32 exec_lo, exec_lo, s1
	v_and_b32_e32 v0, 0x88, v30
	s_mov_b32 s1, exec_lo
	s_delay_alu instid0(VALU_DEP_1)
	v_cmpx_eq_u32_e32 0x88, v0
	s_cbranch_execz .LBB4_6123
; %bb.6074:
	v_add_nc_u32_e32 v0, 6, v34
	s_mov_b32 s2, 0
                                        ; implicit-def: $sgpr3
	s_delay_alu instid0(VALU_DEP_1) | instskip(NEXT) | instid1(VALU_DEP_1)
	v_and_b32_e32 v0, 7, v0
	v_mad_u64_u32 v[2:3], null, v0, 24, v[6:7]
	v_mov_b32_e32 v0, 0
	s_delay_alu instid0(VALU_DEP_2) | instskip(NEXT) | instid1(VALU_DEP_3)
	v_add_co_u32 v2, vcc_lo, v2, 8
	v_add_co_ci_u32_e32 v3, vcc_lo, 0, v3, vcc_lo
	s_branch .LBB4_6109
.LBB4_6075:
	s_trap 2
	s_sendmsg_rtn_b32 s0, sendmsg(MSG_RTN_GET_DOORBELL)
	s_mov_b32 ttmp2, m0
	s_waitcnt lgkmcnt(0)
	s_and_b32 s0, s0, 0x3ff
	s_delay_alu instid0(SALU_CYCLE_1) | instskip(NEXT) | instid1(SALU_CYCLE_1)
	s_bitset1_b32 s0, 10
	s_mov_b32 m0, s0
	s_sendmsg sendmsg(MSG_INTERRUPT)
	s_mov_b32 m0, ttmp2
.LBB4_6076:                             ; =>This Inner Loop Header: Depth=1
	s_sethalt 5
	s_branch .LBB4_6076
.LBB4_6077:
	v_bfe_u32 v9, v7, 8, 8
	v_not_b32_e32 v8, v8
	s_mov_b32 s1, exec_lo
                                        ; implicit-def: $vgpr14_vgpr15
                                        ; implicit-def: $vgpr24_vgpr25
                                        ; implicit-def: $vgpr4_vgpr5
	s_delay_alu instid0(VALU_DEP_2)
	v_cmpx_ne_u32_e64 v9, v6
	s_xor_b32 s1, exec_lo, s1
	s_cbranch_execz .LBB4_6079
; %bb.6078:
	s_clause 0x1
	flat_load_b128 v[9:12], v[2:3] offset:72
	flat_load_b64 v[4:5], v[2:3] offset:96
	v_add_nc_u32_e32 v6, v6, v8
                                        ; implicit-def: $vgpr8
	s_waitcnt vmcnt(0) lgkmcnt(0)
	v_lshrrev_b64 v[14:15], 12, v[4:5]
	v_dual_mov_b32 v4, v11 :: v_dual_mov_b32 v5, v12
	s_delay_alu instid0(VALU_DEP_3) | instskip(SKIP_2) | instid1(VALU_DEP_3)
	v_ashrrev_i32_e32 v7, 31, v6
	v_mad_u64_u32 v[24:25], null, v11, v6, v[9:10]
	v_mul_lo_u32 v6, v12, v6
                                        ; implicit-def: $vgpr9
	v_mul_lo_u32 v7, v11, v7
	s_delay_alu instid0(VALU_DEP_1)
	v_add3_u32 v25, v6, v25, v7
.LBB4_6079:
	s_and_not1_saveexec_b32 s1, s1
	s_cbranch_execz .LBB4_6081
; %bb.6080:
	s_clause 0x1
	flat_load_b128 v[10:13], v[2:3] offset:72
	flat_load_b128 v[4:7], v[2:3] offset:88
	s_waitcnt vmcnt(0) lgkmcnt(0)
	v_add_nc_u32_e32 v6, v9, v8
	s_delay_alu instid0(VALU_DEP_1) | instskip(NEXT) | instid1(VALU_DEP_1)
	v_ashrrev_i32_e32 v8, 31, v6
	v_mul_lo_u32 v8, v12, v8
	v_mad_u64_u32 v[24:25], null, v12, v6, v[10:11]
	v_mul_lo_u32 v6, v13, v6
	v_lshrrev_b32_e32 v14, 1, v7
	s_delay_alu instid0(VALU_DEP_2)
	v_add3_u32 v25, v6, v25, v8
.LBB4_6081:
	s_or_b32 exec_lo, exec_lo, s1
	s_and_not1_saveexec_b32 s0, s0
	s_cbranch_execnz .LBB4_6082
; %bb.6869:
	s_getpc_b64 s[46:47]
.Lpost_getpc208:
	s_add_u32 s46, s46, (.LBB4_3-.Lpost_getpc208)&4294967295
	s_addc_u32 s47, s47, (.LBB4_3-.Lpost_getpc208)>>32
	s_setpc_b64 s[46:47]
.LBB4_6082:
	s_clause 0x1
	flat_load_b64 v[6:7], v[2:3] offset:96
	flat_load_b64 v[4:5], v[2:3] offset:72
	v_mov_b32_e32 v24, 0
	v_mov_b32_e32 v25, 0
	s_waitcnt vmcnt(1) lgkmcnt(1)
	v_lshlrev_b64 v[14:15], 9, v[6:7]
	s_or_b32 exec_lo, exec_lo, s0
	s_cbranch_execnz .LBB4_6083
; %bb.6871:
	s_getpc_b64 s[46:47]
.Lpost_getpc209:
	s_add_u32 s46, s46, (.LBB4_4-.Lpost_getpc209)&4294967295
	s_addc_u32 s47, s47, (.LBB4_4-.Lpost_getpc209)>>32
	s_setpc_b64 s[46:47]
.LBB4_6083:
	s_trap 2
	s_sendmsg_rtn_b32 s0, sendmsg(MSG_RTN_GET_DOORBELL)
	s_mov_b32 ttmp2, m0
	s_waitcnt lgkmcnt(0)
	s_and_b32 s0, s0, 0x3ff
	s_delay_alu instid0(SALU_CYCLE_1) | instskip(NEXT) | instid1(SALU_CYCLE_1)
	s_bitset1_b32 s0, 10
	s_mov_b32 m0, s0
	s_sendmsg sendmsg(MSG_INTERRUPT)
	s_mov_b32 m0, ttmp2
.LBB4_6084:                             ; =>This Inner Loop Header: Depth=1
	s_sethalt 5
	s_branch .LBB4_6084
.LBB4_6085:
	s_trap 2
	s_sendmsg_rtn_b32 s0, sendmsg(MSG_RTN_GET_DOORBELL)
	s_mov_b32 ttmp2, m0
	s_waitcnt lgkmcnt(0)
	s_and_b32 s0, s0, 0x3ff
	s_delay_alu instid0(SALU_CYCLE_1) | instskip(NEXT) | instid1(SALU_CYCLE_1)
	s_bitset1_b32 s0, 10
	s_mov_b32 m0, s0
	s_sendmsg sendmsg(MSG_INTERRUPT)
	s_mov_b32 m0, ttmp2
.LBB4_6086:                             ; =>This Inner Loop Header: Depth=1
	s_sethalt 5
	s_branch .LBB4_6086
.LBB4_6087:
	s_trap 2
	s_sendmsg_rtn_b32 s0, sendmsg(MSG_RTN_GET_DOORBELL)
	s_mov_b32 ttmp2, m0
	s_waitcnt lgkmcnt(0)
	s_and_b32 s0, s0, 0x3ff
	s_delay_alu instid0(SALU_CYCLE_1) | instskip(NEXT) | instid1(SALU_CYCLE_1)
	s_bitset1_b32 s0, 10
	s_mov_b32 m0, s0
	s_sendmsg sendmsg(MSG_INTERRUPT)
	s_mov_b32 m0, ttmp2
.LBB4_6088:                             ; =>This Inner Loop Header: Depth=1
	s_sethalt 5
	s_branch .LBB4_6088
.LBB4_6089:
	s_trap 2
	s_sendmsg_rtn_b32 s0, sendmsg(MSG_RTN_GET_DOORBELL)
	s_mov_b32 ttmp2, m0
	s_waitcnt lgkmcnt(0)
	s_and_b32 s0, s0, 0x3ff
	s_delay_alu instid0(SALU_CYCLE_1) | instskip(NEXT) | instid1(SALU_CYCLE_1)
	s_bitset1_b32 s0, 10
	s_mov_b32 m0, s0
	s_sendmsg sendmsg(MSG_INTERRUPT)
	s_mov_b32 m0, ttmp2
.LBB4_6090:                             ; =>This Inner Loop Header: Depth=1
	s_sethalt 5
	s_branch .LBB4_6090
.LBB4_6091:
	s_trap 2
	s_sendmsg_rtn_b32 s0, sendmsg(MSG_RTN_GET_DOORBELL)
	s_mov_b32 ttmp2, m0
	s_waitcnt lgkmcnt(0)
	s_and_b32 s0, s0, 0x3ff
	s_delay_alu instid0(SALU_CYCLE_1) | instskip(NEXT) | instid1(SALU_CYCLE_1)
	s_bitset1_b32 s0, 10
	s_mov_b32 m0, s0
	s_sendmsg sendmsg(MSG_INTERRUPT)
	s_mov_b32 m0, ttmp2
.LBB4_6092:                             ; =>This Inner Loop Header: Depth=1
	s_sethalt 5
	s_branch .LBB4_6092
.LBB4_6093:
	s_trap 2
	s_sendmsg_rtn_b32 s0, sendmsg(MSG_RTN_GET_DOORBELL)
	s_mov_b32 ttmp2, m0
	s_waitcnt lgkmcnt(0)
	s_and_b32 s0, s0, 0x3ff
	s_delay_alu instid0(SALU_CYCLE_1) | instskip(NEXT) | instid1(SALU_CYCLE_1)
	s_bitset1_b32 s0, 10
	s_mov_b32 m0, s0
	s_sendmsg sendmsg(MSG_INTERRUPT)
	s_mov_b32 m0, ttmp2
.LBB4_6094:                             ; =>This Inner Loop Header: Depth=1
	s_sethalt 5
	s_branch .LBB4_6094
.LBB4_6095:
	s_trap 2
	s_sendmsg_rtn_b32 s0, sendmsg(MSG_RTN_GET_DOORBELL)
	s_mov_b32 ttmp2, m0
	s_waitcnt lgkmcnt(0)
	s_and_b32 s0, s0, 0x3ff
	s_delay_alu instid0(SALU_CYCLE_1) | instskip(NEXT) | instid1(SALU_CYCLE_1)
	s_bitset1_b32 s0, 10
	s_mov_b32 m0, s0
	s_sendmsg sendmsg(MSG_INTERRUPT)
	s_mov_b32 m0, ttmp2
.LBB4_6096:                             ; =>This Inner Loop Header: Depth=1
	s_sethalt 5
	s_branch .LBB4_6096
.LBB4_6097:
	s_trap 2
	s_sendmsg_rtn_b32 s0, sendmsg(MSG_RTN_GET_DOORBELL)
	s_mov_b32 ttmp2, m0
	s_waitcnt lgkmcnt(0)
	s_and_b32 s0, s0, 0x3ff
	s_delay_alu instid0(SALU_CYCLE_1) | instskip(NEXT) | instid1(SALU_CYCLE_1)
	s_bitset1_b32 s0, 10
	s_mov_b32 m0, s0
	s_sendmsg sendmsg(MSG_INTERRUPT)
	s_mov_b32 m0, ttmp2
.LBB4_6098:                             ; =>This Inner Loop Header: Depth=1
	s_sethalt 5
	s_branch .LBB4_6098
.LBB4_6099:
	s_trap 2
	s_sendmsg_rtn_b32 s0, sendmsg(MSG_RTN_GET_DOORBELL)
	s_mov_b32 ttmp2, m0
	s_waitcnt lgkmcnt(0)
	s_and_b32 s0, s0, 0x3ff
	s_delay_alu instid0(SALU_CYCLE_1) | instskip(NEXT) | instid1(SALU_CYCLE_1)
	s_bitset1_b32 s0, 10
	s_mov_b32 m0, s0
	s_sendmsg sendmsg(MSG_INTERRUPT)
	s_mov_b32 m0, ttmp2
.LBB4_6100:                             ; =>This Inner Loop Header: Depth=1
	s_sethalt 5
	s_branch .LBB4_6100
.LBB4_6101:
	s_trap 2
	s_sendmsg_rtn_b32 s0, sendmsg(MSG_RTN_GET_DOORBELL)
	s_mov_b32 ttmp2, m0
	s_waitcnt lgkmcnt(0)
	s_and_b32 s0, s0, 0x3ff
	s_delay_alu instid0(SALU_CYCLE_1) | instskip(NEXT) | instid1(SALU_CYCLE_1)
	s_bitset1_b32 s0, 10
	s_mov_b32 m0, s0
	s_sendmsg sendmsg(MSG_INTERRUPT)
	s_mov_b32 m0, ttmp2
.LBB4_6102:                             ; =>This Inner Loop Header: Depth=1
	s_sethalt 5
	s_branch .LBB4_6102
.LBB4_6103:
	s_trap 2
	s_sendmsg_rtn_b32 s0, sendmsg(MSG_RTN_GET_DOORBELL)
	s_mov_b32 ttmp2, m0
	s_waitcnt lgkmcnt(0)
	s_and_b32 s0, s0, 0x3ff
	s_delay_alu instid0(SALU_CYCLE_1) | instskip(NEXT) | instid1(SALU_CYCLE_1)
	s_bitset1_b32 s0, 10
	s_mov_b32 m0, s0
	s_sendmsg sendmsg(MSG_INTERRUPT)
	s_mov_b32 m0, ttmp2
.LBB4_6104:                             ; =>This Inner Loop Header: Depth=1
	s_sethalt 5
	s_branch .LBB4_6104
.LBB4_6105:                             ;   in Loop: Header=BB4_6109 Depth=1
	s_or_b32 exec_lo, exec_lo, s10
	v_mov_b32_e32 v4, 0
	s_or_not1_b32 s7, s7, exec_lo
.LBB4_6106:                             ;   in Loop: Header=BB4_6109 Depth=1
	s_or_b32 exec_lo, exec_lo, s6
	s_delay_alu instid0(VALU_DEP_1)
	v_mov_b32_e32 v0, v4
	s_and_b32 s6, s7, exec_lo
.LBB4_6107:                             ;   in Loop: Header=BB4_6109 Depth=1
	s_or_b32 exec_lo, exec_lo, s5
	s_xor_b32 s5, s6, -1
	s_and_not1_b32 s3, s3, exec_lo
	s_and_b32 s5, s5, exec_lo
	s_delay_alu instid0(SALU_CYCLE_1)
	s_or_b32 s3, s3, s5
.LBB4_6108:                             ;   in Loop: Header=BB4_6109 Depth=1
	s_or_b32 exec_lo, exec_lo, s4
	s_delay_alu instid0(SALU_CYCLE_1) | instskip(NEXT) | instid1(SALU_CYCLE_1)
	s_and_b32 s4, exec_lo, s3
	s_or_b32 s2, s4, s2
	s_delay_alu instid0(SALU_CYCLE_1)
	s_and_not1_b32 exec_lo, exec_lo, s2
	s_cbranch_execz .LBB4_6122
.LBB4_6109:                             ; =>This Inner Loop Header: Depth=1
	flat_load_b64 v[4:5], v[2:3] glc dlc
	s_waitcnt vmcnt(0)
	s_or_b32 s3, s3, exec_lo
	s_mov_b32 s4, exec_lo
	s_waitcnt lgkmcnt(0)
	v_cmpx_ne_u64_e32 -1, v[4:5]
	s_cbranch_execz .LBB4_6108
; %bb.6110:                             ;   in Loop: Header=BB4_6109 Depth=1
	v_and_b32_e32 v4, 64, v30
	s_mov_b32 s6, 0
	s_mov_b32 s5, exec_lo
	s_delay_alu instid0(VALU_DEP_1)
	v_cmpx_eq_u32_e32 0, v4
	s_cbranch_execz .LBB4_6107
; %bb.6111:                             ;   in Loop: Header=BB4_6109 Depth=1
	v_add_nc_u32_e32 v4, 1, v0
	s_mov_b32 s7, -1
	s_mov_b32 s6, exec_lo
	v_cmpx_lt_i32_e32 0x270e, v0
	s_cbranch_execz .LBB4_6106
; %bb.6112:                             ;   in Loop: Header=BB4_6109 Depth=1
	s_cbranch_execnz .LBB4_6116
; %bb.6113:                             ;   in Loop: Header=BB4_6109 Depth=1
	ds_load_b64 v[4:5], v0
	s_mov_b32 s10, exec_lo
	s_waitcnt lgkmcnt(0)
	s_waitcnt_vscnt null, 0x0
	flat_load_b32 v0, v[4:5] glc
	s_waitcnt vmcnt(0) lgkmcnt(0)
	buffer_gl1_inv
	buffer_gl0_inv
	v_cmpx_ne_u32_e32 0, v0
	s_cbranch_execz .LBB4_6105
; %bb.6114:                             ;   in Loop: Header=BB4_6109 Depth=1
	ds_store_b32 v0, v0
	s_cbranch_execnz .LBB4_6140
; %bb.6115:                             ;   in Loop: Header=BB4_6109 Depth=1
	v_or_b32_e32 v30, 64, v30
	s_xor_b32 s7, exec_lo, -1
	s_branch .LBB4_6105
.LBB4_6116:
	s_trap 2
	s_sendmsg_rtn_b32 s0, sendmsg(MSG_RTN_GET_DOORBELL)
	s_mov_b32 ttmp2, m0
	s_waitcnt lgkmcnt(0)
	s_and_b32 s0, s0, 0x3ff
	s_delay_alu instid0(SALU_CYCLE_1) | instskip(NEXT) | instid1(SALU_CYCLE_1)
	s_bitset1_b32 s0, 10
	s_mov_b32 m0, s0
	s_sendmsg sendmsg(MSG_INTERRUPT)
	s_mov_b32 m0, ttmp2
.LBB4_6117:                             ; =>This Inner Loop Header: Depth=1
	s_sethalt 5
	s_branch .LBB4_6117
.LBB4_6118:
	s_trap 2
	s_sendmsg_rtn_b32 s0, sendmsg(MSG_RTN_GET_DOORBELL)
	s_mov_b32 ttmp2, m0
	s_waitcnt lgkmcnt(0)
	s_and_b32 s0, s0, 0x3ff
	s_delay_alu instid0(SALU_CYCLE_1) | instskip(NEXT) | instid1(SALU_CYCLE_1)
	s_bitset1_b32 s0, 10
	s_mov_b32 m0, s0
	s_sendmsg sendmsg(MSG_INTERRUPT)
	s_mov_b32 m0, ttmp2
.LBB4_6119:                             ; =>This Inner Loop Header: Depth=1
	s_sethalt 5
	s_branch .LBB4_6119
.LBB4_6120:
	s_trap 2
	s_sendmsg_rtn_b32 s0, sendmsg(MSG_RTN_GET_DOORBELL)
	s_mov_b32 ttmp2, m0
	s_waitcnt lgkmcnt(0)
	s_and_b32 s0, s0, 0x3ff
	s_delay_alu instid0(SALU_CYCLE_1) | instskip(NEXT) | instid1(SALU_CYCLE_1)
	s_bitset1_b32 s0, 10
	s_mov_b32 m0, s0
	s_sendmsg sendmsg(MSG_INTERRUPT)
	s_mov_b32 m0, ttmp2
.LBB4_6121:                             ; =>This Inner Loop Header: Depth=1
	s_sethalt 5
	s_branch .LBB4_6121
.LBB4_6122:
	s_or_b32 exec_lo, exec_lo, s2
.LBB4_6123:
	s_delay_alu instid0(SALU_CYCLE_1) | instskip(SKIP_2) | instid1(VALU_DEP_1)
	s_or_b32 exec_lo, exec_lo, s1
	v_and_b32_e32 v0, 0x2000, v30
	s_mov_b32 s1, exec_lo
	v_cmpx_ne_u32_e32 0, v0
	s_cbranch_execz .LBB4_6126
; %bb.6124:
	s_cbranch_execnz .LBB4_6134
; %bb.6125:
	ds_load_b64 v[2:3], v0
	s_waitcnt lgkmcnt(0)
	flat_store_b64 v[26:27], v[2:3] offset:16
.LBB4_6126:
	s_or_b32 exec_lo, exec_lo, s1
	v_cmp_ne_u32_e32 vcc_lo, 32, v1
	s_and_b32 exec_lo, exec_lo, vcc_lo
	s_cbranch_execz .LBB4_6325
; %bb.6127:
	s_mov_b32 s1, exec_lo
	v_cmpx_ne_u32_e64 v87, v1
	s_xor_b32 s1, exec_lo, s1
	s_cbranch_execz .LBB4_6323
; %bb.6128:
	v_and_b32_e32 v0, 31, v31
	s_mov_b32 s2, exec_lo
	s_delay_alu instid0(VALU_DEP_1)
	v_cmpx_eq_u32_e32 0, v0
	s_cbranch_execz .LBB4_6322
; %bb.6129:
	s_mov_b32 s4, exec_lo
	s_mov_b32 s3, exec_lo
	v_mbcnt_lo_u32_b32 v0, s4, 0
	s_waitcnt lgkmcnt(0)
	s_waitcnt_vscnt null, 0x0
	buffer_gl1_inv
	buffer_gl0_inv
	v_cmpx_eq_u32_e32 0, v0
	s_cbranch_execz .LBB4_6131
; %bb.6130:
	s_bcnt1_i32_b32 s4, s4
	s_delay_alu instid0(SALU_CYCLE_1)
	v_dual_mov_b32 v3, 0 :: v_dual_mov_b32 v2, s4
	ds_add_u64 v0, v[2:3]
	s_cbranch_execnz .LBB4_6169
.LBB4_6131:
	s_or_b32 exec_lo, exec_lo, s3
	s_cbranch_execnz .LBB4_6148
; %bb.6132:
	v_ashrrev_i32_e32 v0, 31, v1
	s_mov_b32 s3, exec_lo
	s_delay_alu instid0(VALU_DEP_1) | instskip(NEXT) | instid1(VALU_DEP_1)
	v_lshrrev_b32_e32 v0, 27, v0
	v_add_nc_u32_e32 v0, v1, v0
	ds_load_b64 v[2:3], v0
	v_ashrrev_i32_e32 v0, 5, v0
	s_delay_alu instid0(VALU_DEP_1) | instskip(SKIP_1) | instid1(VALU_DEP_2)
	v_ashrrev_i32_e32 v1, 31, v0
	v_add_co_u32 v0, vcc_lo, v48, v0
	v_add_co_ci_u32_e32 v1, vcc_lo, v49, v1, vcc_lo
	s_waitcnt lgkmcnt(0)
	s_delay_alu instid0(VALU_DEP_1)
	v_cmpx_lt_u64_e64 v[2:3], v[0:1]
	s_cbranch_execz .LBB4_6321
; %bb.6133:
	s_mov_b32 s4, 0
	s_mov_b32 s7, 0
                                        ; implicit-def: $sgpr5
                                        ; implicit-def: $sgpr6
	s_branch .LBB4_6155
.LBB4_6134:
	s_trap 2
	s_sendmsg_rtn_b32 s0, sendmsg(MSG_RTN_GET_DOORBELL)
	s_mov_b32 ttmp2, m0
	s_waitcnt lgkmcnt(0)
	s_and_b32 s0, s0, 0x3ff
	s_delay_alu instid0(SALU_CYCLE_1) | instskip(NEXT) | instid1(SALU_CYCLE_1)
	s_bitset1_b32 s0, 10
	s_mov_b32 m0, s0
	s_sendmsg sendmsg(MSG_INTERRUPT)
	s_mov_b32 m0, ttmp2
.LBB4_6135:                             ; =>This Inner Loop Header: Depth=1
	s_sethalt 5
	s_branch .LBB4_6135
.LBB4_6136:
	s_trap 2
	s_sendmsg_rtn_b32 s0, sendmsg(MSG_RTN_GET_DOORBELL)
	s_mov_b32 ttmp2, m0
	s_waitcnt lgkmcnt(0)
	s_and_b32 s0, s0, 0x3ff
	s_delay_alu instid0(SALU_CYCLE_1) | instskip(NEXT) | instid1(SALU_CYCLE_1)
	s_bitset1_b32 s0, 10
	s_mov_b32 m0, s0
	s_sendmsg sendmsg(MSG_INTERRUPT)
	s_mov_b32 m0, ttmp2
.LBB4_6137:                             ; =>This Inner Loop Header: Depth=1
	s_sethalt 5
	s_branch .LBB4_6137
.LBB4_6138:
	s_trap 2
	s_sendmsg_rtn_b32 s0, sendmsg(MSG_RTN_GET_DOORBELL)
	s_mov_b32 ttmp2, m0
	s_waitcnt lgkmcnt(0)
	s_and_b32 s0, s0, 0x3ff
	s_delay_alu instid0(SALU_CYCLE_1) | instskip(NEXT) | instid1(SALU_CYCLE_1)
	s_bitset1_b32 s0, 10
	s_mov_b32 m0, s0
	s_sendmsg sendmsg(MSG_INTERRUPT)
	s_mov_b32 m0, ttmp2
.LBB4_6139:                             ; =>This Inner Loop Header: Depth=1
	s_sethalt 5
	s_branch .LBB4_6139
.LBB4_6140:
	s_trap 2
	s_sendmsg_rtn_b32 s0, sendmsg(MSG_RTN_GET_DOORBELL)
	s_mov_b32 ttmp2, m0
	s_waitcnt lgkmcnt(0)
	s_and_b32 s0, s0, 0x3ff
	s_delay_alu instid0(SALU_CYCLE_1) | instskip(NEXT) | instid1(SALU_CYCLE_1)
	s_bitset1_b32 s0, 10
	s_mov_b32 m0, s0
	s_sendmsg sendmsg(MSG_INTERRUPT)
	s_mov_b32 m0, ttmp2
.LBB4_6141:                             ; =>This Inner Loop Header: Depth=1
	s_sethalt 5
	s_branch .LBB4_6141
.LBB4_6142:
	s_trap 2
	s_sendmsg_rtn_b32 s0, sendmsg(MSG_RTN_GET_DOORBELL)
	s_mov_b32 ttmp2, m0
	s_waitcnt lgkmcnt(0)
	s_and_b32 s0, s0, 0x3ff
	s_delay_alu instid0(SALU_CYCLE_1) | instskip(NEXT) | instid1(SALU_CYCLE_1)
	s_bitset1_b32 s0, 10
	s_mov_b32 m0, s0
	s_sendmsg sendmsg(MSG_INTERRUPT)
	s_mov_b32 m0, ttmp2
.LBB4_6143:                             ; =>This Inner Loop Header: Depth=1
	s_sethalt 5
	s_branch .LBB4_6143
.LBB4_6144:
	s_trap 2
	s_sendmsg_rtn_b32 s0, sendmsg(MSG_RTN_GET_DOORBELL)
	s_mov_b32 ttmp2, m0
	s_waitcnt lgkmcnt(0)
	s_and_b32 s0, s0, 0x3ff
	s_delay_alu instid0(SALU_CYCLE_1) | instskip(NEXT) | instid1(SALU_CYCLE_1)
	s_bitset1_b32 s0, 10
	s_mov_b32 m0, s0
	s_sendmsg sendmsg(MSG_INTERRUPT)
	s_mov_b32 m0, ttmp2
.LBB4_6145:                             ; =>This Inner Loop Header: Depth=1
	s_sethalt 5
	s_branch .LBB4_6145
.LBB4_6146:
	s_trap 2
	s_sendmsg_rtn_b32 s0, sendmsg(MSG_RTN_GET_DOORBELL)
	s_mov_b32 ttmp2, m0
	s_waitcnt lgkmcnt(0)
	s_and_b32 s0, s0, 0x3ff
	s_delay_alu instid0(SALU_CYCLE_1) | instskip(NEXT) | instid1(SALU_CYCLE_1)
	s_bitset1_b32 s0, 10
	s_mov_b32 m0, s0
	s_sendmsg sendmsg(MSG_INTERRUPT)
	s_mov_b32 m0, ttmp2
.LBB4_6147:                             ; =>This Inner Loop Header: Depth=1
	s_sethalt 5
	s_branch .LBB4_6147
.LBB4_6148:
	s_trap 2
	s_sendmsg_rtn_b32 s0, sendmsg(MSG_RTN_GET_DOORBELL)
	s_mov_b32 ttmp2, m0
	s_waitcnt lgkmcnt(0)
	s_and_b32 s0, s0, 0x3ff
	s_delay_alu instid0(SALU_CYCLE_1) | instskip(NEXT) | instid1(SALU_CYCLE_1)
	s_bitset1_b32 s0, 10
	s_mov_b32 m0, s0
	s_sendmsg sendmsg(MSG_INTERRUPT)
	s_mov_b32 m0, ttmp2
.LBB4_6149:                             ; =>This Inner Loop Header: Depth=1
	s_sethalt 5
	s_branch .LBB4_6149
.LBB4_6150:
	s_trap 2
	s_sendmsg_rtn_b32 s0, sendmsg(MSG_RTN_GET_DOORBELL)
	s_mov_b32 ttmp2, m0
	s_waitcnt lgkmcnt(0)
	s_and_b32 s0, s0, 0x3ff
	s_delay_alu instid0(SALU_CYCLE_1) | instskip(NEXT) | instid1(SALU_CYCLE_1)
	s_bitset1_b32 s0, 10
	s_mov_b32 m0, s0
	s_sendmsg sendmsg(MSG_INTERRUPT)
	s_mov_b32 m0, ttmp2
.LBB4_6151:                             ; =>This Inner Loop Header: Depth=1
	s_sethalt 5
	s_branch .LBB4_6151
.LBB4_6152:
	s_trap 2
	s_sendmsg_rtn_b32 s0, sendmsg(MSG_RTN_GET_DOORBELL)
	s_mov_b32 ttmp2, m0
	s_waitcnt lgkmcnt(0)
	s_and_b32 s0, s0, 0x3ff
	s_delay_alu instid0(SALU_CYCLE_1) | instskip(NEXT) | instid1(SALU_CYCLE_1)
	s_bitset1_b32 s0, 10
	s_mov_b32 m0, s0
	s_sendmsg sendmsg(MSG_INTERRUPT)
	s_mov_b32 m0, ttmp2
.LBB4_6153:                             ; =>This Inner Loop Header: Depth=1
	s_sethalt 5
	s_branch .LBB4_6153
.LBB4_6154:                             ;   in Loop: Header=BB4_6155 Depth=1
	s_or_b32 exec_lo, exec_lo, s12
	s_delay_alu instid0(SALU_CYCLE_1) | instskip(NEXT) | instid1(SALU_CYCLE_1)
	s_and_b32 s10, exec_lo, s11
	s_or_b32 s4, s10, s4
	s_and_not1_b32 s5, s5, exec_lo
	s_and_b32 s10, s6, exec_lo
	s_delay_alu instid0(SALU_CYCLE_1)
	s_or_b32 s5, s5, s10
	s_and_not1_b32 exec_lo, exec_lo, s4
	s_cbranch_execz .LBB4_6319
.LBB4_6155:                             ; =>This Inner Loop Header: Depth=1
	s_add_i32 s7, s7, 1
                                        ; implicit-def: $sgpr11
	s_delay_alu instid0(SALU_CYCLE_1) | instskip(SKIP_1) | instid1(SALU_CYCLE_1)
	s_cmpk_lg_i32 s7, 0x2710
	s_cselect_b32 s10, -1, 0
	s_and_b32 vcc_lo, exec_lo, s10
	s_cbranch_vccz .LBB4_6159
.LBB4_6156:                             ;   in Loop: Header=BB4_6155 Depth=1
	s_and_not1_b32 s6, s6, exec_lo
	s_and_b32 s12, s11, exec_lo
	s_mov_b32 s11, -1
	s_or_b32 s6, s6, s12
	s_and_saveexec_b32 s12, s10
	s_cbranch_execz .LBB4_6154
; %bb.6157:                             ;   in Loop: Header=BB4_6155 Depth=1
	s_sleep 1
	s_cbranch_execnz .LBB4_6207
; %bb.6158:                             ;   in Loop: Header=BB4_6155 Depth=1
	ds_load_b64 v[2:3], v0
	s_and_not1_b32 s6, s6, exec_lo
	s_waitcnt lgkmcnt(0)
	v_cmp_ge_u64_e32 vcc_lo, v[2:3], v[0:1]
	s_or_not1_b32 s11, vcc_lo, exec_lo
	s_branch .LBB4_6154
.LBB4_6159:                             ;   in Loop: Header=BB4_6155 Depth=1
	s_cbranch_execnz .LBB4_6209
; %bb.6160:                             ;   in Loop: Header=BB4_6155 Depth=1
	ds_load_b64 v[2:3], v0
	s_and_not1_b32 s10, s10, exec_lo
	s_mov_b32 s7, 0
	s_mov_b32 s11, -1
	s_waitcnt lgkmcnt(0)
	flat_load_b32 v2, v[2:3] glc
	s_waitcnt vmcnt(0) lgkmcnt(0)
	buffer_gl1_inv
	buffer_gl0_inv
	v_cmp_eq_u32_e32 vcc_lo, 0, v2
	s_and_b32 s12, vcc_lo, exec_lo
	s_delay_alu instid0(SALU_CYCLE_1)
	s_or_b32 s10, s10, s12
	s_branch .LBB4_6156
.LBB4_6161:
	s_trap 2
	s_sendmsg_rtn_b32 s0, sendmsg(MSG_RTN_GET_DOORBELL)
	s_mov_b32 ttmp2, m0
	s_waitcnt lgkmcnt(0)
	s_and_b32 s0, s0, 0x3ff
	s_delay_alu instid0(SALU_CYCLE_1) | instskip(NEXT) | instid1(SALU_CYCLE_1)
	s_bitset1_b32 s0, 10
	s_mov_b32 m0, s0
	s_sendmsg sendmsg(MSG_INTERRUPT)
	s_mov_b32 m0, ttmp2
.LBB4_6162:                             ; =>This Inner Loop Header: Depth=1
	s_sethalt 5
	s_branch .LBB4_6162
.LBB4_6163:
	s_trap 2
	s_sendmsg_rtn_b32 s0, sendmsg(MSG_RTN_GET_DOORBELL)
	s_mov_b32 ttmp2, m0
	s_waitcnt lgkmcnt(0)
	s_and_b32 s0, s0, 0x3ff
	s_delay_alu instid0(SALU_CYCLE_1) | instskip(NEXT) | instid1(SALU_CYCLE_1)
	s_bitset1_b32 s0, 10
	s_mov_b32 m0, s0
	s_sendmsg sendmsg(MSG_INTERRUPT)
	s_mov_b32 m0, ttmp2
.LBB4_6164:                             ; =>This Inner Loop Header: Depth=1
	s_sethalt 5
	s_branch .LBB4_6164
.LBB4_6165:
	s_trap 2
	s_sendmsg_rtn_b32 s0, sendmsg(MSG_RTN_GET_DOORBELL)
	s_mov_b32 ttmp2, m0
	s_waitcnt lgkmcnt(0)
	s_and_b32 s0, s0, 0x3ff
	s_delay_alu instid0(SALU_CYCLE_1) | instskip(NEXT) | instid1(SALU_CYCLE_1)
	s_bitset1_b32 s0, 10
	s_mov_b32 m0, s0
	s_sendmsg sendmsg(MSG_INTERRUPT)
	s_mov_b32 m0, ttmp2
.LBB4_6166:                             ; =>This Inner Loop Header: Depth=1
	s_sethalt 5
	s_branch .LBB4_6166
.LBB4_6167:
	s_trap 2
	s_sendmsg_rtn_b32 s0, sendmsg(MSG_RTN_GET_DOORBELL)
	s_mov_b32 ttmp2, m0
	s_waitcnt lgkmcnt(0)
	s_and_b32 s0, s0, 0x3ff
	s_delay_alu instid0(SALU_CYCLE_1) | instskip(NEXT) | instid1(SALU_CYCLE_1)
	s_bitset1_b32 s0, 10
	s_mov_b32 m0, s0
	s_sendmsg sendmsg(MSG_INTERRUPT)
	s_mov_b32 m0, ttmp2
.LBB4_6168:                             ; =>This Inner Loop Header: Depth=1
	s_sethalt 5
	s_branch .LBB4_6168
.LBB4_6169:
	s_trap 2
	s_sendmsg_rtn_b32 s0, sendmsg(MSG_RTN_GET_DOORBELL)
	s_mov_b32 ttmp2, m0
	s_waitcnt lgkmcnt(0)
	s_and_b32 s0, s0, 0x3ff
	s_delay_alu instid0(SALU_CYCLE_1) | instskip(NEXT) | instid1(SALU_CYCLE_1)
	s_bitset1_b32 s0, 10
	s_mov_b32 m0, s0
	s_sendmsg sendmsg(MSG_INTERRUPT)
	s_mov_b32 m0, ttmp2
.LBB4_6170:                             ; =>This Inner Loop Header: Depth=1
	s_sethalt 5
	s_branch .LBB4_6170
.LBB4_6171:
	s_trap 2
	s_sendmsg_rtn_b32 s0, sendmsg(MSG_RTN_GET_DOORBELL)
	s_mov_b32 ttmp2, m0
	s_waitcnt lgkmcnt(0)
	s_and_b32 s0, s0, 0x3ff
	s_delay_alu instid0(SALU_CYCLE_1) | instskip(NEXT) | instid1(SALU_CYCLE_1)
	s_bitset1_b32 s0, 10
	s_mov_b32 m0, s0
	s_sendmsg sendmsg(MSG_INTERRUPT)
	s_mov_b32 m0, ttmp2
.LBB4_6172:                             ; =>This Inner Loop Header: Depth=1
	s_sethalt 5
	s_branch .LBB4_6172
.LBB4_6173:
	s_trap 2
	s_sendmsg_rtn_b32 s0, sendmsg(MSG_RTN_GET_DOORBELL)
	s_mov_b32 ttmp2, m0
	s_waitcnt lgkmcnt(0)
	s_and_b32 s0, s0, 0x3ff
	s_delay_alu instid0(SALU_CYCLE_1) | instskip(NEXT) | instid1(SALU_CYCLE_1)
	s_bitset1_b32 s0, 10
	s_mov_b32 m0, s0
	s_sendmsg sendmsg(MSG_INTERRUPT)
	s_mov_b32 m0, ttmp2
.LBB4_6174:                             ; =>This Inner Loop Header: Depth=1
	s_sethalt 5
	s_branch .LBB4_6174
.LBB4_6175:
	s_trap 2
	s_sendmsg_rtn_b32 s0, sendmsg(MSG_RTN_GET_DOORBELL)
	s_mov_b32 ttmp2, m0
	s_waitcnt lgkmcnt(0)
	s_and_b32 s0, s0, 0x3ff
	s_delay_alu instid0(SALU_CYCLE_1) | instskip(NEXT) | instid1(SALU_CYCLE_1)
	s_bitset1_b32 s0, 10
	s_mov_b32 m0, s0
	s_sendmsg sendmsg(MSG_INTERRUPT)
	s_mov_b32 m0, ttmp2
.LBB4_6176:                             ; =>This Inner Loop Header: Depth=1
	s_sethalt 5
	s_branch .LBB4_6176
.LBB4_6177:
	s_trap 2
	s_sendmsg_rtn_b32 s0, sendmsg(MSG_RTN_GET_DOORBELL)
	s_mov_b32 ttmp2, m0
	s_waitcnt lgkmcnt(0)
	s_and_b32 s0, s0, 0x3ff
	s_delay_alu instid0(SALU_CYCLE_1) | instskip(NEXT) | instid1(SALU_CYCLE_1)
	s_bitset1_b32 s0, 10
	s_mov_b32 m0, s0
	s_sendmsg sendmsg(MSG_INTERRUPT)
	s_mov_b32 m0, ttmp2
.LBB4_6178:                             ; =>This Inner Loop Header: Depth=1
	s_sethalt 5
	s_branch .LBB4_6178
.LBB4_6179:
	s_trap 2
	s_sendmsg_rtn_b32 s0, sendmsg(MSG_RTN_GET_DOORBELL)
	s_mov_b32 ttmp2, m0
	s_waitcnt lgkmcnt(0)
	s_and_b32 s0, s0, 0x3ff
	s_delay_alu instid0(SALU_CYCLE_1) | instskip(NEXT) | instid1(SALU_CYCLE_1)
	s_bitset1_b32 s0, 10
	s_mov_b32 m0, s0
	s_sendmsg sendmsg(MSG_INTERRUPT)
	s_mov_b32 m0, ttmp2
.LBB4_6180:                             ; =>This Inner Loop Header: Depth=1
	s_sethalt 5
	s_branch .LBB4_6180
.LBB4_6181:
	s_trap 2
	s_sendmsg_rtn_b32 s0, sendmsg(MSG_RTN_GET_DOORBELL)
	s_mov_b32 ttmp2, m0
	s_waitcnt lgkmcnt(0)
	s_and_b32 s0, s0, 0x3ff
	s_delay_alu instid0(SALU_CYCLE_1) | instskip(NEXT) | instid1(SALU_CYCLE_1)
	s_bitset1_b32 s0, 10
	s_mov_b32 m0, s0
	s_sendmsg sendmsg(MSG_INTERRUPT)
	s_mov_b32 m0, ttmp2
.LBB4_6182:                             ; =>This Inner Loop Header: Depth=1
	s_sethalt 5
	s_branch .LBB4_6182
.LBB4_6183:
	s_trap 2
	s_sendmsg_rtn_b32 s0, sendmsg(MSG_RTN_GET_DOORBELL)
	s_mov_b32 ttmp2, m0
	s_waitcnt lgkmcnt(0)
	s_and_b32 s0, s0, 0x3ff
	s_delay_alu instid0(SALU_CYCLE_1) | instskip(NEXT) | instid1(SALU_CYCLE_1)
	s_bitset1_b32 s0, 10
	s_mov_b32 m0, s0
	s_sendmsg sendmsg(MSG_INTERRUPT)
	s_mov_b32 m0, ttmp2
.LBB4_6184:                             ; =>This Inner Loop Header: Depth=1
	s_sethalt 5
	s_branch .LBB4_6184
.LBB4_6185:
	s_trap 2
	s_sendmsg_rtn_b32 s0, sendmsg(MSG_RTN_GET_DOORBELL)
	s_mov_b32 ttmp2, m0
	s_waitcnt lgkmcnt(0)
	s_and_b32 s0, s0, 0x3ff
	s_delay_alu instid0(SALU_CYCLE_1) | instskip(NEXT) | instid1(SALU_CYCLE_1)
	s_bitset1_b32 s0, 10
	s_mov_b32 m0, s0
	s_sendmsg sendmsg(MSG_INTERRUPT)
	s_mov_b32 m0, ttmp2
.LBB4_6186:                             ; =>This Inner Loop Header: Depth=1
	s_sethalt 5
	s_branch .LBB4_6186
.LBB4_6187:
	s_trap 2
	s_sendmsg_rtn_b32 s0, sendmsg(MSG_RTN_GET_DOORBELL)
	s_mov_b32 ttmp2, m0
	s_waitcnt lgkmcnt(0)
	s_and_b32 s0, s0, 0x3ff
	s_delay_alu instid0(SALU_CYCLE_1) | instskip(NEXT) | instid1(SALU_CYCLE_1)
	s_bitset1_b32 s0, 10
	s_mov_b32 m0, s0
	s_sendmsg sendmsg(MSG_INTERRUPT)
	s_mov_b32 m0, ttmp2
.LBB4_6188:                             ; =>This Inner Loop Header: Depth=1
	s_sethalt 5
	s_branch .LBB4_6188
.LBB4_6189:
	s_trap 2
	s_sendmsg_rtn_b32 s0, sendmsg(MSG_RTN_GET_DOORBELL)
	s_mov_b32 ttmp2, m0
	s_waitcnt lgkmcnt(0)
	s_and_b32 s0, s0, 0x3ff
	s_delay_alu instid0(SALU_CYCLE_1) | instskip(NEXT) | instid1(SALU_CYCLE_1)
	s_bitset1_b32 s0, 10
	s_mov_b32 m0, s0
	s_sendmsg sendmsg(MSG_INTERRUPT)
	s_mov_b32 m0, ttmp2
.LBB4_6190:                             ; =>This Inner Loop Header: Depth=1
	s_sethalt 5
	s_branch .LBB4_6190
.LBB4_6191:
	s_trap 2
	s_sendmsg_rtn_b32 s0, sendmsg(MSG_RTN_GET_DOORBELL)
	s_mov_b32 ttmp2, m0
	s_waitcnt lgkmcnt(0)
	s_and_b32 s0, s0, 0x3ff
	s_delay_alu instid0(SALU_CYCLE_1) | instskip(NEXT) | instid1(SALU_CYCLE_1)
	s_bitset1_b32 s0, 10
	s_mov_b32 m0, s0
	s_sendmsg sendmsg(MSG_INTERRUPT)
	s_mov_b32 m0, ttmp2
.LBB4_6192:                             ; =>This Inner Loop Header: Depth=1
	s_sethalt 5
	s_branch .LBB4_6192
.LBB4_6193:
	s_trap 2
	s_sendmsg_rtn_b32 s0, sendmsg(MSG_RTN_GET_DOORBELL)
	s_mov_b32 ttmp2, m0
	s_waitcnt lgkmcnt(0)
	s_and_b32 s0, s0, 0x3ff
	s_delay_alu instid0(SALU_CYCLE_1) | instskip(NEXT) | instid1(SALU_CYCLE_1)
	s_bitset1_b32 s0, 10
	s_mov_b32 m0, s0
	s_sendmsg sendmsg(MSG_INTERRUPT)
	s_mov_b32 m0, ttmp2
.LBB4_6194:                             ; =>This Inner Loop Header: Depth=1
	s_sethalt 5
	s_branch .LBB4_6194
.LBB4_6195:
	s_trap 2
	s_sendmsg_rtn_b32 s0, sendmsg(MSG_RTN_GET_DOORBELL)
	s_mov_b32 ttmp2, m0
	s_waitcnt lgkmcnt(0)
	s_and_b32 s0, s0, 0x3ff
	s_delay_alu instid0(SALU_CYCLE_1) | instskip(NEXT) | instid1(SALU_CYCLE_1)
	s_bitset1_b32 s0, 10
	s_mov_b32 m0, s0
	s_sendmsg sendmsg(MSG_INTERRUPT)
	s_mov_b32 m0, ttmp2
.LBB4_6196:                             ; =>This Inner Loop Header: Depth=1
	s_sethalt 5
	s_branch .LBB4_6196
.LBB4_6197:
	s_trap 2
	s_sendmsg_rtn_b32 s0, sendmsg(MSG_RTN_GET_DOORBELL)
	s_mov_b32 ttmp2, m0
	s_waitcnt lgkmcnt(0)
	s_and_b32 s0, s0, 0x3ff
	s_delay_alu instid0(SALU_CYCLE_1) | instskip(NEXT) | instid1(SALU_CYCLE_1)
	s_bitset1_b32 s0, 10
	s_mov_b32 m0, s0
	s_sendmsg sendmsg(MSG_INTERRUPT)
	s_mov_b32 m0, ttmp2
.LBB4_6198:                             ; =>This Inner Loop Header: Depth=1
	s_sethalt 5
	s_branch .LBB4_6198
.LBB4_6199:
	s_trap 2
	s_sendmsg_rtn_b32 s0, sendmsg(MSG_RTN_GET_DOORBELL)
	s_mov_b32 ttmp2, m0
	s_waitcnt lgkmcnt(0)
	s_and_b32 s0, s0, 0x3ff
	s_delay_alu instid0(SALU_CYCLE_1) | instskip(NEXT) | instid1(SALU_CYCLE_1)
	s_bitset1_b32 s0, 10
	s_mov_b32 m0, s0
	s_sendmsg sendmsg(MSG_INTERRUPT)
	s_mov_b32 m0, ttmp2
.LBB4_6200:                             ; =>This Inner Loop Header: Depth=1
	s_sethalt 5
	s_branch .LBB4_6200
.LBB4_6201:
	s_trap 2
	s_sendmsg_rtn_b32 s0, sendmsg(MSG_RTN_GET_DOORBELL)
	s_mov_b32 ttmp2, m0
	s_waitcnt lgkmcnt(0)
	s_and_b32 s0, s0, 0x3ff
	s_delay_alu instid0(SALU_CYCLE_1) | instskip(NEXT) | instid1(SALU_CYCLE_1)
	s_bitset1_b32 s0, 10
	s_mov_b32 m0, s0
	s_sendmsg sendmsg(MSG_INTERRUPT)
	s_mov_b32 m0, ttmp2
.LBB4_6202:                             ; =>This Inner Loop Header: Depth=1
	s_sethalt 5
	s_branch .LBB4_6202
.LBB4_6203:
	s_trap 2
	s_sendmsg_rtn_b32 s0, sendmsg(MSG_RTN_GET_DOORBELL)
	s_mov_b32 ttmp2, m0
	s_waitcnt lgkmcnt(0)
	s_and_b32 s0, s0, 0x3ff
	s_delay_alu instid0(SALU_CYCLE_1) | instskip(NEXT) | instid1(SALU_CYCLE_1)
	s_bitset1_b32 s0, 10
	s_mov_b32 m0, s0
	s_sendmsg sendmsg(MSG_INTERRUPT)
	s_mov_b32 m0, ttmp2
.LBB4_6204:                             ; =>This Inner Loop Header: Depth=1
	s_sethalt 5
	s_branch .LBB4_6204
.LBB4_6205:
	s_trap 2
	s_sendmsg_rtn_b32 s0, sendmsg(MSG_RTN_GET_DOORBELL)
	s_mov_b32 ttmp2, m0
	s_waitcnt lgkmcnt(0)
	s_and_b32 s0, s0, 0x3ff
	s_delay_alu instid0(SALU_CYCLE_1) | instskip(NEXT) | instid1(SALU_CYCLE_1)
	s_bitset1_b32 s0, 10
	s_mov_b32 m0, s0
	s_sendmsg sendmsg(MSG_INTERRUPT)
	s_mov_b32 m0, ttmp2
.LBB4_6206:                             ; =>This Inner Loop Header: Depth=1
	s_sethalt 5
	s_branch .LBB4_6206
.LBB4_6207:
	s_trap 2
	s_sendmsg_rtn_b32 s0, sendmsg(MSG_RTN_GET_DOORBELL)
	s_mov_b32 ttmp2, m0
	s_waitcnt lgkmcnt(0)
	s_and_b32 s0, s0, 0x3ff
	s_delay_alu instid0(SALU_CYCLE_1) | instskip(NEXT) | instid1(SALU_CYCLE_1)
	s_bitset1_b32 s0, 10
	s_mov_b32 m0, s0
	s_sendmsg sendmsg(MSG_INTERRUPT)
	s_mov_b32 m0, ttmp2
.LBB4_6208:                             ; =>This Inner Loop Header: Depth=1
	s_sethalt 5
	s_branch .LBB4_6208
.LBB4_6209:
	s_trap 2
	s_sendmsg_rtn_b32 s0, sendmsg(MSG_RTN_GET_DOORBELL)
	s_mov_b32 ttmp2, m0
	s_waitcnt lgkmcnt(0)
	s_and_b32 s0, s0, 0x3ff
	s_delay_alu instid0(SALU_CYCLE_1) | instskip(NEXT) | instid1(SALU_CYCLE_1)
	s_bitset1_b32 s0, 10
	s_mov_b32 m0, s0
	s_sendmsg sendmsg(MSG_INTERRUPT)
	s_mov_b32 m0, ttmp2
.LBB4_6210:                             ; =>This Inner Loop Header: Depth=1
	s_sethalt 5
	s_branch .LBB4_6210
.LBB4_6211:
	s_trap 2
	s_sendmsg_rtn_b32 s0, sendmsg(MSG_RTN_GET_DOORBELL)
	s_mov_b32 ttmp2, m0
	s_waitcnt lgkmcnt(0)
	s_and_b32 s0, s0, 0x3ff
	s_delay_alu instid0(SALU_CYCLE_1) | instskip(NEXT) | instid1(SALU_CYCLE_1)
	s_bitset1_b32 s0, 10
	s_mov_b32 m0, s0
	s_sendmsg sendmsg(MSG_INTERRUPT)
	s_mov_b32 m0, ttmp2
.LBB4_6212:                             ; =>This Inner Loop Header: Depth=1
	s_sethalt 5
	s_branch .LBB4_6212
.LBB4_6213:
	s_trap 2
	s_sendmsg_rtn_b32 s0, sendmsg(MSG_RTN_GET_DOORBELL)
	s_mov_b32 ttmp2, m0
	s_waitcnt lgkmcnt(0)
	s_and_b32 s0, s0, 0x3ff
	s_delay_alu instid0(SALU_CYCLE_1) | instskip(NEXT) | instid1(SALU_CYCLE_1)
	s_bitset1_b32 s0, 10
	s_mov_b32 m0, s0
	s_sendmsg sendmsg(MSG_INTERRUPT)
	s_mov_b32 m0, ttmp2
.LBB4_6214:                             ; =>This Inner Loop Header: Depth=1
	s_sethalt 5
	s_branch .LBB4_6214
.LBB4_6215:
	s_trap 2
	s_sendmsg_rtn_b32 s0, sendmsg(MSG_RTN_GET_DOORBELL)
	s_mov_b32 ttmp2, m0
	s_waitcnt lgkmcnt(0)
	s_and_b32 s0, s0, 0x3ff
	s_delay_alu instid0(SALU_CYCLE_1) | instskip(NEXT) | instid1(SALU_CYCLE_1)
	s_bitset1_b32 s0, 10
	s_mov_b32 m0, s0
	s_sendmsg sendmsg(MSG_INTERRUPT)
	s_mov_b32 m0, ttmp2
.LBB4_6216:                             ; =>This Inner Loop Header: Depth=1
	s_sethalt 5
	s_branch .LBB4_6216
.LBB4_6217:
	s_trap 2
	s_sendmsg_rtn_b32 s0, sendmsg(MSG_RTN_GET_DOORBELL)
	s_mov_b32 ttmp2, m0
	s_waitcnt lgkmcnt(0)
	s_and_b32 s0, s0, 0x3ff
	s_delay_alu instid0(SALU_CYCLE_1) | instskip(NEXT) | instid1(SALU_CYCLE_1)
	s_bitset1_b32 s0, 10
	s_mov_b32 m0, s0
	s_sendmsg sendmsg(MSG_INTERRUPT)
	s_mov_b32 m0, ttmp2
.LBB4_6218:                             ; =>This Inner Loop Header: Depth=1
	s_sethalt 5
	s_branch .LBB4_6218
.LBB4_6219:
	s_trap 2
	s_sendmsg_rtn_b32 s0, sendmsg(MSG_RTN_GET_DOORBELL)
	s_mov_b32 ttmp2, m0
	s_waitcnt lgkmcnt(0)
	s_and_b32 s0, s0, 0x3ff
	s_delay_alu instid0(SALU_CYCLE_1) | instskip(NEXT) | instid1(SALU_CYCLE_1)
	s_bitset1_b32 s0, 10
	s_mov_b32 m0, s0
	s_sendmsg sendmsg(MSG_INTERRUPT)
	s_mov_b32 m0, ttmp2
.LBB4_6220:                             ; =>This Inner Loop Header: Depth=1
	s_sethalt 5
	s_branch .LBB4_6220
.LBB4_6221:
	s_trap 2
	s_sendmsg_rtn_b32 s0, sendmsg(MSG_RTN_GET_DOORBELL)
	s_mov_b32 ttmp2, m0
	s_waitcnt lgkmcnt(0)
	s_and_b32 s0, s0, 0x3ff
	s_delay_alu instid0(SALU_CYCLE_1) | instskip(NEXT) | instid1(SALU_CYCLE_1)
	s_bitset1_b32 s0, 10
	s_mov_b32 m0, s0
	s_sendmsg sendmsg(MSG_INTERRUPT)
	s_mov_b32 m0, ttmp2
.LBB4_6222:                             ; =>This Inner Loop Header: Depth=1
	s_sethalt 5
	s_branch .LBB4_6222
.LBB4_6223:
	s_trap 2
	s_sendmsg_rtn_b32 s0, sendmsg(MSG_RTN_GET_DOORBELL)
	s_mov_b32 ttmp2, m0
	s_waitcnt lgkmcnt(0)
	s_and_b32 s0, s0, 0x3ff
	s_delay_alu instid0(SALU_CYCLE_1) | instskip(NEXT) | instid1(SALU_CYCLE_1)
	s_bitset1_b32 s0, 10
	s_mov_b32 m0, s0
	s_sendmsg sendmsg(MSG_INTERRUPT)
	s_mov_b32 m0, ttmp2
.LBB4_6224:                             ; =>This Inner Loop Header: Depth=1
	s_sethalt 5
	s_branch .LBB4_6224
.LBB4_6225:
	s_trap 2
	s_sendmsg_rtn_b32 s0, sendmsg(MSG_RTN_GET_DOORBELL)
	s_mov_b32 ttmp2, m0
	s_waitcnt lgkmcnt(0)
	s_and_b32 s0, s0, 0x3ff
	s_delay_alu instid0(SALU_CYCLE_1) | instskip(NEXT) | instid1(SALU_CYCLE_1)
	s_bitset1_b32 s0, 10
	s_mov_b32 m0, s0
	s_sendmsg sendmsg(MSG_INTERRUPT)
	s_mov_b32 m0, ttmp2
.LBB4_6226:                             ; =>This Inner Loop Header: Depth=1
	s_sethalt 5
	s_branch .LBB4_6226
.LBB4_6227:
	s_trap 2
	s_sendmsg_rtn_b32 s0, sendmsg(MSG_RTN_GET_DOORBELL)
	s_mov_b32 ttmp2, m0
	s_waitcnt lgkmcnt(0)
	s_and_b32 s0, s0, 0x3ff
	s_delay_alu instid0(SALU_CYCLE_1) | instskip(NEXT) | instid1(SALU_CYCLE_1)
	s_bitset1_b32 s0, 10
	s_mov_b32 m0, s0
	s_sendmsg sendmsg(MSG_INTERRUPT)
	s_mov_b32 m0, ttmp2
.LBB4_6228:                             ; =>This Inner Loop Header: Depth=1
	s_sethalt 5
	s_branch .LBB4_6228
.LBB4_6229:
	s_trap 2
	s_sendmsg_rtn_b32 s0, sendmsg(MSG_RTN_GET_DOORBELL)
	s_mov_b32 ttmp2, m0
	s_waitcnt lgkmcnt(0)
	s_and_b32 s0, s0, 0x3ff
	s_delay_alu instid0(SALU_CYCLE_1) | instskip(NEXT) | instid1(SALU_CYCLE_1)
	s_bitset1_b32 s0, 10
	s_mov_b32 m0, s0
	s_sendmsg sendmsg(MSG_INTERRUPT)
	s_mov_b32 m0, ttmp2
.LBB4_6230:                             ; =>This Inner Loop Header: Depth=1
	s_sethalt 5
	s_branch .LBB4_6230
.LBB4_6231:
	s_trap 2
	s_sendmsg_rtn_b32 s0, sendmsg(MSG_RTN_GET_DOORBELL)
	s_mov_b32 ttmp2, m0
	s_waitcnt lgkmcnt(0)
	s_and_b32 s0, s0, 0x3ff
	s_delay_alu instid0(SALU_CYCLE_1) | instskip(NEXT) | instid1(SALU_CYCLE_1)
	s_bitset1_b32 s0, 10
	s_mov_b32 m0, s0
	s_sendmsg sendmsg(MSG_INTERRUPT)
	s_mov_b32 m0, ttmp2
.LBB4_6232:                             ; =>This Inner Loop Header: Depth=1
	s_sethalt 5
	s_branch .LBB4_6232
.LBB4_6233:
	s_trap 2
	s_sendmsg_rtn_b32 s0, sendmsg(MSG_RTN_GET_DOORBELL)
	s_mov_b32 ttmp2, m0
	s_waitcnt lgkmcnt(0)
	s_and_b32 s0, s0, 0x3ff
	s_delay_alu instid0(SALU_CYCLE_1) | instskip(NEXT) | instid1(SALU_CYCLE_1)
	s_bitset1_b32 s0, 10
	s_mov_b32 m0, s0
	s_sendmsg sendmsg(MSG_INTERRUPT)
	s_mov_b32 m0, ttmp2
.LBB4_6234:                             ; =>This Inner Loop Header: Depth=1
	s_sethalt 5
	s_branch .LBB4_6234
.LBB4_6235:
	s_trap 2
	s_sendmsg_rtn_b32 s0, sendmsg(MSG_RTN_GET_DOORBELL)
	s_mov_b32 ttmp2, m0
	s_waitcnt lgkmcnt(0)
	s_and_b32 s0, s0, 0x3ff
	s_delay_alu instid0(SALU_CYCLE_1) | instskip(NEXT) | instid1(SALU_CYCLE_1)
	s_bitset1_b32 s0, 10
	s_mov_b32 m0, s0
	s_sendmsg sendmsg(MSG_INTERRUPT)
	s_mov_b32 m0, ttmp2
.LBB4_6236:                             ; =>This Inner Loop Header: Depth=1
	s_sethalt 5
	s_branch .LBB4_6236
.LBB4_6237:
	s_trap 2
	s_sendmsg_rtn_b32 s0, sendmsg(MSG_RTN_GET_DOORBELL)
	s_mov_b32 ttmp2, m0
	s_waitcnt lgkmcnt(0)
	s_and_b32 s0, s0, 0x3ff
	s_delay_alu instid0(SALU_CYCLE_1) | instskip(NEXT) | instid1(SALU_CYCLE_1)
	s_bitset1_b32 s0, 10
	s_mov_b32 m0, s0
	s_sendmsg sendmsg(MSG_INTERRUPT)
	s_mov_b32 m0, ttmp2
.LBB4_6238:                             ; =>This Inner Loop Header: Depth=1
	s_sethalt 5
	s_branch .LBB4_6238
.LBB4_6239:
	s_trap 2
	s_sendmsg_rtn_b32 s0, sendmsg(MSG_RTN_GET_DOORBELL)
	s_mov_b32 ttmp2, m0
	s_waitcnt lgkmcnt(0)
	s_and_b32 s0, s0, 0x3ff
	s_delay_alu instid0(SALU_CYCLE_1) | instskip(NEXT) | instid1(SALU_CYCLE_1)
	s_bitset1_b32 s0, 10
	s_mov_b32 m0, s0
	s_sendmsg sendmsg(MSG_INTERRUPT)
	s_mov_b32 m0, ttmp2
.LBB4_6240:                             ; =>This Inner Loop Header: Depth=1
	s_sethalt 5
	s_branch .LBB4_6240
.LBB4_6241:
	s_trap 2
	s_sendmsg_rtn_b32 s0, sendmsg(MSG_RTN_GET_DOORBELL)
	s_mov_b32 ttmp2, m0
	s_waitcnt lgkmcnt(0)
	s_and_b32 s0, s0, 0x3ff
	s_delay_alu instid0(SALU_CYCLE_1) | instskip(NEXT) | instid1(SALU_CYCLE_1)
	s_bitset1_b32 s0, 10
	s_mov_b32 m0, s0
	s_sendmsg sendmsg(MSG_INTERRUPT)
	s_mov_b32 m0, ttmp2
.LBB4_6242:                             ; =>This Inner Loop Header: Depth=1
	s_sethalt 5
	s_branch .LBB4_6242
.LBB4_6243:
	s_trap 2
	s_sendmsg_rtn_b32 s0, sendmsg(MSG_RTN_GET_DOORBELL)
	s_mov_b32 ttmp2, m0
	s_waitcnt lgkmcnt(0)
	s_and_b32 s0, s0, 0x3ff
	s_delay_alu instid0(SALU_CYCLE_1) | instskip(NEXT) | instid1(SALU_CYCLE_1)
	s_bitset1_b32 s0, 10
	s_mov_b32 m0, s0
	s_sendmsg sendmsg(MSG_INTERRUPT)
	s_mov_b32 m0, ttmp2
.LBB4_6244:                             ; =>This Inner Loop Header: Depth=1
	s_sethalt 5
	s_branch .LBB4_6244
.LBB4_6245:
	s_trap 2
	s_sendmsg_rtn_b32 s0, sendmsg(MSG_RTN_GET_DOORBELL)
	s_mov_b32 ttmp2, m0
	s_waitcnt lgkmcnt(0)
	s_and_b32 s0, s0, 0x3ff
	s_delay_alu instid0(SALU_CYCLE_1) | instskip(NEXT) | instid1(SALU_CYCLE_1)
	s_bitset1_b32 s0, 10
	s_mov_b32 m0, s0
	s_sendmsg sendmsg(MSG_INTERRUPT)
	s_mov_b32 m0, ttmp2
.LBB4_6246:                             ; =>This Inner Loop Header: Depth=1
	s_sethalt 5
	s_branch .LBB4_6246
.LBB4_6247:
	s_trap 2
	s_sendmsg_rtn_b32 s0, sendmsg(MSG_RTN_GET_DOORBELL)
	s_mov_b32 ttmp2, m0
	s_waitcnt lgkmcnt(0)
	s_and_b32 s0, s0, 0x3ff
	s_delay_alu instid0(SALU_CYCLE_1) | instskip(NEXT) | instid1(SALU_CYCLE_1)
	s_bitset1_b32 s0, 10
	s_mov_b32 m0, s0
	s_sendmsg sendmsg(MSG_INTERRUPT)
	s_mov_b32 m0, ttmp2
.LBB4_6248:                             ; =>This Inner Loop Header: Depth=1
	s_sethalt 5
	s_branch .LBB4_6248
.LBB4_6249:
	s_trap 2
	s_sendmsg_rtn_b32 s0, sendmsg(MSG_RTN_GET_DOORBELL)
	s_mov_b32 ttmp2, m0
	s_waitcnt lgkmcnt(0)
	s_and_b32 s0, s0, 0x3ff
	s_delay_alu instid0(SALU_CYCLE_1) | instskip(NEXT) | instid1(SALU_CYCLE_1)
	s_bitset1_b32 s0, 10
	s_mov_b32 m0, s0
	s_sendmsg sendmsg(MSG_INTERRUPT)
	s_mov_b32 m0, ttmp2
.LBB4_6250:                             ; =>This Inner Loop Header: Depth=1
	s_sethalt 5
	s_branch .LBB4_6250
.LBB4_6251:
	s_trap 2
	s_sendmsg_rtn_b32 s0, sendmsg(MSG_RTN_GET_DOORBELL)
	s_mov_b32 ttmp2, m0
	s_waitcnt lgkmcnt(0)
	s_and_b32 s0, s0, 0x3ff
	s_delay_alu instid0(SALU_CYCLE_1) | instskip(NEXT) | instid1(SALU_CYCLE_1)
	s_bitset1_b32 s0, 10
	s_mov_b32 m0, s0
	s_sendmsg sendmsg(MSG_INTERRUPT)
	s_mov_b32 m0, ttmp2
.LBB4_6252:                             ; =>This Inner Loop Header: Depth=1
	s_sethalt 5
	s_branch .LBB4_6252
.LBB4_6253:
	s_trap 2
	s_sendmsg_rtn_b32 s0, sendmsg(MSG_RTN_GET_DOORBELL)
	s_mov_b32 ttmp2, m0
	s_waitcnt lgkmcnt(0)
	s_and_b32 s0, s0, 0x3ff
	s_delay_alu instid0(SALU_CYCLE_1) | instskip(NEXT) | instid1(SALU_CYCLE_1)
	s_bitset1_b32 s0, 10
	s_mov_b32 m0, s0
	s_sendmsg sendmsg(MSG_INTERRUPT)
	s_mov_b32 m0, ttmp2
.LBB4_6254:                             ; =>This Inner Loop Header: Depth=1
	s_sethalt 5
	s_branch .LBB4_6254
.LBB4_6255:
	s_trap 2
	s_sendmsg_rtn_b32 s0, sendmsg(MSG_RTN_GET_DOORBELL)
	s_mov_b32 ttmp2, m0
	s_waitcnt lgkmcnt(0)
	s_and_b32 s0, s0, 0x3ff
	s_delay_alu instid0(SALU_CYCLE_1) | instskip(NEXT) | instid1(SALU_CYCLE_1)
	s_bitset1_b32 s0, 10
	s_mov_b32 m0, s0
	s_sendmsg sendmsg(MSG_INTERRUPT)
	s_mov_b32 m0, ttmp2
.LBB4_6256:                             ; =>This Inner Loop Header: Depth=1
	s_sethalt 5
	s_branch .LBB4_6256
.LBB4_6257:
	s_trap 2
	s_sendmsg_rtn_b32 s0, sendmsg(MSG_RTN_GET_DOORBELL)
	s_mov_b32 ttmp2, m0
	s_waitcnt lgkmcnt(0)
	s_and_b32 s0, s0, 0x3ff
	s_delay_alu instid0(SALU_CYCLE_1) | instskip(NEXT) | instid1(SALU_CYCLE_1)
	s_bitset1_b32 s0, 10
	s_mov_b32 m0, s0
	s_sendmsg sendmsg(MSG_INTERRUPT)
	s_mov_b32 m0, ttmp2
.LBB4_6258:                             ; =>This Inner Loop Header: Depth=1
	s_sethalt 5
	s_branch .LBB4_6258
.LBB4_6259:
	s_trap 2
	s_sendmsg_rtn_b32 s0, sendmsg(MSG_RTN_GET_DOORBELL)
	s_mov_b32 ttmp2, m0
	s_waitcnt lgkmcnt(0)
	s_and_b32 s0, s0, 0x3ff
	s_delay_alu instid0(SALU_CYCLE_1) | instskip(NEXT) | instid1(SALU_CYCLE_1)
	s_bitset1_b32 s0, 10
	s_mov_b32 m0, s0
	s_sendmsg sendmsg(MSG_INTERRUPT)
	s_mov_b32 m0, ttmp2
.LBB4_6260:                             ; =>This Inner Loop Header: Depth=1
	s_sethalt 5
	s_branch .LBB4_6260
.LBB4_6261:
	s_trap 2
	s_sendmsg_rtn_b32 s0, sendmsg(MSG_RTN_GET_DOORBELL)
	s_mov_b32 ttmp2, m0
	s_waitcnt lgkmcnt(0)
	s_and_b32 s0, s0, 0x3ff
	s_delay_alu instid0(SALU_CYCLE_1) | instskip(NEXT) | instid1(SALU_CYCLE_1)
	s_bitset1_b32 s0, 10
	s_mov_b32 m0, s0
	s_sendmsg sendmsg(MSG_INTERRUPT)
	s_mov_b32 m0, ttmp2
.LBB4_6262:                             ; =>This Inner Loop Header: Depth=1
	s_sethalt 5
	s_branch .LBB4_6262
.LBB4_6263:
	s_trap 2
	s_sendmsg_rtn_b32 s0, sendmsg(MSG_RTN_GET_DOORBELL)
	s_mov_b32 ttmp2, m0
	s_waitcnt lgkmcnt(0)
	s_and_b32 s0, s0, 0x3ff
	s_delay_alu instid0(SALU_CYCLE_1) | instskip(NEXT) | instid1(SALU_CYCLE_1)
	s_bitset1_b32 s0, 10
	s_mov_b32 m0, s0
	s_sendmsg sendmsg(MSG_INTERRUPT)
	s_mov_b32 m0, ttmp2
.LBB4_6264:                             ; =>This Inner Loop Header: Depth=1
	s_sethalt 5
	s_branch .LBB4_6264
.LBB4_6265:
	s_trap 2
	s_sendmsg_rtn_b32 s0, sendmsg(MSG_RTN_GET_DOORBELL)
	s_mov_b32 ttmp2, m0
	s_waitcnt lgkmcnt(0)
	s_and_b32 s0, s0, 0x3ff
	s_delay_alu instid0(SALU_CYCLE_1) | instskip(NEXT) | instid1(SALU_CYCLE_1)
	s_bitset1_b32 s0, 10
	s_mov_b32 m0, s0
	s_sendmsg sendmsg(MSG_INTERRUPT)
	s_mov_b32 m0, ttmp2
.LBB4_6266:                             ; =>This Inner Loop Header: Depth=1
	s_sethalt 5
	s_branch .LBB4_6266
.LBB4_6267:
	s_trap 2
	s_sendmsg_rtn_b32 s0, sendmsg(MSG_RTN_GET_DOORBELL)
	s_mov_b32 ttmp2, m0
	s_waitcnt lgkmcnt(0)
	s_and_b32 s0, s0, 0x3ff
	s_delay_alu instid0(SALU_CYCLE_1) | instskip(NEXT) | instid1(SALU_CYCLE_1)
	s_bitset1_b32 s0, 10
	s_mov_b32 m0, s0
	s_sendmsg sendmsg(MSG_INTERRUPT)
	s_mov_b32 m0, ttmp2
.LBB4_6268:                             ; =>This Inner Loop Header: Depth=1
	s_sethalt 5
	s_branch .LBB4_6268
.LBB4_6269:
	s_trap 2
	s_sendmsg_rtn_b32 s0, sendmsg(MSG_RTN_GET_DOORBELL)
	s_mov_b32 ttmp2, m0
	s_waitcnt lgkmcnt(0)
	s_and_b32 s0, s0, 0x3ff
	s_delay_alu instid0(SALU_CYCLE_1) | instskip(NEXT) | instid1(SALU_CYCLE_1)
	s_bitset1_b32 s0, 10
	s_mov_b32 m0, s0
	s_sendmsg sendmsg(MSG_INTERRUPT)
	s_mov_b32 m0, ttmp2
.LBB4_6270:                             ; =>This Inner Loop Header: Depth=1
	s_sethalt 5
	s_branch .LBB4_6270
.LBB4_6271:
	s_trap 2
	s_sendmsg_rtn_b32 s0, sendmsg(MSG_RTN_GET_DOORBELL)
	s_mov_b32 ttmp2, m0
	s_waitcnt lgkmcnt(0)
	s_and_b32 s0, s0, 0x3ff
	s_delay_alu instid0(SALU_CYCLE_1) | instskip(NEXT) | instid1(SALU_CYCLE_1)
	s_bitset1_b32 s0, 10
	s_mov_b32 m0, s0
	s_sendmsg sendmsg(MSG_INTERRUPT)
	s_mov_b32 m0, ttmp2
.LBB4_6272:                             ; =>This Inner Loop Header: Depth=1
	s_sethalt 5
	s_branch .LBB4_6272
.LBB4_6273:
	s_trap 2
	s_sendmsg_rtn_b32 s0, sendmsg(MSG_RTN_GET_DOORBELL)
	s_mov_b32 ttmp2, m0
	s_waitcnt lgkmcnt(0)
	s_and_b32 s0, s0, 0x3ff
	s_delay_alu instid0(SALU_CYCLE_1) | instskip(NEXT) | instid1(SALU_CYCLE_1)
	s_bitset1_b32 s0, 10
	s_mov_b32 m0, s0
	s_sendmsg sendmsg(MSG_INTERRUPT)
	s_mov_b32 m0, ttmp2
.LBB4_6274:                             ; =>This Inner Loop Header: Depth=1
	s_sethalt 5
	s_branch .LBB4_6274
.LBB4_6275:
	s_trap 2
	s_sendmsg_rtn_b32 s0, sendmsg(MSG_RTN_GET_DOORBELL)
	s_mov_b32 ttmp2, m0
	s_waitcnt lgkmcnt(0)
	s_and_b32 s0, s0, 0x3ff
	s_delay_alu instid0(SALU_CYCLE_1) | instskip(NEXT) | instid1(SALU_CYCLE_1)
	s_bitset1_b32 s0, 10
	s_mov_b32 m0, s0
	s_sendmsg sendmsg(MSG_INTERRUPT)
	s_mov_b32 m0, ttmp2
.LBB4_6276:                             ; =>This Inner Loop Header: Depth=1
	s_sethalt 5
	s_branch .LBB4_6276
.LBB4_6277:
	s_trap 2
	s_sendmsg_rtn_b32 s0, sendmsg(MSG_RTN_GET_DOORBELL)
	s_mov_b32 ttmp2, m0
	s_waitcnt lgkmcnt(0)
	s_and_b32 s0, s0, 0x3ff
	s_delay_alu instid0(SALU_CYCLE_1) | instskip(NEXT) | instid1(SALU_CYCLE_1)
	s_bitset1_b32 s0, 10
	s_mov_b32 m0, s0
	s_sendmsg sendmsg(MSG_INTERRUPT)
	s_mov_b32 m0, ttmp2
.LBB4_6278:                             ; =>This Inner Loop Header: Depth=1
	s_sethalt 5
	s_branch .LBB4_6278
.LBB4_6279:
	s_trap 2
	s_sendmsg_rtn_b32 s0, sendmsg(MSG_RTN_GET_DOORBELL)
	s_mov_b32 ttmp2, m0
	s_waitcnt lgkmcnt(0)
	s_and_b32 s0, s0, 0x3ff
	s_delay_alu instid0(SALU_CYCLE_1) | instskip(NEXT) | instid1(SALU_CYCLE_1)
	s_bitset1_b32 s0, 10
	s_mov_b32 m0, s0
	s_sendmsg sendmsg(MSG_INTERRUPT)
	s_mov_b32 m0, ttmp2
.LBB4_6280:                             ; =>This Inner Loop Header: Depth=1
	s_sethalt 5
	s_branch .LBB4_6280
.LBB4_6281:
	s_trap 2
	s_sendmsg_rtn_b32 s0, sendmsg(MSG_RTN_GET_DOORBELL)
	s_mov_b32 ttmp2, m0
	s_waitcnt lgkmcnt(0)
	s_and_b32 s0, s0, 0x3ff
	s_delay_alu instid0(SALU_CYCLE_1) | instskip(NEXT) | instid1(SALU_CYCLE_1)
	s_bitset1_b32 s0, 10
	s_mov_b32 m0, s0
	s_sendmsg sendmsg(MSG_INTERRUPT)
	s_mov_b32 m0, ttmp2
.LBB4_6282:                             ; =>This Inner Loop Header: Depth=1
	s_sethalt 5
	s_branch .LBB4_6282
.LBB4_6283:
	s_trap 2
	s_sendmsg_rtn_b32 s0, sendmsg(MSG_RTN_GET_DOORBELL)
	s_mov_b32 ttmp2, m0
	s_waitcnt lgkmcnt(0)
	s_and_b32 s0, s0, 0x3ff
	s_delay_alu instid0(SALU_CYCLE_1) | instskip(NEXT) | instid1(SALU_CYCLE_1)
	s_bitset1_b32 s0, 10
	s_mov_b32 m0, s0
	s_sendmsg sendmsg(MSG_INTERRUPT)
	s_mov_b32 m0, ttmp2
.LBB4_6284:                             ; =>This Inner Loop Header: Depth=1
	s_sethalt 5
	s_branch .LBB4_6284
.LBB4_6285:
	s_trap 2
	s_sendmsg_rtn_b32 s0, sendmsg(MSG_RTN_GET_DOORBELL)
	s_mov_b32 ttmp2, m0
	s_waitcnt lgkmcnt(0)
	s_and_b32 s0, s0, 0x3ff
	s_delay_alu instid0(SALU_CYCLE_1) | instskip(NEXT) | instid1(SALU_CYCLE_1)
	s_bitset1_b32 s0, 10
	s_mov_b32 m0, s0
	s_sendmsg sendmsg(MSG_INTERRUPT)
	s_mov_b32 m0, ttmp2
.LBB4_6286:                             ; =>This Inner Loop Header: Depth=1
	s_sethalt 5
	s_branch .LBB4_6286
.LBB4_6287:
	s_trap 2
	s_sendmsg_rtn_b32 s0, sendmsg(MSG_RTN_GET_DOORBELL)
	s_mov_b32 ttmp2, m0
	s_waitcnt lgkmcnt(0)
	s_and_b32 s0, s0, 0x3ff
	s_delay_alu instid0(SALU_CYCLE_1) | instskip(NEXT) | instid1(SALU_CYCLE_1)
	s_bitset1_b32 s0, 10
	s_mov_b32 m0, s0
	s_sendmsg sendmsg(MSG_INTERRUPT)
	s_mov_b32 m0, ttmp2
.LBB4_6288:                             ; =>This Inner Loop Header: Depth=1
	s_sethalt 5
	s_branch .LBB4_6288
.LBB4_6289:
	s_trap 2
	s_sendmsg_rtn_b32 s0, sendmsg(MSG_RTN_GET_DOORBELL)
	s_mov_b32 ttmp2, m0
	s_waitcnt lgkmcnt(0)
	s_and_b32 s0, s0, 0x3ff
	s_delay_alu instid0(SALU_CYCLE_1) | instskip(NEXT) | instid1(SALU_CYCLE_1)
	s_bitset1_b32 s0, 10
	s_mov_b32 m0, s0
	s_sendmsg sendmsg(MSG_INTERRUPT)
	s_mov_b32 m0, ttmp2
.LBB4_6290:                             ; =>This Inner Loop Header: Depth=1
	s_sethalt 5
	s_branch .LBB4_6290
.LBB4_6291:
	s_trap 2
	s_sendmsg_rtn_b32 s0, sendmsg(MSG_RTN_GET_DOORBELL)
	s_mov_b32 ttmp2, m0
	s_waitcnt lgkmcnt(0)
	s_and_b32 s0, s0, 0x3ff
	s_delay_alu instid0(SALU_CYCLE_1) | instskip(NEXT) | instid1(SALU_CYCLE_1)
	s_bitset1_b32 s0, 10
	s_mov_b32 m0, s0
	s_sendmsg sendmsg(MSG_INTERRUPT)
	s_mov_b32 m0, ttmp2
.LBB4_6292:                             ; =>This Inner Loop Header: Depth=1
	s_sethalt 5
	s_branch .LBB4_6292
.LBB4_6293:
	s_trap 2
	s_sendmsg_rtn_b32 s0, sendmsg(MSG_RTN_GET_DOORBELL)
	s_mov_b32 ttmp2, m0
	s_waitcnt lgkmcnt(0)
	s_and_b32 s0, s0, 0x3ff
	s_delay_alu instid0(SALU_CYCLE_1) | instskip(NEXT) | instid1(SALU_CYCLE_1)
	s_bitset1_b32 s0, 10
	s_mov_b32 m0, s0
	s_sendmsg sendmsg(MSG_INTERRUPT)
	s_mov_b32 m0, ttmp2
.LBB4_6294:                             ; =>This Inner Loop Header: Depth=1
	s_sethalt 5
	s_branch .LBB4_6294
.LBB4_6295:
	s_trap 2
	s_sendmsg_rtn_b32 s0, sendmsg(MSG_RTN_GET_DOORBELL)
	s_mov_b32 ttmp2, m0
	s_waitcnt lgkmcnt(0)
	s_and_b32 s0, s0, 0x3ff
	s_delay_alu instid0(SALU_CYCLE_1) | instskip(NEXT) | instid1(SALU_CYCLE_1)
	s_bitset1_b32 s0, 10
	s_mov_b32 m0, s0
	s_sendmsg sendmsg(MSG_INTERRUPT)
	s_mov_b32 m0, ttmp2
.LBB4_6296:                             ; =>This Inner Loop Header: Depth=1
	s_sethalt 5
	s_branch .LBB4_6296
.LBB4_6297:
	s_trap 2
	s_sendmsg_rtn_b32 s0, sendmsg(MSG_RTN_GET_DOORBELL)
	s_mov_b32 ttmp2, m0
	s_waitcnt lgkmcnt(0)
	s_and_b32 s0, s0, 0x3ff
	s_delay_alu instid0(SALU_CYCLE_1) | instskip(NEXT) | instid1(SALU_CYCLE_1)
	s_bitset1_b32 s0, 10
	s_mov_b32 m0, s0
	s_sendmsg sendmsg(MSG_INTERRUPT)
	s_mov_b32 m0, ttmp2
.LBB4_6298:                             ; =>This Inner Loop Header: Depth=1
	s_sethalt 5
	s_branch .LBB4_6298
.LBB4_6299:
	s_trap 2
	s_sendmsg_rtn_b32 s0, sendmsg(MSG_RTN_GET_DOORBELL)
	s_mov_b32 ttmp2, m0
	s_waitcnt lgkmcnt(0)
	s_and_b32 s0, s0, 0x3ff
	s_delay_alu instid0(SALU_CYCLE_1) | instskip(NEXT) | instid1(SALU_CYCLE_1)
	s_bitset1_b32 s0, 10
	s_mov_b32 m0, s0
	s_sendmsg sendmsg(MSG_INTERRUPT)
	s_mov_b32 m0, ttmp2
.LBB4_6300:                             ; =>This Inner Loop Header: Depth=1
	s_sethalt 5
	s_branch .LBB4_6300
.LBB4_6301:
	s_trap 2
	s_sendmsg_rtn_b32 s0, sendmsg(MSG_RTN_GET_DOORBELL)
	s_mov_b32 ttmp2, m0
	s_waitcnt lgkmcnt(0)
	s_and_b32 s0, s0, 0x3ff
	s_delay_alu instid0(SALU_CYCLE_1) | instskip(NEXT) | instid1(SALU_CYCLE_1)
	s_bitset1_b32 s0, 10
	s_mov_b32 m0, s0
	s_sendmsg sendmsg(MSG_INTERRUPT)
	s_mov_b32 m0, ttmp2
.LBB4_6302:                             ; =>This Inner Loop Header: Depth=1
	s_sethalt 5
	s_branch .LBB4_6302
.LBB4_6303:
	s_trap 2
	s_sendmsg_rtn_b32 s0, sendmsg(MSG_RTN_GET_DOORBELL)
	s_mov_b32 ttmp2, m0
	s_waitcnt lgkmcnt(0)
	s_and_b32 s0, s0, 0x3ff
	s_delay_alu instid0(SALU_CYCLE_1) | instskip(NEXT) | instid1(SALU_CYCLE_1)
	s_bitset1_b32 s0, 10
	s_mov_b32 m0, s0
	s_sendmsg sendmsg(MSG_INTERRUPT)
	s_mov_b32 m0, ttmp2
.LBB4_6304:                             ; =>This Inner Loop Header: Depth=1
	s_sethalt 5
	s_branch .LBB4_6304
.LBB4_6305:
	s_trap 2
	s_sendmsg_rtn_b32 s0, sendmsg(MSG_RTN_GET_DOORBELL)
	s_mov_b32 ttmp2, m0
	s_waitcnt lgkmcnt(0)
	s_and_b32 s0, s0, 0x3ff
	s_delay_alu instid0(SALU_CYCLE_1) | instskip(NEXT) | instid1(SALU_CYCLE_1)
	s_bitset1_b32 s0, 10
	s_mov_b32 m0, s0
	s_sendmsg sendmsg(MSG_INTERRUPT)
	s_mov_b32 m0, ttmp2
.LBB4_6306:                             ; =>This Inner Loop Header: Depth=1
	s_sethalt 5
	s_branch .LBB4_6306
.LBB4_6307:
	s_trap 2
	s_sendmsg_rtn_b32 s0, sendmsg(MSG_RTN_GET_DOORBELL)
	s_mov_b32 ttmp2, m0
	s_waitcnt lgkmcnt(0)
	s_and_b32 s0, s0, 0x3ff
	s_delay_alu instid0(SALU_CYCLE_1) | instskip(NEXT) | instid1(SALU_CYCLE_1)
	s_bitset1_b32 s0, 10
	s_mov_b32 m0, s0
	s_sendmsg sendmsg(MSG_INTERRUPT)
	s_mov_b32 m0, ttmp2
.LBB4_6308:                             ; =>This Inner Loop Header: Depth=1
	s_sethalt 5
	s_branch .LBB4_6308
.LBB4_6309:
	s_trap 2
	s_sendmsg_rtn_b32 s0, sendmsg(MSG_RTN_GET_DOORBELL)
	s_mov_b32 ttmp2, m0
	s_waitcnt lgkmcnt(0)
	s_and_b32 s0, s0, 0x3ff
	s_delay_alu instid0(SALU_CYCLE_1) | instskip(NEXT) | instid1(SALU_CYCLE_1)
	s_bitset1_b32 s0, 10
	s_mov_b32 m0, s0
	s_sendmsg sendmsg(MSG_INTERRUPT)
	s_mov_b32 m0, ttmp2
.LBB4_6310:                             ; =>This Inner Loop Header: Depth=1
	s_sethalt 5
	s_branch .LBB4_6310
.LBB4_6311:
	s_trap 2
	s_sendmsg_rtn_b32 s0, sendmsg(MSG_RTN_GET_DOORBELL)
	s_mov_b32 ttmp2, m0
	s_waitcnt lgkmcnt(0)
	s_and_b32 s0, s0, 0x3ff
	s_delay_alu instid0(SALU_CYCLE_1) | instskip(NEXT) | instid1(SALU_CYCLE_1)
	s_bitset1_b32 s0, 10
	s_mov_b32 m0, s0
	s_sendmsg sendmsg(MSG_INTERRUPT)
	s_mov_b32 m0, ttmp2
.LBB4_6312:                             ; =>This Inner Loop Header: Depth=1
	s_sethalt 5
	s_branch .LBB4_6312
.LBB4_6313:
	s_trap 2
	s_sendmsg_rtn_b32 s0, sendmsg(MSG_RTN_GET_DOORBELL)
	s_mov_b32 ttmp2, m0
	s_waitcnt lgkmcnt(0)
	s_and_b32 s0, s0, 0x3ff
	s_delay_alu instid0(SALU_CYCLE_1) | instskip(NEXT) | instid1(SALU_CYCLE_1)
	s_bitset1_b32 s0, 10
	s_mov_b32 m0, s0
	s_sendmsg sendmsg(MSG_INTERRUPT)
	s_mov_b32 m0, ttmp2
.LBB4_6314:                             ; =>This Inner Loop Header: Depth=1
	s_sethalt 5
	s_branch .LBB4_6314
.LBB4_6315:
	s_trap 2
	s_sendmsg_rtn_b32 s0, sendmsg(MSG_RTN_GET_DOORBELL)
	s_mov_b32 ttmp2, m0
	s_waitcnt lgkmcnt(0)
	s_and_b32 s0, s0, 0x3ff
	s_delay_alu instid0(SALU_CYCLE_1) | instskip(NEXT) | instid1(SALU_CYCLE_1)
	s_bitset1_b32 s0, 10
	s_mov_b32 m0, s0
	s_sendmsg sendmsg(MSG_INTERRUPT)
	s_mov_b32 m0, ttmp2
.LBB4_6316:                             ; =>This Inner Loop Header: Depth=1
	s_sethalt 5
	s_branch .LBB4_6316
.LBB4_6317:
	s_trap 2
	s_sendmsg_rtn_b32 s0, sendmsg(MSG_RTN_GET_DOORBELL)
	s_mov_b32 ttmp2, m0
	s_waitcnt lgkmcnt(0)
	s_and_b32 s0, s0, 0x3ff
	s_delay_alu instid0(SALU_CYCLE_1) | instskip(NEXT) | instid1(SALU_CYCLE_1)
	s_bitset1_b32 s0, 10
	s_mov_b32 m0, s0
	s_sendmsg sendmsg(MSG_INTERRUPT)
	s_mov_b32 m0, ttmp2
.LBB4_6318:                             ; =>This Inner Loop Header: Depth=1
	s_sethalt 5
	s_branch .LBB4_6318
.LBB4_6319:
	s_or_b32 exec_lo, exec_lo, s4
	s_and_saveexec_b32 s4, s5
	s_delay_alu instid0(SALU_CYCLE_1)
	s_xor_b32 s4, exec_lo, s4
	s_cbranch_execz .LBB4_6321
; %bb.6320:
	v_mov_b32_e32 v0, 1
	ds_store_b32 v0, v0
	s_cbranch_execnz .LBB4_6413
.LBB4_6321:
	s_or_b32 exec_lo, exec_lo, s3
	;;#ASMSTART
	s_wakeup
	;;#ASMEND
.LBB4_6322:
	s_or_b32 exec_lo, exec_lo, s2
.LBB4_6323:
	s_and_not1_saveexec_b32 s1, s1
	s_cbranch_execz .LBB4_6325
; %bb.6324:
	s_waitcnt lgkmcnt(0)
	s_waitcnt_vscnt null, 0x0
	buffer_gl1_inv
	buffer_gl0_inv
	s_barrier
.LBB4_6325:
	s_or_b32 exec_lo, exec_lo, s0
.LBB4_6326:
	s_and_not1_saveexec_b32 s21, s18
	s_cbranch_execz .LBB4_6328
; %bb.6327:
	s_getpc_b64 s[0:1]
	s_add_u32 s0, s0, __PRETTY_FUNCTION__._ZN10PrimitivesI11rccl_float87FuncSumIS0_E12FanSymmetricILi1EELi0E11ProtoSimpleILi2ELi2ELi0ELi2ELi0ELi0EELi0ELb0ELi0ELi0ELi0EEC2EiiPKiS9_PKvPvmhhhP15ncclDevWorkCollP14ncclDevWorkP2pii@rel32@lo+4
	s_addc_u32 s1, s1, __PRETTY_FUNCTION__._ZN10PrimitivesI11rccl_float87FuncSumIS0_E12FanSymmetricILi1EELi0E11ProtoSimpleILi2ELi2ELi0ELi2ELi0ELi0EELi0ELb0ELi0ELi0ELi0EEC2EiiPKiS9_PKvPvmhhhP15ncclDevWorkCollP14ncclDevWorkP2pii@rel32@hi+12
	s_delay_alu instid0(SALU_CYCLE_1) | instskip(SKIP_3) | instid1(SALU_CYCLE_1)
	v_dual_mov_b32 v0, s0 :: v_dual_mov_b32 v1, s1
	s_getpc_b64 s[2:3]
	s_add_u32 s2, s2, __assert_fail@rel32@lo+4
	s_addc_u32 s3, s3, __assert_fail@rel32@hi+12
	s_swappc_b64 s[30:31], s[2:3]
	; divergent unreachable
.LBB4_6328:
	s_or_b32 exec_lo, exec_lo, s21
	s_clause 0x6
	scratch_load_b32 v46, off, s33
	scratch_load_b32 v45, off, s33 offset:4
	scratch_load_b32 v44, off, s33 offset:8
	;; [unrolled: 1-line block ×6, first 2 shown]
	v_readlane_b32 s30, v47, 11
	v_readlane_b32 s31, v47, 12
	;; [unrolled: 1-line block ×14, first 2 shown]
	s_or_saveexec_b32 s1, -1
	s_clause 0x1
	scratch_load_b32 v47, off, s33 offset:28
	scratch_load_b32 v56, off, s33 offset:32
	s_mov_b32 exec_lo, s1
	s_addk_i32 s32, 0xffd0
	s_mov_b32 s33, s0
	s_waitcnt vmcnt(0) lgkmcnt(0)
	s_setpc_b64 s[30:31]
.LBB4_6329:
	s_trap 2
	s_sendmsg_rtn_b32 s0, sendmsg(MSG_RTN_GET_DOORBELL)
	s_mov_b32 ttmp2, m0
	s_waitcnt lgkmcnt(0)
	s_and_b32 s0, s0, 0x3ff
	s_delay_alu instid0(SALU_CYCLE_1) | instskip(NEXT) | instid1(SALU_CYCLE_1)
	s_bitset1_b32 s0, 10
	s_mov_b32 m0, s0
	s_sendmsg sendmsg(MSG_INTERRUPT)
	s_mov_b32 m0, ttmp2
.LBB4_6330:                             ; =>This Inner Loop Header: Depth=1
	s_sethalt 5
	s_branch .LBB4_6330
.LBB4_6331:
	s_trap 2
	s_sendmsg_rtn_b32 s0, sendmsg(MSG_RTN_GET_DOORBELL)
	s_mov_b32 ttmp2, m0
	s_waitcnt lgkmcnt(0)
	s_and_b32 s0, s0, 0x3ff
	s_delay_alu instid0(SALU_CYCLE_1) | instskip(NEXT) | instid1(SALU_CYCLE_1)
	s_bitset1_b32 s0, 10
	s_mov_b32 m0, s0
	s_sendmsg sendmsg(MSG_INTERRUPT)
	s_mov_b32 m0, ttmp2
.LBB4_6332:                             ; =>This Inner Loop Header: Depth=1
	s_sethalt 5
	s_branch .LBB4_6332
.LBB4_6333:
	s_trap 2
	s_sendmsg_rtn_b32 s0, sendmsg(MSG_RTN_GET_DOORBELL)
	s_mov_b32 ttmp2, m0
	s_waitcnt lgkmcnt(0)
	s_and_b32 s0, s0, 0x3ff
	s_delay_alu instid0(SALU_CYCLE_1) | instskip(NEXT) | instid1(SALU_CYCLE_1)
	s_bitset1_b32 s0, 10
	s_mov_b32 m0, s0
	s_sendmsg sendmsg(MSG_INTERRUPT)
	s_mov_b32 m0, ttmp2
.LBB4_6334:                             ; =>This Inner Loop Header: Depth=1
	s_sethalt 5
	s_branch .LBB4_6334
.LBB4_6335:
	s_trap 2
	s_sendmsg_rtn_b32 s0, sendmsg(MSG_RTN_GET_DOORBELL)
	s_mov_b32 ttmp2, m0
	s_waitcnt lgkmcnt(0)
	s_and_b32 s0, s0, 0x3ff
	s_delay_alu instid0(SALU_CYCLE_1) | instskip(NEXT) | instid1(SALU_CYCLE_1)
	s_bitset1_b32 s0, 10
	s_mov_b32 m0, s0
	s_sendmsg sendmsg(MSG_INTERRUPT)
	s_mov_b32 m0, ttmp2
.LBB4_6336:                             ; =>This Inner Loop Header: Depth=1
	s_sethalt 5
	s_branch .LBB4_6336
.LBB4_6337:
	s_trap 2
	s_sendmsg_rtn_b32 s0, sendmsg(MSG_RTN_GET_DOORBELL)
	s_mov_b32 ttmp2, m0
	s_waitcnt lgkmcnt(0)
	s_and_b32 s0, s0, 0x3ff
	s_delay_alu instid0(SALU_CYCLE_1) | instskip(NEXT) | instid1(SALU_CYCLE_1)
	s_bitset1_b32 s0, 10
	s_mov_b32 m0, s0
	s_sendmsg sendmsg(MSG_INTERRUPT)
	s_mov_b32 m0, ttmp2
.LBB4_6338:                             ; =>This Inner Loop Header: Depth=1
	s_sethalt 5
	s_branch .LBB4_6338
.LBB4_6339:
	s_trap 2
	s_sendmsg_rtn_b32 s0, sendmsg(MSG_RTN_GET_DOORBELL)
	s_mov_b32 ttmp2, m0
	s_waitcnt lgkmcnt(0)
	s_and_b32 s0, s0, 0x3ff
	s_delay_alu instid0(SALU_CYCLE_1) | instskip(NEXT) | instid1(SALU_CYCLE_1)
	s_bitset1_b32 s0, 10
	s_mov_b32 m0, s0
	s_sendmsg sendmsg(MSG_INTERRUPT)
	s_mov_b32 m0, ttmp2
.LBB4_6340:                             ; =>This Inner Loop Header: Depth=1
	s_sethalt 5
	s_branch .LBB4_6340
.LBB4_6341:
	s_trap 2
	s_sendmsg_rtn_b32 s0, sendmsg(MSG_RTN_GET_DOORBELL)
	s_mov_b32 ttmp2, m0
	s_waitcnt lgkmcnt(0)
	s_and_b32 s0, s0, 0x3ff
	s_delay_alu instid0(SALU_CYCLE_1) | instskip(NEXT) | instid1(SALU_CYCLE_1)
	s_bitset1_b32 s0, 10
	s_mov_b32 m0, s0
	s_sendmsg sendmsg(MSG_INTERRUPT)
	s_mov_b32 m0, ttmp2
.LBB4_6342:                             ; =>This Inner Loop Header: Depth=1
	s_sethalt 5
	s_branch .LBB4_6342
.LBB4_6343:
	s_trap 2
	s_sendmsg_rtn_b32 s0, sendmsg(MSG_RTN_GET_DOORBELL)
	s_mov_b32 ttmp2, m0
	s_waitcnt lgkmcnt(0)
	s_and_b32 s0, s0, 0x3ff
	s_delay_alu instid0(SALU_CYCLE_1) | instskip(NEXT) | instid1(SALU_CYCLE_1)
	s_bitset1_b32 s0, 10
	s_mov_b32 m0, s0
	s_sendmsg sendmsg(MSG_INTERRUPT)
	s_mov_b32 m0, ttmp2
.LBB4_6344:                             ; =>This Inner Loop Header: Depth=1
	s_sethalt 5
	s_branch .LBB4_6344
.LBB4_6345:
	s_trap 2
	s_sendmsg_rtn_b32 s0, sendmsg(MSG_RTN_GET_DOORBELL)
	s_mov_b32 ttmp2, m0
	s_waitcnt lgkmcnt(0)
	s_and_b32 s0, s0, 0x3ff
	s_delay_alu instid0(SALU_CYCLE_1) | instskip(NEXT) | instid1(SALU_CYCLE_1)
	s_bitset1_b32 s0, 10
	s_mov_b32 m0, s0
	s_sendmsg sendmsg(MSG_INTERRUPT)
	s_mov_b32 m0, ttmp2
.LBB4_6346:                             ; =>This Inner Loop Header: Depth=1
	s_sethalt 5
	s_branch .LBB4_6346
.LBB4_6347:
	s_trap 2
	s_sendmsg_rtn_b32 s0, sendmsg(MSG_RTN_GET_DOORBELL)
	s_mov_b32 ttmp2, m0
	s_waitcnt lgkmcnt(0)
	s_and_b32 s0, s0, 0x3ff
	s_delay_alu instid0(SALU_CYCLE_1) | instskip(NEXT) | instid1(SALU_CYCLE_1)
	s_bitset1_b32 s0, 10
	s_mov_b32 m0, s0
	s_sendmsg sendmsg(MSG_INTERRUPT)
	s_mov_b32 m0, ttmp2
.LBB4_6348:                             ; =>This Inner Loop Header: Depth=1
	s_sethalt 5
	s_branch .LBB4_6348
.LBB4_6349:
	s_trap 2
	s_sendmsg_rtn_b32 s0, sendmsg(MSG_RTN_GET_DOORBELL)
	s_mov_b32 ttmp2, m0
	s_waitcnt lgkmcnt(0)
	s_and_b32 s0, s0, 0x3ff
	s_delay_alu instid0(SALU_CYCLE_1) | instskip(NEXT) | instid1(SALU_CYCLE_1)
	s_bitset1_b32 s0, 10
	s_mov_b32 m0, s0
	s_sendmsg sendmsg(MSG_INTERRUPT)
	s_mov_b32 m0, ttmp2
.LBB4_6350:                             ; =>This Inner Loop Header: Depth=1
	s_sethalt 5
	s_branch .LBB4_6350
.LBB4_6351:
	s_trap 2
	s_sendmsg_rtn_b32 s0, sendmsg(MSG_RTN_GET_DOORBELL)
	s_mov_b32 ttmp2, m0
	s_waitcnt lgkmcnt(0)
	s_and_b32 s0, s0, 0x3ff
	s_delay_alu instid0(SALU_CYCLE_1) | instskip(NEXT) | instid1(SALU_CYCLE_1)
	s_bitset1_b32 s0, 10
	s_mov_b32 m0, s0
	s_sendmsg sendmsg(MSG_INTERRUPT)
	s_mov_b32 m0, ttmp2
.LBB4_6352:                             ; =>This Inner Loop Header: Depth=1
	s_sethalt 5
	s_branch .LBB4_6352
.LBB4_6353:
	s_trap 2
	s_sendmsg_rtn_b32 s0, sendmsg(MSG_RTN_GET_DOORBELL)
	s_mov_b32 ttmp2, m0
	s_waitcnt lgkmcnt(0)
	s_and_b32 s0, s0, 0x3ff
	s_delay_alu instid0(SALU_CYCLE_1) | instskip(NEXT) | instid1(SALU_CYCLE_1)
	s_bitset1_b32 s0, 10
	s_mov_b32 m0, s0
	s_sendmsg sendmsg(MSG_INTERRUPT)
	s_mov_b32 m0, ttmp2
.LBB4_6354:                             ; =>This Inner Loop Header: Depth=1
	s_sethalt 5
	s_branch .LBB4_6354
.LBB4_6355:
	s_trap 2
	s_sendmsg_rtn_b32 s0, sendmsg(MSG_RTN_GET_DOORBELL)
	s_mov_b32 ttmp2, m0
	s_waitcnt lgkmcnt(0)
	s_and_b32 s0, s0, 0x3ff
	s_delay_alu instid0(SALU_CYCLE_1) | instskip(NEXT) | instid1(SALU_CYCLE_1)
	s_bitset1_b32 s0, 10
	s_mov_b32 m0, s0
	s_sendmsg sendmsg(MSG_INTERRUPT)
	s_mov_b32 m0, ttmp2
.LBB4_6356:                             ; =>This Inner Loop Header: Depth=1
	s_sethalt 5
	s_branch .LBB4_6356
.LBB4_6357:
	s_trap 2
	s_sendmsg_rtn_b32 s0, sendmsg(MSG_RTN_GET_DOORBELL)
	s_mov_b32 ttmp2, m0
	s_waitcnt lgkmcnt(0)
	s_and_b32 s0, s0, 0x3ff
	s_delay_alu instid0(SALU_CYCLE_1) | instskip(NEXT) | instid1(SALU_CYCLE_1)
	s_bitset1_b32 s0, 10
	s_mov_b32 m0, s0
	s_sendmsg sendmsg(MSG_INTERRUPT)
	s_mov_b32 m0, ttmp2
.LBB4_6358:                             ; =>This Inner Loop Header: Depth=1
	s_sethalt 5
	s_branch .LBB4_6358
.LBB4_6359:
	s_trap 2
	s_sendmsg_rtn_b32 s0, sendmsg(MSG_RTN_GET_DOORBELL)
	s_mov_b32 ttmp2, m0
	s_waitcnt lgkmcnt(0)
	s_and_b32 s0, s0, 0x3ff
	s_delay_alu instid0(SALU_CYCLE_1) | instskip(NEXT) | instid1(SALU_CYCLE_1)
	s_bitset1_b32 s0, 10
	s_mov_b32 m0, s0
	s_sendmsg sendmsg(MSG_INTERRUPT)
	s_mov_b32 m0, ttmp2
.LBB4_6360:                             ; =>This Inner Loop Header: Depth=1
	s_sethalt 5
	s_branch .LBB4_6360
.LBB4_6361:
	s_trap 2
	s_sendmsg_rtn_b32 s0, sendmsg(MSG_RTN_GET_DOORBELL)
	s_mov_b32 ttmp2, m0
	s_waitcnt lgkmcnt(0)
	s_and_b32 s0, s0, 0x3ff
	s_delay_alu instid0(SALU_CYCLE_1) | instskip(NEXT) | instid1(SALU_CYCLE_1)
	s_bitset1_b32 s0, 10
	s_mov_b32 m0, s0
	s_sendmsg sendmsg(MSG_INTERRUPT)
	s_mov_b32 m0, ttmp2
.LBB4_6362:                             ; =>This Inner Loop Header: Depth=1
	s_sethalt 5
	s_branch .LBB4_6362
.LBB4_6363:
	s_trap 2
	s_sendmsg_rtn_b32 s0, sendmsg(MSG_RTN_GET_DOORBELL)
	s_mov_b32 ttmp2, m0
	s_waitcnt lgkmcnt(0)
	s_and_b32 s0, s0, 0x3ff
	s_delay_alu instid0(SALU_CYCLE_1) | instskip(NEXT) | instid1(SALU_CYCLE_1)
	s_bitset1_b32 s0, 10
	s_mov_b32 m0, s0
	s_sendmsg sendmsg(MSG_INTERRUPT)
	s_mov_b32 m0, ttmp2
.LBB4_6364:                             ; =>This Inner Loop Header: Depth=1
	s_sethalt 5
	s_branch .LBB4_6364
.LBB4_6365:
	s_trap 2
	s_sendmsg_rtn_b32 s0, sendmsg(MSG_RTN_GET_DOORBELL)
	s_mov_b32 ttmp2, m0
	s_waitcnt lgkmcnt(0)
	s_and_b32 s0, s0, 0x3ff
	s_delay_alu instid0(SALU_CYCLE_1) | instskip(NEXT) | instid1(SALU_CYCLE_1)
	s_bitset1_b32 s0, 10
	s_mov_b32 m0, s0
	s_sendmsg sendmsg(MSG_INTERRUPT)
	s_mov_b32 m0, ttmp2
.LBB4_6366:                             ; =>This Inner Loop Header: Depth=1
	s_sethalt 5
	s_branch .LBB4_6366
.LBB4_6367:
	s_trap 2
	s_sendmsg_rtn_b32 s0, sendmsg(MSG_RTN_GET_DOORBELL)
	s_mov_b32 ttmp2, m0
	s_waitcnt lgkmcnt(0)
	s_and_b32 s0, s0, 0x3ff
	s_delay_alu instid0(SALU_CYCLE_1) | instskip(NEXT) | instid1(SALU_CYCLE_1)
	s_bitset1_b32 s0, 10
	s_mov_b32 m0, s0
	s_sendmsg sendmsg(MSG_INTERRUPT)
	s_mov_b32 m0, ttmp2
.LBB4_6368:                             ; =>This Inner Loop Header: Depth=1
	s_sethalt 5
	s_branch .LBB4_6368
.LBB4_6369:
	s_trap 2
	s_sendmsg_rtn_b32 s0, sendmsg(MSG_RTN_GET_DOORBELL)
	s_mov_b32 ttmp2, m0
	s_waitcnt lgkmcnt(0)
	s_and_b32 s0, s0, 0x3ff
	s_delay_alu instid0(SALU_CYCLE_1) | instskip(NEXT) | instid1(SALU_CYCLE_1)
	s_bitset1_b32 s0, 10
	s_mov_b32 m0, s0
	s_sendmsg sendmsg(MSG_INTERRUPT)
	s_mov_b32 m0, ttmp2
.LBB4_6370:                             ; =>This Inner Loop Header: Depth=1
	s_sethalt 5
	s_branch .LBB4_6370
.LBB4_6371:
	s_trap 2
	s_sendmsg_rtn_b32 s0, sendmsg(MSG_RTN_GET_DOORBELL)
	s_mov_b32 ttmp2, m0
	s_waitcnt lgkmcnt(0)
	s_and_b32 s0, s0, 0x3ff
	s_delay_alu instid0(SALU_CYCLE_1) | instskip(NEXT) | instid1(SALU_CYCLE_1)
	s_bitset1_b32 s0, 10
	s_mov_b32 m0, s0
	s_sendmsg sendmsg(MSG_INTERRUPT)
	s_mov_b32 m0, ttmp2
.LBB4_6372:                             ; =>This Inner Loop Header: Depth=1
	s_sethalt 5
	s_branch .LBB4_6372
.LBB4_6373:
	s_trap 2
	s_sendmsg_rtn_b32 s0, sendmsg(MSG_RTN_GET_DOORBELL)
	s_mov_b32 ttmp2, m0
	s_waitcnt lgkmcnt(0)
	s_and_b32 s0, s0, 0x3ff
	s_delay_alu instid0(SALU_CYCLE_1) | instskip(NEXT) | instid1(SALU_CYCLE_1)
	s_bitset1_b32 s0, 10
	s_mov_b32 m0, s0
	s_sendmsg sendmsg(MSG_INTERRUPT)
	s_mov_b32 m0, ttmp2
.LBB4_6374:                             ; =>This Inner Loop Header: Depth=1
	s_sethalt 5
	s_branch .LBB4_6374
.LBB4_6375:
	s_trap 2
	s_sendmsg_rtn_b32 s0, sendmsg(MSG_RTN_GET_DOORBELL)
	s_mov_b32 ttmp2, m0
	s_waitcnt lgkmcnt(0)
	s_and_b32 s0, s0, 0x3ff
	s_delay_alu instid0(SALU_CYCLE_1) | instskip(NEXT) | instid1(SALU_CYCLE_1)
	s_bitset1_b32 s0, 10
	s_mov_b32 m0, s0
	s_sendmsg sendmsg(MSG_INTERRUPT)
	s_mov_b32 m0, ttmp2
.LBB4_6376:                             ; =>This Inner Loop Header: Depth=1
	s_sethalt 5
	s_branch .LBB4_6376
.LBB4_6377:
	s_trap 2
	s_sendmsg_rtn_b32 s0, sendmsg(MSG_RTN_GET_DOORBELL)
	s_mov_b32 ttmp2, m0
	s_waitcnt lgkmcnt(0)
	s_and_b32 s0, s0, 0x3ff
	s_delay_alu instid0(SALU_CYCLE_1) | instskip(NEXT) | instid1(SALU_CYCLE_1)
	s_bitset1_b32 s0, 10
	s_mov_b32 m0, s0
	s_sendmsg sendmsg(MSG_INTERRUPT)
	s_mov_b32 m0, ttmp2
.LBB4_6378:                             ; =>This Inner Loop Header: Depth=1
	s_sethalt 5
	s_branch .LBB4_6378
.LBB4_6379:
	s_trap 2
	s_sendmsg_rtn_b32 s0, sendmsg(MSG_RTN_GET_DOORBELL)
	s_mov_b32 ttmp2, m0
	s_waitcnt lgkmcnt(0)
	s_and_b32 s0, s0, 0x3ff
	s_delay_alu instid0(SALU_CYCLE_1) | instskip(NEXT) | instid1(SALU_CYCLE_1)
	s_bitset1_b32 s0, 10
	s_mov_b32 m0, s0
	s_sendmsg sendmsg(MSG_INTERRUPT)
	s_mov_b32 m0, ttmp2
.LBB4_6380:                             ; =>This Inner Loop Header: Depth=1
	s_sethalt 5
	s_branch .LBB4_6380
.LBB4_6381:
	s_trap 2
	s_sendmsg_rtn_b32 s0, sendmsg(MSG_RTN_GET_DOORBELL)
	s_mov_b32 ttmp2, m0
	s_waitcnt lgkmcnt(0)
	s_and_b32 s0, s0, 0x3ff
	s_delay_alu instid0(SALU_CYCLE_1) | instskip(NEXT) | instid1(SALU_CYCLE_1)
	s_bitset1_b32 s0, 10
	s_mov_b32 m0, s0
	s_sendmsg sendmsg(MSG_INTERRUPT)
	s_mov_b32 m0, ttmp2
.LBB4_6382:                             ; =>This Inner Loop Header: Depth=1
	s_sethalt 5
	s_branch .LBB4_6382
.LBB4_6383:
	s_trap 2
	s_sendmsg_rtn_b32 s0, sendmsg(MSG_RTN_GET_DOORBELL)
	s_mov_b32 ttmp2, m0
	s_waitcnt lgkmcnt(0)
	s_and_b32 s0, s0, 0x3ff
	s_delay_alu instid0(SALU_CYCLE_1) | instskip(NEXT) | instid1(SALU_CYCLE_1)
	s_bitset1_b32 s0, 10
	s_mov_b32 m0, s0
	s_sendmsg sendmsg(MSG_INTERRUPT)
	s_mov_b32 m0, ttmp2
.LBB4_6384:                             ; =>This Inner Loop Header: Depth=1
	s_sethalt 5
	s_branch .LBB4_6384
.LBB4_6385:
	s_trap 2
	s_sendmsg_rtn_b32 s0, sendmsg(MSG_RTN_GET_DOORBELL)
	s_mov_b32 ttmp2, m0
	s_waitcnt lgkmcnt(0)
	s_and_b32 s0, s0, 0x3ff
	s_delay_alu instid0(SALU_CYCLE_1) | instskip(NEXT) | instid1(SALU_CYCLE_1)
	s_bitset1_b32 s0, 10
	s_mov_b32 m0, s0
	s_sendmsg sendmsg(MSG_INTERRUPT)
	s_mov_b32 m0, ttmp2
.LBB4_6386:                             ; =>This Inner Loop Header: Depth=1
	s_sethalt 5
	s_branch .LBB4_6386
.LBB4_6387:
	s_trap 2
	s_sendmsg_rtn_b32 s0, sendmsg(MSG_RTN_GET_DOORBELL)
	s_mov_b32 ttmp2, m0
	s_waitcnt lgkmcnt(0)
	s_and_b32 s0, s0, 0x3ff
	s_delay_alu instid0(SALU_CYCLE_1) | instskip(NEXT) | instid1(SALU_CYCLE_1)
	s_bitset1_b32 s0, 10
	s_mov_b32 m0, s0
	s_sendmsg sendmsg(MSG_INTERRUPT)
	s_mov_b32 m0, ttmp2
.LBB4_6388:                             ; =>This Inner Loop Header: Depth=1
	s_sethalt 5
	s_branch .LBB4_6388
.LBB4_6389:
	s_trap 2
	s_sendmsg_rtn_b32 s0, sendmsg(MSG_RTN_GET_DOORBELL)
	s_mov_b32 ttmp2, m0
	s_waitcnt lgkmcnt(0)
	s_and_b32 s0, s0, 0x3ff
	s_delay_alu instid0(SALU_CYCLE_1) | instskip(NEXT) | instid1(SALU_CYCLE_1)
	s_bitset1_b32 s0, 10
	s_mov_b32 m0, s0
	s_sendmsg sendmsg(MSG_INTERRUPT)
	s_mov_b32 m0, ttmp2
.LBB4_6390:                             ; =>This Inner Loop Header: Depth=1
	s_sethalt 5
	s_branch .LBB4_6390
.LBB4_6391:
	s_trap 2
	s_sendmsg_rtn_b32 s0, sendmsg(MSG_RTN_GET_DOORBELL)
	s_mov_b32 ttmp2, m0
	s_waitcnt lgkmcnt(0)
	s_and_b32 s0, s0, 0x3ff
	s_delay_alu instid0(SALU_CYCLE_1) | instskip(NEXT) | instid1(SALU_CYCLE_1)
	s_bitset1_b32 s0, 10
	s_mov_b32 m0, s0
	s_sendmsg sendmsg(MSG_INTERRUPT)
	s_mov_b32 m0, ttmp2
.LBB4_6392:                             ; =>This Inner Loop Header: Depth=1
	s_sethalt 5
	s_branch .LBB4_6392
.LBB4_6393:
	s_trap 2
	s_sendmsg_rtn_b32 s0, sendmsg(MSG_RTN_GET_DOORBELL)
	s_mov_b32 ttmp2, m0
	s_waitcnt lgkmcnt(0)
	s_and_b32 s0, s0, 0x3ff
	s_delay_alu instid0(SALU_CYCLE_1) | instskip(NEXT) | instid1(SALU_CYCLE_1)
	s_bitset1_b32 s0, 10
	s_mov_b32 m0, s0
	s_sendmsg sendmsg(MSG_INTERRUPT)
	s_mov_b32 m0, ttmp2
.LBB4_6394:                             ; =>This Inner Loop Header: Depth=1
	s_sethalt 5
	s_branch .LBB4_6394
.LBB4_6395:
	s_trap 2
	s_sendmsg_rtn_b32 s0, sendmsg(MSG_RTN_GET_DOORBELL)
	s_mov_b32 ttmp2, m0
	s_waitcnt lgkmcnt(0)
	s_and_b32 s0, s0, 0x3ff
	s_delay_alu instid0(SALU_CYCLE_1) | instskip(NEXT) | instid1(SALU_CYCLE_1)
	s_bitset1_b32 s0, 10
	s_mov_b32 m0, s0
	s_sendmsg sendmsg(MSG_INTERRUPT)
	s_mov_b32 m0, ttmp2
.LBB4_6396:                             ; =>This Inner Loop Header: Depth=1
	s_sethalt 5
	s_branch .LBB4_6396
.LBB4_6397:
	s_trap 2
	s_sendmsg_rtn_b32 s0, sendmsg(MSG_RTN_GET_DOORBELL)
	s_mov_b32 ttmp2, m0
	s_waitcnt lgkmcnt(0)
	s_and_b32 s0, s0, 0x3ff
	s_delay_alu instid0(SALU_CYCLE_1) | instskip(NEXT) | instid1(SALU_CYCLE_1)
	s_bitset1_b32 s0, 10
	s_mov_b32 m0, s0
	s_sendmsg sendmsg(MSG_INTERRUPT)
	s_mov_b32 m0, ttmp2
.LBB4_6398:                             ; =>This Inner Loop Header: Depth=1
	s_sethalt 5
	s_branch .LBB4_6398
.LBB4_6399:
	s_trap 2
	s_sendmsg_rtn_b32 s0, sendmsg(MSG_RTN_GET_DOORBELL)
	s_mov_b32 ttmp2, m0
	s_waitcnt lgkmcnt(0)
	s_and_b32 s0, s0, 0x3ff
	s_delay_alu instid0(SALU_CYCLE_1) | instskip(NEXT) | instid1(SALU_CYCLE_1)
	s_bitset1_b32 s0, 10
	s_mov_b32 m0, s0
	s_sendmsg sendmsg(MSG_INTERRUPT)
	s_mov_b32 m0, ttmp2
.LBB4_6400:                             ; =>This Inner Loop Header: Depth=1
	s_sethalt 5
	s_branch .LBB4_6400
.LBB4_6401:
	s_trap 2
	s_sendmsg_rtn_b32 s0, sendmsg(MSG_RTN_GET_DOORBELL)
	s_mov_b32 ttmp2, m0
	s_waitcnt lgkmcnt(0)
	s_and_b32 s0, s0, 0x3ff
	s_delay_alu instid0(SALU_CYCLE_1) | instskip(NEXT) | instid1(SALU_CYCLE_1)
	s_bitset1_b32 s0, 10
	s_mov_b32 m0, s0
	s_sendmsg sendmsg(MSG_INTERRUPT)
	s_mov_b32 m0, ttmp2
.LBB4_6402:                             ; =>This Inner Loop Header: Depth=1
	s_sethalt 5
	s_branch .LBB4_6402
.LBB4_6403:
	s_trap 2
	s_sendmsg_rtn_b32 s0, sendmsg(MSG_RTN_GET_DOORBELL)
	s_mov_b32 ttmp2, m0
	s_waitcnt lgkmcnt(0)
	s_and_b32 s0, s0, 0x3ff
	s_delay_alu instid0(SALU_CYCLE_1) | instskip(NEXT) | instid1(SALU_CYCLE_1)
	s_bitset1_b32 s0, 10
	s_mov_b32 m0, s0
	s_sendmsg sendmsg(MSG_INTERRUPT)
	s_mov_b32 m0, ttmp2
.LBB4_6404:                             ; =>This Inner Loop Header: Depth=1
	s_sethalt 5
	s_branch .LBB4_6404
.LBB4_6405:
	s_trap 2
	s_sendmsg_rtn_b32 s0, sendmsg(MSG_RTN_GET_DOORBELL)
	s_mov_b32 ttmp2, m0
	s_waitcnt lgkmcnt(0)
	s_and_b32 s0, s0, 0x3ff
	s_delay_alu instid0(SALU_CYCLE_1) | instskip(NEXT) | instid1(SALU_CYCLE_1)
	s_bitset1_b32 s0, 10
	s_mov_b32 m0, s0
	s_sendmsg sendmsg(MSG_INTERRUPT)
	s_mov_b32 m0, ttmp2
.LBB4_6406:                             ; =>This Inner Loop Header: Depth=1
	s_sethalt 5
	s_branch .LBB4_6406
.LBB4_6407:
	s_trap 2
	s_sendmsg_rtn_b32 s0, sendmsg(MSG_RTN_GET_DOORBELL)
	s_mov_b32 ttmp2, m0
	s_waitcnt lgkmcnt(0)
	s_and_b32 s0, s0, 0x3ff
	s_delay_alu instid0(SALU_CYCLE_1) | instskip(NEXT) | instid1(SALU_CYCLE_1)
	s_bitset1_b32 s0, 10
	s_mov_b32 m0, s0
	s_sendmsg sendmsg(MSG_INTERRUPT)
	s_mov_b32 m0, ttmp2
.LBB4_6408:                             ; =>This Inner Loop Header: Depth=1
	s_sethalt 5
	s_branch .LBB4_6408
.LBB4_6409:
	s_trap 2
	s_sendmsg_rtn_b32 s0, sendmsg(MSG_RTN_GET_DOORBELL)
	s_mov_b32 ttmp2, m0
	s_waitcnt lgkmcnt(0)
	s_and_b32 s0, s0, 0x3ff
	s_delay_alu instid0(SALU_CYCLE_1) | instskip(NEXT) | instid1(SALU_CYCLE_1)
	s_bitset1_b32 s0, 10
	s_mov_b32 m0, s0
	s_sendmsg sendmsg(MSG_INTERRUPT)
	s_mov_b32 m0, ttmp2
.LBB4_6410:                             ; =>This Inner Loop Header: Depth=1
	s_sethalt 5
	s_branch .LBB4_6410
.LBB4_6411:
	s_trap 2
	s_sendmsg_rtn_b32 s0, sendmsg(MSG_RTN_GET_DOORBELL)
	s_mov_b32 ttmp2, m0
	s_waitcnt lgkmcnt(0)
	s_and_b32 s0, s0, 0x3ff
	s_delay_alu instid0(SALU_CYCLE_1) | instskip(NEXT) | instid1(SALU_CYCLE_1)
	s_bitset1_b32 s0, 10
	s_mov_b32 m0, s0
	s_sendmsg sendmsg(MSG_INTERRUPT)
	s_mov_b32 m0, ttmp2
.LBB4_6412:                             ; =>This Inner Loop Header: Depth=1
	s_sethalt 5
	s_branch .LBB4_6412
.LBB4_6413:
	s_trap 2
	s_sendmsg_rtn_b32 s0, sendmsg(MSG_RTN_GET_DOORBELL)
	s_mov_b32 ttmp2, m0
	s_waitcnt lgkmcnt(0)
	s_and_b32 s0, s0, 0x3ff
	s_delay_alu instid0(SALU_CYCLE_1) | instskip(NEXT) | instid1(SALU_CYCLE_1)
	s_bitset1_b32 s0, 10
	s_mov_b32 m0, s0
	s_sendmsg sendmsg(MSG_INTERRUPT)
	s_mov_b32 m0, ttmp2
.LBB4_6414:                             ; =>This Inner Loop Header: Depth=1
	s_sethalt 5
	s_branch .LBB4_6414
.LBB4_6415:
	s_trap 2
	s_sendmsg_rtn_b32 s0, sendmsg(MSG_RTN_GET_DOORBELL)
	s_mov_b32 ttmp2, m0
	s_waitcnt lgkmcnt(0)
	s_and_b32 s0, s0, 0x3ff
	s_delay_alu instid0(SALU_CYCLE_1) | instskip(NEXT) | instid1(SALU_CYCLE_1)
	s_bitset1_b32 s0, 10
	s_mov_b32 m0, s0
	s_sendmsg sendmsg(MSG_INTERRUPT)
	s_mov_b32 m0, ttmp2
.LBB4_6416:                             ; =>This Inner Loop Header: Depth=1
	s_sethalt 5
	s_branch .LBB4_6416
.LBB4_6417:
	s_trap 2
	s_sendmsg_rtn_b32 s0, sendmsg(MSG_RTN_GET_DOORBELL)
	s_mov_b32 ttmp2, m0
	s_waitcnt lgkmcnt(0)
	s_and_b32 s0, s0, 0x3ff
	s_delay_alu instid0(SALU_CYCLE_1) | instskip(NEXT) | instid1(SALU_CYCLE_1)
	s_bitset1_b32 s0, 10
	s_mov_b32 m0, s0
	s_sendmsg sendmsg(MSG_INTERRUPT)
	s_mov_b32 m0, ttmp2
.LBB4_6418:                             ; =>This Inner Loop Header: Depth=1
	s_sethalt 5
	s_branch .LBB4_6418
.LBB4_6419:
	s_trap 2
	s_sendmsg_rtn_b32 s0, sendmsg(MSG_RTN_GET_DOORBELL)
	s_mov_b32 ttmp2, m0
	s_waitcnt lgkmcnt(0)
	s_and_b32 s0, s0, 0x3ff
	s_delay_alu instid0(SALU_CYCLE_1) | instskip(NEXT) | instid1(SALU_CYCLE_1)
	s_bitset1_b32 s0, 10
	s_mov_b32 m0, s0
	s_sendmsg sendmsg(MSG_INTERRUPT)
	s_mov_b32 m0, ttmp2
.LBB4_6420:                             ; =>This Inner Loop Header: Depth=1
	s_sethalt 5
	s_branch .LBB4_6420
.LBB4_6421:
	s_trap 2
	s_sendmsg_rtn_b32 s0, sendmsg(MSG_RTN_GET_DOORBELL)
	s_mov_b32 ttmp2, m0
	s_waitcnt lgkmcnt(0)
	s_and_b32 s0, s0, 0x3ff
	s_delay_alu instid0(SALU_CYCLE_1) | instskip(NEXT) | instid1(SALU_CYCLE_1)
	s_bitset1_b32 s0, 10
	s_mov_b32 m0, s0
	s_sendmsg sendmsg(MSG_INTERRUPT)
	s_mov_b32 m0, ttmp2
.LBB4_6422:                             ; =>This Inner Loop Header: Depth=1
	s_sethalt 5
	s_branch .LBB4_6422
.LBB4_6423:
	s_trap 2
	s_sendmsg_rtn_b32 s0, sendmsg(MSG_RTN_GET_DOORBELL)
	s_mov_b32 ttmp2, m0
	s_waitcnt lgkmcnt(0)
	s_and_b32 s0, s0, 0x3ff
	s_delay_alu instid0(SALU_CYCLE_1) | instskip(NEXT) | instid1(SALU_CYCLE_1)
	s_bitset1_b32 s0, 10
	s_mov_b32 m0, s0
	s_sendmsg sendmsg(MSG_INTERRUPT)
	s_mov_b32 m0, ttmp2
.LBB4_6424:                             ; =>This Inner Loop Header: Depth=1
	s_sethalt 5
	s_branch .LBB4_6424
.LBB4_6425:
	s_trap 2
	s_sendmsg_rtn_b32 s0, sendmsg(MSG_RTN_GET_DOORBELL)
	s_mov_b32 ttmp2, m0
	s_waitcnt lgkmcnt(0)
	s_and_b32 s0, s0, 0x3ff
	s_delay_alu instid0(SALU_CYCLE_1) | instskip(NEXT) | instid1(SALU_CYCLE_1)
	s_bitset1_b32 s0, 10
	s_mov_b32 m0, s0
	s_sendmsg sendmsg(MSG_INTERRUPT)
	s_mov_b32 m0, ttmp2
.LBB4_6426:                             ; =>This Inner Loop Header: Depth=1
	s_sethalt 5
	s_branch .LBB4_6426
.LBB4_6427:
	s_trap 2
	s_sendmsg_rtn_b32 s0, sendmsg(MSG_RTN_GET_DOORBELL)
	s_mov_b32 ttmp2, m0
	s_waitcnt lgkmcnt(0)
	s_and_b32 s0, s0, 0x3ff
	s_delay_alu instid0(SALU_CYCLE_1) | instskip(NEXT) | instid1(SALU_CYCLE_1)
	s_bitset1_b32 s0, 10
	s_mov_b32 m0, s0
	s_sendmsg sendmsg(MSG_INTERRUPT)
	s_mov_b32 m0, ttmp2
.LBB4_6428:                             ; =>This Inner Loop Header: Depth=1
	s_sethalt 5
	s_branch .LBB4_6428
.LBB4_6429:
	s_trap 2
	s_sendmsg_rtn_b32 s0, sendmsg(MSG_RTN_GET_DOORBELL)
	s_mov_b32 ttmp2, m0
	s_waitcnt lgkmcnt(0)
	s_and_b32 s0, s0, 0x3ff
	s_delay_alu instid0(SALU_CYCLE_1) | instskip(NEXT) | instid1(SALU_CYCLE_1)
	s_bitset1_b32 s0, 10
	s_mov_b32 m0, s0
	s_sendmsg sendmsg(MSG_INTERRUPT)
	s_mov_b32 m0, ttmp2
.LBB4_6430:                             ; =>This Inner Loop Header: Depth=1
	s_sethalt 5
	s_branch .LBB4_6430
.LBB4_6431:
	s_trap 2
	s_sendmsg_rtn_b32 s0, sendmsg(MSG_RTN_GET_DOORBELL)
	s_mov_b32 ttmp2, m0
	s_waitcnt lgkmcnt(0)
	s_and_b32 s0, s0, 0x3ff
	s_delay_alu instid0(SALU_CYCLE_1) | instskip(NEXT) | instid1(SALU_CYCLE_1)
	s_bitset1_b32 s0, 10
	s_mov_b32 m0, s0
	s_sendmsg sendmsg(MSG_INTERRUPT)
	s_mov_b32 m0, ttmp2
.LBB4_6432:                             ; =>This Inner Loop Header: Depth=1
	s_sethalt 5
	s_branch .LBB4_6432
.LBB4_6433:
	s_trap 2
	s_sendmsg_rtn_b32 s0, sendmsg(MSG_RTN_GET_DOORBELL)
	s_mov_b32 ttmp2, m0
	s_waitcnt lgkmcnt(0)
	s_and_b32 s0, s0, 0x3ff
	s_delay_alu instid0(SALU_CYCLE_1) | instskip(NEXT) | instid1(SALU_CYCLE_1)
	s_bitset1_b32 s0, 10
	s_mov_b32 m0, s0
	s_sendmsg sendmsg(MSG_INTERRUPT)
	s_mov_b32 m0, ttmp2
.LBB4_6434:                             ; =>This Inner Loop Header: Depth=1
	s_sethalt 5
	s_branch .LBB4_6434
.LBB4_6435:
	s_trap 2
	s_sendmsg_rtn_b32 s0, sendmsg(MSG_RTN_GET_DOORBELL)
	s_mov_b32 ttmp2, m0
	s_waitcnt lgkmcnt(0)
	s_and_b32 s0, s0, 0x3ff
	s_delay_alu instid0(SALU_CYCLE_1) | instskip(NEXT) | instid1(SALU_CYCLE_1)
	s_bitset1_b32 s0, 10
	s_mov_b32 m0, s0
	s_sendmsg sendmsg(MSG_INTERRUPT)
	s_mov_b32 m0, ttmp2
.LBB4_6436:                             ; =>This Inner Loop Header: Depth=1
	s_sethalt 5
	s_branch .LBB4_6436
.LBB4_6437:
	s_trap 2
	s_sendmsg_rtn_b32 s0, sendmsg(MSG_RTN_GET_DOORBELL)
	s_mov_b32 ttmp2, m0
	s_waitcnt lgkmcnt(0)
	s_and_b32 s0, s0, 0x3ff
	s_delay_alu instid0(SALU_CYCLE_1) | instskip(NEXT) | instid1(SALU_CYCLE_1)
	s_bitset1_b32 s0, 10
	s_mov_b32 m0, s0
	s_sendmsg sendmsg(MSG_INTERRUPT)
	s_mov_b32 m0, ttmp2
.LBB4_6438:                             ; =>This Inner Loop Header: Depth=1
	s_sethalt 5
	s_branch .LBB4_6438
.LBB4_6439:
	s_trap 2
	s_sendmsg_rtn_b32 s0, sendmsg(MSG_RTN_GET_DOORBELL)
	s_mov_b32 ttmp2, m0
	s_waitcnt lgkmcnt(0)
	s_and_b32 s0, s0, 0x3ff
	s_delay_alu instid0(SALU_CYCLE_1) | instskip(NEXT) | instid1(SALU_CYCLE_1)
	s_bitset1_b32 s0, 10
	s_mov_b32 m0, s0
	s_sendmsg sendmsg(MSG_INTERRUPT)
	s_mov_b32 m0, ttmp2
.LBB4_6440:                             ; =>This Inner Loop Header: Depth=1
	s_sethalt 5
	s_branch .LBB4_6440
.LBB4_6441:
	s_trap 2
	s_sendmsg_rtn_b32 s0, sendmsg(MSG_RTN_GET_DOORBELL)
	s_mov_b32 ttmp2, m0
	s_waitcnt lgkmcnt(0)
	s_and_b32 s0, s0, 0x3ff
	s_delay_alu instid0(SALU_CYCLE_1) | instskip(NEXT) | instid1(SALU_CYCLE_1)
	s_bitset1_b32 s0, 10
	s_mov_b32 m0, s0
	s_sendmsg sendmsg(MSG_INTERRUPT)
	s_mov_b32 m0, ttmp2
.LBB4_6442:                             ; =>This Inner Loop Header: Depth=1
	s_sethalt 5
	s_branch .LBB4_6442
.LBB4_6443:
	s_trap 2
	s_sendmsg_rtn_b32 s0, sendmsg(MSG_RTN_GET_DOORBELL)
	s_mov_b32 ttmp2, m0
	s_waitcnt lgkmcnt(0)
	s_and_b32 s0, s0, 0x3ff
	s_delay_alu instid0(SALU_CYCLE_1) | instskip(NEXT) | instid1(SALU_CYCLE_1)
	s_bitset1_b32 s0, 10
	s_mov_b32 m0, s0
	s_sendmsg sendmsg(MSG_INTERRUPT)
	s_mov_b32 m0, ttmp2
.LBB4_6444:                             ; =>This Inner Loop Header: Depth=1
	s_sethalt 5
	s_branch .LBB4_6444
.LBB4_6445:
	s_trap 2
	s_sendmsg_rtn_b32 s0, sendmsg(MSG_RTN_GET_DOORBELL)
	s_mov_b32 ttmp2, m0
	s_waitcnt lgkmcnt(0)
	s_and_b32 s0, s0, 0x3ff
	s_delay_alu instid0(SALU_CYCLE_1) | instskip(NEXT) | instid1(SALU_CYCLE_1)
	s_bitset1_b32 s0, 10
	s_mov_b32 m0, s0
	s_sendmsg sendmsg(MSG_INTERRUPT)
	s_mov_b32 m0, ttmp2
.LBB4_6446:                             ; =>This Inner Loop Header: Depth=1
	s_sethalt 5
	s_branch .LBB4_6446
.LBB4_6447:
	s_trap 2
	s_sendmsg_rtn_b32 s0, sendmsg(MSG_RTN_GET_DOORBELL)
	s_mov_b32 ttmp2, m0
	s_waitcnt lgkmcnt(0)
	s_and_b32 s0, s0, 0x3ff
	s_delay_alu instid0(SALU_CYCLE_1) | instskip(NEXT) | instid1(SALU_CYCLE_1)
	s_bitset1_b32 s0, 10
	s_mov_b32 m0, s0
	s_sendmsg sendmsg(MSG_INTERRUPT)
	s_mov_b32 m0, ttmp2
.LBB4_6448:                             ; =>This Inner Loop Header: Depth=1
	s_sethalt 5
	s_branch .LBB4_6448
.LBB4_6449:
	s_trap 2
	s_sendmsg_rtn_b32 s0, sendmsg(MSG_RTN_GET_DOORBELL)
	s_mov_b32 ttmp2, m0
	s_waitcnt lgkmcnt(0)
	s_and_b32 s0, s0, 0x3ff
	s_delay_alu instid0(SALU_CYCLE_1) | instskip(NEXT) | instid1(SALU_CYCLE_1)
	s_bitset1_b32 s0, 10
	s_mov_b32 m0, s0
	s_sendmsg sendmsg(MSG_INTERRUPT)
	s_mov_b32 m0, ttmp2
.LBB4_6450:                             ; =>This Inner Loop Header: Depth=1
	s_sethalt 5
	s_branch .LBB4_6450
.LBB4_6451:
	s_trap 2
	s_sendmsg_rtn_b32 s0, sendmsg(MSG_RTN_GET_DOORBELL)
	s_mov_b32 ttmp2, m0
	s_waitcnt lgkmcnt(0)
	s_and_b32 s0, s0, 0x3ff
	s_delay_alu instid0(SALU_CYCLE_1) | instskip(NEXT) | instid1(SALU_CYCLE_1)
	s_bitset1_b32 s0, 10
	s_mov_b32 m0, s0
	s_sendmsg sendmsg(MSG_INTERRUPT)
	s_mov_b32 m0, ttmp2
.LBB4_6452:                             ; =>This Inner Loop Header: Depth=1
	s_sethalt 5
	s_branch .LBB4_6452
.LBB4_6453:
	s_trap 2
	s_sendmsg_rtn_b32 s0, sendmsg(MSG_RTN_GET_DOORBELL)
	s_mov_b32 ttmp2, m0
	s_waitcnt lgkmcnt(0)
	s_and_b32 s0, s0, 0x3ff
	s_delay_alu instid0(SALU_CYCLE_1) | instskip(NEXT) | instid1(SALU_CYCLE_1)
	s_bitset1_b32 s0, 10
	s_mov_b32 m0, s0
	s_sendmsg sendmsg(MSG_INTERRUPT)
	s_mov_b32 m0, ttmp2
.LBB4_6454:                             ; =>This Inner Loop Header: Depth=1
	s_sethalt 5
	s_branch .LBB4_6454
.LBB4_6455:
	s_trap 2
	s_sendmsg_rtn_b32 s0, sendmsg(MSG_RTN_GET_DOORBELL)
	s_mov_b32 ttmp2, m0
	s_waitcnt lgkmcnt(0)
	s_and_b32 s0, s0, 0x3ff
	s_delay_alu instid0(SALU_CYCLE_1) | instskip(NEXT) | instid1(SALU_CYCLE_1)
	s_bitset1_b32 s0, 10
	s_mov_b32 m0, s0
	s_sendmsg sendmsg(MSG_INTERRUPT)
	s_mov_b32 m0, ttmp2
.LBB4_6456:                             ; =>This Inner Loop Header: Depth=1
	s_sethalt 5
	s_branch .LBB4_6456
.LBB4_6457:
	s_trap 2
	s_sendmsg_rtn_b32 s0, sendmsg(MSG_RTN_GET_DOORBELL)
	s_mov_b32 ttmp2, m0
	s_waitcnt lgkmcnt(0)
	s_and_b32 s0, s0, 0x3ff
	s_delay_alu instid0(SALU_CYCLE_1) | instskip(NEXT) | instid1(SALU_CYCLE_1)
	s_bitset1_b32 s0, 10
	s_mov_b32 m0, s0
	s_sendmsg sendmsg(MSG_INTERRUPT)
	s_mov_b32 m0, ttmp2
.LBB4_6458:                             ; =>This Inner Loop Header: Depth=1
	s_sethalt 5
	s_branch .LBB4_6458
.LBB4_6459:
	s_trap 2
	s_sendmsg_rtn_b32 s0, sendmsg(MSG_RTN_GET_DOORBELL)
	s_mov_b32 ttmp2, m0
	s_waitcnt lgkmcnt(0)
	s_and_b32 s0, s0, 0x3ff
	s_delay_alu instid0(SALU_CYCLE_1) | instskip(NEXT) | instid1(SALU_CYCLE_1)
	s_bitset1_b32 s0, 10
	s_mov_b32 m0, s0
	s_sendmsg sendmsg(MSG_INTERRUPT)
	s_mov_b32 m0, ttmp2
.LBB4_6460:                             ; =>This Inner Loop Header: Depth=1
	s_sethalt 5
	s_branch .LBB4_6460
.LBB4_6461:
	s_trap 2
	s_sendmsg_rtn_b32 s0, sendmsg(MSG_RTN_GET_DOORBELL)
	s_mov_b32 ttmp2, m0
	s_waitcnt lgkmcnt(0)
	s_and_b32 s0, s0, 0x3ff
	s_delay_alu instid0(SALU_CYCLE_1) | instskip(NEXT) | instid1(SALU_CYCLE_1)
	s_bitset1_b32 s0, 10
	s_mov_b32 m0, s0
	s_sendmsg sendmsg(MSG_INTERRUPT)
	s_mov_b32 m0, ttmp2
.LBB4_6462:                             ; =>This Inner Loop Header: Depth=1
	s_sethalt 5
	s_branch .LBB4_6462
.LBB4_6463:
	s_trap 2
	s_sendmsg_rtn_b32 s0, sendmsg(MSG_RTN_GET_DOORBELL)
	s_mov_b32 ttmp2, m0
	s_waitcnt lgkmcnt(0)
	s_and_b32 s0, s0, 0x3ff
	s_delay_alu instid0(SALU_CYCLE_1) | instskip(NEXT) | instid1(SALU_CYCLE_1)
	s_bitset1_b32 s0, 10
	s_mov_b32 m0, s0
	s_sendmsg sendmsg(MSG_INTERRUPT)
	s_mov_b32 m0, ttmp2
.LBB4_6464:                             ; =>This Inner Loop Header: Depth=1
	s_sethalt 5
	s_branch .LBB4_6464
.LBB4_6465:
	s_trap 2
	s_sendmsg_rtn_b32 s0, sendmsg(MSG_RTN_GET_DOORBELL)
	s_mov_b32 ttmp2, m0
	s_waitcnt lgkmcnt(0)
	s_and_b32 s0, s0, 0x3ff
	s_delay_alu instid0(SALU_CYCLE_1) | instskip(NEXT) | instid1(SALU_CYCLE_1)
	s_bitset1_b32 s0, 10
	s_mov_b32 m0, s0
	s_sendmsg sendmsg(MSG_INTERRUPT)
	s_mov_b32 m0, ttmp2
.LBB4_6466:                             ; =>This Inner Loop Header: Depth=1
	s_sethalt 5
	s_branch .LBB4_6466
.LBB4_6467:
	s_trap 2
	s_sendmsg_rtn_b32 s0, sendmsg(MSG_RTN_GET_DOORBELL)
	s_mov_b32 ttmp2, m0
	s_waitcnt lgkmcnt(0)
	s_and_b32 s0, s0, 0x3ff
	s_delay_alu instid0(SALU_CYCLE_1) | instskip(NEXT) | instid1(SALU_CYCLE_1)
	s_bitset1_b32 s0, 10
	s_mov_b32 m0, s0
	s_sendmsg sendmsg(MSG_INTERRUPT)
	s_mov_b32 m0, ttmp2
.LBB4_6468:                             ; =>This Inner Loop Header: Depth=1
	s_sethalt 5
	s_branch .LBB4_6468
.LBB4_6469:
	s_trap 2
	s_sendmsg_rtn_b32 s0, sendmsg(MSG_RTN_GET_DOORBELL)
	s_mov_b32 ttmp2, m0
	s_waitcnt lgkmcnt(0)
	s_and_b32 s0, s0, 0x3ff
	s_delay_alu instid0(SALU_CYCLE_1) | instskip(NEXT) | instid1(SALU_CYCLE_1)
	s_bitset1_b32 s0, 10
	s_mov_b32 m0, s0
	s_sendmsg sendmsg(MSG_INTERRUPT)
	s_mov_b32 m0, ttmp2
.LBB4_6470:                             ; =>This Inner Loop Header: Depth=1
	s_sethalt 5
	s_branch .LBB4_6470
.LBB4_6471:
	s_trap 2
	s_sendmsg_rtn_b32 s0, sendmsg(MSG_RTN_GET_DOORBELL)
	s_mov_b32 ttmp2, m0
	s_waitcnt lgkmcnt(0)
	s_and_b32 s0, s0, 0x3ff
	s_delay_alu instid0(SALU_CYCLE_1) | instskip(NEXT) | instid1(SALU_CYCLE_1)
	s_bitset1_b32 s0, 10
	s_mov_b32 m0, s0
	s_sendmsg sendmsg(MSG_INTERRUPT)
	s_mov_b32 m0, ttmp2
.LBB4_6472:                             ; =>This Inner Loop Header: Depth=1
	s_sethalt 5
	s_branch .LBB4_6472
.LBB4_6473:
	s_trap 2
	s_sendmsg_rtn_b32 s0, sendmsg(MSG_RTN_GET_DOORBELL)
	s_mov_b32 ttmp2, m0
	s_waitcnt lgkmcnt(0)
	s_and_b32 s0, s0, 0x3ff
	s_delay_alu instid0(SALU_CYCLE_1) | instskip(NEXT) | instid1(SALU_CYCLE_1)
	s_bitset1_b32 s0, 10
	s_mov_b32 m0, s0
	s_sendmsg sendmsg(MSG_INTERRUPT)
	s_mov_b32 m0, ttmp2
.LBB4_6474:                             ; =>This Inner Loop Header: Depth=1
	s_sethalt 5
	s_branch .LBB4_6474
.LBB4_6475:
	s_trap 2
	s_sendmsg_rtn_b32 s0, sendmsg(MSG_RTN_GET_DOORBELL)
	s_mov_b32 ttmp2, m0
	s_waitcnt lgkmcnt(0)
	s_and_b32 s0, s0, 0x3ff
	s_delay_alu instid0(SALU_CYCLE_1) | instskip(NEXT) | instid1(SALU_CYCLE_1)
	s_bitset1_b32 s0, 10
	s_mov_b32 m0, s0
	s_sendmsg sendmsg(MSG_INTERRUPT)
	s_mov_b32 m0, ttmp2
.LBB4_6476:                             ; =>This Inner Loop Header: Depth=1
	s_sethalt 5
	s_branch .LBB4_6476
.LBB4_6477:
	s_trap 2
	s_sendmsg_rtn_b32 s0, sendmsg(MSG_RTN_GET_DOORBELL)
	s_mov_b32 ttmp2, m0
	s_waitcnt lgkmcnt(0)
	s_and_b32 s0, s0, 0x3ff
	s_delay_alu instid0(SALU_CYCLE_1) | instskip(NEXT) | instid1(SALU_CYCLE_1)
	s_bitset1_b32 s0, 10
	s_mov_b32 m0, s0
	s_sendmsg sendmsg(MSG_INTERRUPT)
	s_mov_b32 m0, ttmp2
.LBB4_6478:                             ; =>This Inner Loop Header: Depth=1
	s_sethalt 5
	s_branch .LBB4_6478
.LBB4_6479:
	s_trap 2
	s_sendmsg_rtn_b32 s0, sendmsg(MSG_RTN_GET_DOORBELL)
	s_mov_b32 ttmp2, m0
	s_waitcnt lgkmcnt(0)
	s_and_b32 s0, s0, 0x3ff
	s_delay_alu instid0(SALU_CYCLE_1) | instskip(NEXT) | instid1(SALU_CYCLE_1)
	s_bitset1_b32 s0, 10
	s_mov_b32 m0, s0
	s_sendmsg sendmsg(MSG_INTERRUPT)
	s_mov_b32 m0, ttmp2
.LBB4_6480:                             ; =>This Inner Loop Header: Depth=1
	s_sethalt 5
	s_branch .LBB4_6480
.LBB4_6481:
	s_trap 2
	s_sendmsg_rtn_b32 s0, sendmsg(MSG_RTN_GET_DOORBELL)
	s_mov_b32 ttmp2, m0
	s_waitcnt lgkmcnt(0)
	s_and_b32 s0, s0, 0x3ff
	s_delay_alu instid0(SALU_CYCLE_1) | instskip(NEXT) | instid1(SALU_CYCLE_1)
	s_bitset1_b32 s0, 10
	s_mov_b32 m0, s0
	s_sendmsg sendmsg(MSG_INTERRUPT)
	s_mov_b32 m0, ttmp2
.LBB4_6482:                             ; =>This Inner Loop Header: Depth=1
	s_sethalt 5
	s_branch .LBB4_6482
.LBB4_6483:
	s_trap 2
	s_sendmsg_rtn_b32 s0, sendmsg(MSG_RTN_GET_DOORBELL)
	s_mov_b32 ttmp2, m0
	s_waitcnt lgkmcnt(0)
	s_and_b32 s0, s0, 0x3ff
	s_delay_alu instid0(SALU_CYCLE_1) | instskip(NEXT) | instid1(SALU_CYCLE_1)
	s_bitset1_b32 s0, 10
	s_mov_b32 m0, s0
	s_sendmsg sendmsg(MSG_INTERRUPT)
	s_mov_b32 m0, ttmp2
.LBB4_6484:                             ; =>This Inner Loop Header: Depth=1
	s_sethalt 5
	s_branch .LBB4_6484
.LBB4_6485:
	s_trap 2
	s_sendmsg_rtn_b32 s0, sendmsg(MSG_RTN_GET_DOORBELL)
	s_mov_b32 ttmp2, m0
	s_waitcnt lgkmcnt(0)
	s_and_b32 s0, s0, 0x3ff
	s_delay_alu instid0(SALU_CYCLE_1) | instskip(NEXT) | instid1(SALU_CYCLE_1)
	s_bitset1_b32 s0, 10
	s_mov_b32 m0, s0
	s_sendmsg sendmsg(MSG_INTERRUPT)
	s_mov_b32 m0, ttmp2
.LBB4_6486:                             ; =>This Inner Loop Header: Depth=1
	s_sethalt 5
	s_branch .LBB4_6486
.LBB4_6487:
	s_trap 2
	s_sendmsg_rtn_b32 s0, sendmsg(MSG_RTN_GET_DOORBELL)
	s_mov_b32 ttmp2, m0
	s_waitcnt lgkmcnt(0)
	s_and_b32 s0, s0, 0x3ff
	s_delay_alu instid0(SALU_CYCLE_1) | instskip(NEXT) | instid1(SALU_CYCLE_1)
	s_bitset1_b32 s0, 10
	s_mov_b32 m0, s0
	s_sendmsg sendmsg(MSG_INTERRUPT)
	s_mov_b32 m0, ttmp2
.LBB4_6488:                             ; =>This Inner Loop Header: Depth=1
	s_sethalt 5
	s_branch .LBB4_6488
.LBB4_6489:
	s_trap 2
	s_sendmsg_rtn_b32 s0, sendmsg(MSG_RTN_GET_DOORBELL)
	s_mov_b32 ttmp2, m0
	s_waitcnt lgkmcnt(0)
	s_and_b32 s0, s0, 0x3ff
	s_delay_alu instid0(SALU_CYCLE_1) | instskip(NEXT) | instid1(SALU_CYCLE_1)
	s_bitset1_b32 s0, 10
	s_mov_b32 m0, s0
	s_sendmsg sendmsg(MSG_INTERRUPT)
	s_mov_b32 m0, ttmp2
.LBB4_6490:                             ; =>This Inner Loop Header: Depth=1
	s_sethalt 5
	s_branch .LBB4_6490
.LBB4_6491:
	s_trap 2
	s_sendmsg_rtn_b32 s0, sendmsg(MSG_RTN_GET_DOORBELL)
	s_mov_b32 ttmp2, m0
	s_waitcnt lgkmcnt(0)
	s_and_b32 s0, s0, 0x3ff
	s_delay_alu instid0(SALU_CYCLE_1) | instskip(NEXT) | instid1(SALU_CYCLE_1)
	s_bitset1_b32 s0, 10
	s_mov_b32 m0, s0
	s_sendmsg sendmsg(MSG_INTERRUPT)
	s_mov_b32 m0, ttmp2
.LBB4_6492:                             ; =>This Inner Loop Header: Depth=1
	s_sethalt 5
	s_branch .LBB4_6492
.LBB4_6493:
	s_trap 2
	s_sendmsg_rtn_b32 s0, sendmsg(MSG_RTN_GET_DOORBELL)
	s_mov_b32 ttmp2, m0
	s_waitcnt lgkmcnt(0)
	s_and_b32 s0, s0, 0x3ff
	s_delay_alu instid0(SALU_CYCLE_1) | instskip(NEXT) | instid1(SALU_CYCLE_1)
	s_bitset1_b32 s0, 10
	s_mov_b32 m0, s0
	s_sendmsg sendmsg(MSG_INTERRUPT)
	s_mov_b32 m0, ttmp2
.LBB4_6494:                             ; =>This Inner Loop Header: Depth=1
	s_sethalt 5
	s_branch .LBB4_6494
.LBB4_6495:
	s_trap 2
	s_sendmsg_rtn_b32 s0, sendmsg(MSG_RTN_GET_DOORBELL)
	s_mov_b32 ttmp2, m0
	s_waitcnt lgkmcnt(0)
	s_and_b32 s0, s0, 0x3ff
	s_delay_alu instid0(SALU_CYCLE_1) | instskip(NEXT) | instid1(SALU_CYCLE_1)
	s_bitset1_b32 s0, 10
	s_mov_b32 m0, s0
	s_sendmsg sendmsg(MSG_INTERRUPT)
	s_mov_b32 m0, ttmp2
.LBB4_6496:                             ; =>This Inner Loop Header: Depth=1
	s_sethalt 5
	s_branch .LBB4_6496
.LBB4_6497:
	s_trap 2
	s_sendmsg_rtn_b32 s0, sendmsg(MSG_RTN_GET_DOORBELL)
	s_mov_b32 ttmp2, m0
	s_waitcnt lgkmcnt(0)
	s_and_b32 s0, s0, 0x3ff
	s_delay_alu instid0(SALU_CYCLE_1) | instskip(NEXT) | instid1(SALU_CYCLE_1)
	s_bitset1_b32 s0, 10
	s_mov_b32 m0, s0
	s_sendmsg sendmsg(MSG_INTERRUPT)
	s_mov_b32 m0, ttmp2
.LBB4_6498:                             ; =>This Inner Loop Header: Depth=1
	s_sethalt 5
	s_branch .LBB4_6498
.LBB4_6499:
	s_trap 2
	s_sendmsg_rtn_b32 s0, sendmsg(MSG_RTN_GET_DOORBELL)
	s_mov_b32 ttmp2, m0
	s_waitcnt lgkmcnt(0)
	s_and_b32 s0, s0, 0x3ff
	s_delay_alu instid0(SALU_CYCLE_1) | instskip(NEXT) | instid1(SALU_CYCLE_1)
	s_bitset1_b32 s0, 10
	s_mov_b32 m0, s0
	s_sendmsg sendmsg(MSG_INTERRUPT)
	s_mov_b32 m0, ttmp2
.LBB4_6500:                             ; =>This Inner Loop Header: Depth=1
	s_sethalt 5
	s_branch .LBB4_6500
.LBB4_6501:
	s_trap 2
	s_sendmsg_rtn_b32 s0, sendmsg(MSG_RTN_GET_DOORBELL)
	s_mov_b32 ttmp2, m0
	s_waitcnt lgkmcnt(0)
	s_and_b32 s0, s0, 0x3ff
	s_delay_alu instid0(SALU_CYCLE_1) | instskip(NEXT) | instid1(SALU_CYCLE_1)
	s_bitset1_b32 s0, 10
	s_mov_b32 m0, s0
	s_sendmsg sendmsg(MSG_INTERRUPT)
	s_mov_b32 m0, ttmp2
.LBB4_6502:                             ; =>This Inner Loop Header: Depth=1
	s_sethalt 5
	s_branch .LBB4_6502
.LBB4_6503:
	s_trap 2
	s_sendmsg_rtn_b32 s0, sendmsg(MSG_RTN_GET_DOORBELL)
	s_mov_b32 ttmp2, m0
	s_waitcnt lgkmcnt(0)
	s_and_b32 s0, s0, 0x3ff
	s_delay_alu instid0(SALU_CYCLE_1) | instskip(NEXT) | instid1(SALU_CYCLE_1)
	s_bitset1_b32 s0, 10
	s_mov_b32 m0, s0
	s_sendmsg sendmsg(MSG_INTERRUPT)
	s_mov_b32 m0, ttmp2
.LBB4_6504:                             ; =>This Inner Loop Header: Depth=1
	s_sethalt 5
	s_branch .LBB4_6504
.LBB4_6505:
	s_trap 2
	s_sendmsg_rtn_b32 s0, sendmsg(MSG_RTN_GET_DOORBELL)
	s_mov_b32 ttmp2, m0
	s_waitcnt lgkmcnt(0)
	s_and_b32 s0, s0, 0x3ff
	s_delay_alu instid0(SALU_CYCLE_1) | instskip(NEXT) | instid1(SALU_CYCLE_1)
	s_bitset1_b32 s0, 10
	s_mov_b32 m0, s0
	s_sendmsg sendmsg(MSG_INTERRUPT)
	s_mov_b32 m0, ttmp2
.LBB4_6506:                             ; =>This Inner Loop Header: Depth=1
	s_sethalt 5
	s_branch .LBB4_6506
.LBB4_6507:
	s_trap 2
	s_sendmsg_rtn_b32 s0, sendmsg(MSG_RTN_GET_DOORBELL)
	s_mov_b32 ttmp2, m0
	s_waitcnt lgkmcnt(0)
	s_and_b32 s0, s0, 0x3ff
	s_delay_alu instid0(SALU_CYCLE_1) | instskip(NEXT) | instid1(SALU_CYCLE_1)
	s_bitset1_b32 s0, 10
	s_mov_b32 m0, s0
	s_sendmsg sendmsg(MSG_INTERRUPT)
	s_mov_b32 m0, ttmp2
.LBB4_6508:                             ; =>This Inner Loop Header: Depth=1
	s_sethalt 5
	s_branch .LBB4_6508
.LBB4_6509:
	s_trap 2
	s_sendmsg_rtn_b32 s0, sendmsg(MSG_RTN_GET_DOORBELL)
	s_mov_b32 ttmp2, m0
	s_waitcnt lgkmcnt(0)
	s_and_b32 s0, s0, 0x3ff
	s_delay_alu instid0(SALU_CYCLE_1) | instskip(NEXT) | instid1(SALU_CYCLE_1)
	s_bitset1_b32 s0, 10
	s_mov_b32 m0, s0
	s_sendmsg sendmsg(MSG_INTERRUPT)
	s_mov_b32 m0, ttmp2
.LBB4_6510:                             ; =>This Inner Loop Header: Depth=1
	s_sethalt 5
	s_branch .LBB4_6510
.LBB4_6511:
	s_trap 2
	s_sendmsg_rtn_b32 s0, sendmsg(MSG_RTN_GET_DOORBELL)
	s_mov_b32 ttmp2, m0
	s_waitcnt lgkmcnt(0)
	s_and_b32 s0, s0, 0x3ff
	s_delay_alu instid0(SALU_CYCLE_1) | instskip(NEXT) | instid1(SALU_CYCLE_1)
	s_bitset1_b32 s0, 10
	s_mov_b32 m0, s0
	s_sendmsg sendmsg(MSG_INTERRUPT)
	s_mov_b32 m0, ttmp2
.LBB4_6512:                             ; =>This Inner Loop Header: Depth=1
	s_sethalt 5
	s_branch .LBB4_6512
.LBB4_6513:
	s_trap 2
	s_sendmsg_rtn_b32 s0, sendmsg(MSG_RTN_GET_DOORBELL)
	s_mov_b32 ttmp2, m0
	s_waitcnt lgkmcnt(0)
	s_and_b32 s0, s0, 0x3ff
	s_delay_alu instid0(SALU_CYCLE_1) | instskip(NEXT) | instid1(SALU_CYCLE_1)
	s_bitset1_b32 s0, 10
	s_mov_b32 m0, s0
	s_sendmsg sendmsg(MSG_INTERRUPT)
	s_mov_b32 m0, ttmp2
.LBB4_6514:                             ; =>This Inner Loop Header: Depth=1
	s_sethalt 5
	s_branch .LBB4_6514
.LBB4_6515:
	s_trap 2
	s_sendmsg_rtn_b32 s0, sendmsg(MSG_RTN_GET_DOORBELL)
	s_mov_b32 ttmp2, m0
	s_waitcnt lgkmcnt(0)
	s_and_b32 s0, s0, 0x3ff
	s_delay_alu instid0(SALU_CYCLE_1) | instskip(NEXT) | instid1(SALU_CYCLE_1)
	s_bitset1_b32 s0, 10
	s_mov_b32 m0, s0
	s_sendmsg sendmsg(MSG_INTERRUPT)
	s_mov_b32 m0, ttmp2
.LBB4_6516:                             ; =>This Inner Loop Header: Depth=1
	s_sethalt 5
	s_branch .LBB4_6516
.LBB4_6517:
	s_trap 2
	s_sendmsg_rtn_b32 s0, sendmsg(MSG_RTN_GET_DOORBELL)
	s_mov_b32 ttmp2, m0
	s_waitcnt lgkmcnt(0)
	s_and_b32 s0, s0, 0x3ff
	s_delay_alu instid0(SALU_CYCLE_1) | instskip(NEXT) | instid1(SALU_CYCLE_1)
	s_bitset1_b32 s0, 10
	s_mov_b32 m0, s0
	s_sendmsg sendmsg(MSG_INTERRUPT)
	s_mov_b32 m0, ttmp2
.LBB4_6518:                             ; =>This Inner Loop Header: Depth=1
	s_sethalt 5
	s_branch .LBB4_6518
.LBB4_6519:
	s_trap 2
	s_sendmsg_rtn_b32 s0, sendmsg(MSG_RTN_GET_DOORBELL)
	s_mov_b32 ttmp2, m0
	s_waitcnt lgkmcnt(0)
	s_and_b32 s0, s0, 0x3ff
	s_delay_alu instid0(SALU_CYCLE_1) | instskip(NEXT) | instid1(SALU_CYCLE_1)
	s_bitset1_b32 s0, 10
	s_mov_b32 m0, s0
	s_sendmsg sendmsg(MSG_INTERRUPT)
	s_mov_b32 m0, ttmp2
.LBB4_6520:                             ; =>This Inner Loop Header: Depth=1
	s_sethalt 5
	s_branch .LBB4_6520
.LBB4_6521:
	s_trap 2
	s_sendmsg_rtn_b32 s0, sendmsg(MSG_RTN_GET_DOORBELL)
	s_mov_b32 ttmp2, m0
	s_waitcnt lgkmcnt(0)
	s_and_b32 s0, s0, 0x3ff
	s_delay_alu instid0(SALU_CYCLE_1) | instskip(NEXT) | instid1(SALU_CYCLE_1)
	s_bitset1_b32 s0, 10
	s_mov_b32 m0, s0
	s_sendmsg sendmsg(MSG_INTERRUPT)
	s_mov_b32 m0, ttmp2
.LBB4_6522:                             ; =>This Inner Loop Header: Depth=1
	s_sethalt 5
	s_branch .LBB4_6522
.LBB4_6523:
	s_trap 2
	s_sendmsg_rtn_b32 s0, sendmsg(MSG_RTN_GET_DOORBELL)
	s_mov_b32 ttmp2, m0
	s_waitcnt lgkmcnt(0)
	s_and_b32 s0, s0, 0x3ff
	s_delay_alu instid0(SALU_CYCLE_1) | instskip(NEXT) | instid1(SALU_CYCLE_1)
	s_bitset1_b32 s0, 10
	s_mov_b32 m0, s0
	s_sendmsg sendmsg(MSG_INTERRUPT)
	s_mov_b32 m0, ttmp2
.LBB4_6524:                             ; =>This Inner Loop Header: Depth=1
	s_sethalt 5
	s_branch .LBB4_6524
.LBB4_6525:
	s_trap 2
	s_sendmsg_rtn_b32 s0, sendmsg(MSG_RTN_GET_DOORBELL)
	s_mov_b32 ttmp2, m0
	s_waitcnt lgkmcnt(0)
	s_and_b32 s0, s0, 0x3ff
	s_delay_alu instid0(SALU_CYCLE_1) | instskip(NEXT) | instid1(SALU_CYCLE_1)
	s_bitset1_b32 s0, 10
	s_mov_b32 m0, s0
	s_sendmsg sendmsg(MSG_INTERRUPT)
	s_mov_b32 m0, ttmp2
.LBB4_6526:                             ; =>This Inner Loop Header: Depth=1
	s_sethalt 5
	s_branch .LBB4_6526
.LBB4_6527:
	s_trap 2
	s_sendmsg_rtn_b32 s0, sendmsg(MSG_RTN_GET_DOORBELL)
	s_mov_b32 ttmp2, m0
	s_waitcnt lgkmcnt(0)
	s_and_b32 s0, s0, 0x3ff
	s_delay_alu instid0(SALU_CYCLE_1) | instskip(NEXT) | instid1(SALU_CYCLE_1)
	s_bitset1_b32 s0, 10
	s_mov_b32 m0, s0
	s_sendmsg sendmsg(MSG_INTERRUPT)
	s_mov_b32 m0, ttmp2
.LBB4_6528:                             ; =>This Inner Loop Header: Depth=1
	s_sethalt 5
	s_branch .LBB4_6528
.LBB4_6529:
	s_trap 2
	s_sendmsg_rtn_b32 s0, sendmsg(MSG_RTN_GET_DOORBELL)
	s_mov_b32 ttmp2, m0
	s_waitcnt lgkmcnt(0)
	s_and_b32 s0, s0, 0x3ff
	s_delay_alu instid0(SALU_CYCLE_1) | instskip(NEXT) | instid1(SALU_CYCLE_1)
	s_bitset1_b32 s0, 10
	s_mov_b32 m0, s0
	s_sendmsg sendmsg(MSG_INTERRUPT)
	s_mov_b32 m0, ttmp2
.LBB4_6530:                             ; =>This Inner Loop Header: Depth=1
	s_sethalt 5
	s_branch .LBB4_6530
.LBB4_6531:
	s_trap 2
	s_sendmsg_rtn_b32 s0, sendmsg(MSG_RTN_GET_DOORBELL)
	s_mov_b32 ttmp2, m0
	s_waitcnt lgkmcnt(0)
	s_and_b32 s0, s0, 0x3ff
	s_delay_alu instid0(SALU_CYCLE_1) | instskip(NEXT) | instid1(SALU_CYCLE_1)
	s_bitset1_b32 s0, 10
	s_mov_b32 m0, s0
	s_sendmsg sendmsg(MSG_INTERRUPT)
	s_mov_b32 m0, ttmp2
.LBB4_6532:                             ; =>This Inner Loop Header: Depth=1
	s_sethalt 5
	s_branch .LBB4_6532
.LBB4_6533:
	s_trap 2
	s_sendmsg_rtn_b32 s0, sendmsg(MSG_RTN_GET_DOORBELL)
	s_mov_b32 ttmp2, m0
	s_waitcnt lgkmcnt(0)
	s_and_b32 s0, s0, 0x3ff
	s_delay_alu instid0(SALU_CYCLE_1) | instskip(NEXT) | instid1(SALU_CYCLE_1)
	s_bitset1_b32 s0, 10
	s_mov_b32 m0, s0
	s_sendmsg sendmsg(MSG_INTERRUPT)
	s_mov_b32 m0, ttmp2
.LBB4_6534:                             ; =>This Inner Loop Header: Depth=1
	s_sethalt 5
	s_branch .LBB4_6534
.LBB4_6535:
	s_trap 2
	s_sendmsg_rtn_b32 s0, sendmsg(MSG_RTN_GET_DOORBELL)
	s_mov_b32 ttmp2, m0
	s_waitcnt lgkmcnt(0)
	s_and_b32 s0, s0, 0x3ff
	s_delay_alu instid0(SALU_CYCLE_1) | instskip(NEXT) | instid1(SALU_CYCLE_1)
	s_bitset1_b32 s0, 10
	s_mov_b32 m0, s0
	s_sendmsg sendmsg(MSG_INTERRUPT)
	s_mov_b32 m0, ttmp2
.LBB4_6536:                             ; =>This Inner Loop Header: Depth=1
	s_sethalt 5
	s_branch .LBB4_6536
.LBB4_6537:
	s_trap 2
	s_sendmsg_rtn_b32 s0, sendmsg(MSG_RTN_GET_DOORBELL)
	s_mov_b32 ttmp2, m0
	s_waitcnt lgkmcnt(0)
	s_and_b32 s0, s0, 0x3ff
	s_delay_alu instid0(SALU_CYCLE_1) | instskip(NEXT) | instid1(SALU_CYCLE_1)
	s_bitset1_b32 s0, 10
	s_mov_b32 m0, s0
	s_sendmsg sendmsg(MSG_INTERRUPT)
	s_mov_b32 m0, ttmp2
.LBB4_6538:                             ; =>This Inner Loop Header: Depth=1
	s_sethalt 5
	s_branch .LBB4_6538
.LBB4_6539:
	s_trap 2
	s_sendmsg_rtn_b32 s0, sendmsg(MSG_RTN_GET_DOORBELL)
	s_mov_b32 ttmp2, m0
	s_waitcnt lgkmcnt(0)
	s_and_b32 s0, s0, 0x3ff
	s_delay_alu instid0(SALU_CYCLE_1) | instskip(NEXT) | instid1(SALU_CYCLE_1)
	s_bitset1_b32 s0, 10
	s_mov_b32 m0, s0
	s_sendmsg sendmsg(MSG_INTERRUPT)
	s_mov_b32 m0, ttmp2
.LBB4_6540:                             ; =>This Inner Loop Header: Depth=1
	s_sethalt 5
	s_branch .LBB4_6540
.LBB4_6541:
	s_trap 2
	s_sendmsg_rtn_b32 s0, sendmsg(MSG_RTN_GET_DOORBELL)
	s_mov_b32 ttmp2, m0
	s_waitcnt lgkmcnt(0)
	s_and_b32 s0, s0, 0x3ff
	s_delay_alu instid0(SALU_CYCLE_1) | instskip(NEXT) | instid1(SALU_CYCLE_1)
	s_bitset1_b32 s0, 10
	s_mov_b32 m0, s0
	s_sendmsg sendmsg(MSG_INTERRUPT)
	s_mov_b32 m0, ttmp2
.LBB4_6542:                             ; =>This Inner Loop Header: Depth=1
	s_sethalt 5
	s_branch .LBB4_6542
.LBB4_6543:
	s_trap 2
	s_sendmsg_rtn_b32 s0, sendmsg(MSG_RTN_GET_DOORBELL)
	s_mov_b32 ttmp2, m0
	s_waitcnt lgkmcnt(0)
	s_and_b32 s0, s0, 0x3ff
	s_delay_alu instid0(SALU_CYCLE_1) | instskip(NEXT) | instid1(SALU_CYCLE_1)
	s_bitset1_b32 s0, 10
	s_mov_b32 m0, s0
	s_sendmsg sendmsg(MSG_INTERRUPT)
	s_mov_b32 m0, ttmp2
.LBB4_6544:                             ; =>This Inner Loop Header: Depth=1
	s_sethalt 5
	s_branch .LBB4_6544
.LBB4_6545:
	s_trap 2
	s_sendmsg_rtn_b32 s0, sendmsg(MSG_RTN_GET_DOORBELL)
	s_mov_b32 ttmp2, m0
	s_waitcnt lgkmcnt(0)
	s_and_b32 s0, s0, 0x3ff
	s_delay_alu instid0(SALU_CYCLE_1) | instskip(NEXT) | instid1(SALU_CYCLE_1)
	s_bitset1_b32 s0, 10
	s_mov_b32 m0, s0
	s_sendmsg sendmsg(MSG_INTERRUPT)
	s_mov_b32 m0, ttmp2
.LBB4_6546:                             ; =>This Inner Loop Header: Depth=1
	s_sethalt 5
	s_branch .LBB4_6546
.LBB4_6547:
	s_trap 2
	s_sendmsg_rtn_b32 s0, sendmsg(MSG_RTN_GET_DOORBELL)
	s_mov_b32 ttmp2, m0
	s_waitcnt lgkmcnt(0)
	s_and_b32 s0, s0, 0x3ff
	s_delay_alu instid0(SALU_CYCLE_1) | instskip(NEXT) | instid1(SALU_CYCLE_1)
	s_bitset1_b32 s0, 10
	s_mov_b32 m0, s0
	s_sendmsg sendmsg(MSG_INTERRUPT)
	s_mov_b32 m0, ttmp2
.LBB4_6548:                             ; =>This Inner Loop Header: Depth=1
	s_sethalt 5
	s_branch .LBB4_6548
.LBB4_6549:
	s_trap 2
	s_sendmsg_rtn_b32 s0, sendmsg(MSG_RTN_GET_DOORBELL)
	s_mov_b32 ttmp2, m0
	s_waitcnt lgkmcnt(0)
	s_and_b32 s0, s0, 0x3ff
	s_delay_alu instid0(SALU_CYCLE_1) | instskip(NEXT) | instid1(SALU_CYCLE_1)
	s_bitset1_b32 s0, 10
	s_mov_b32 m0, s0
	s_sendmsg sendmsg(MSG_INTERRUPT)
	s_mov_b32 m0, ttmp2
.LBB4_6550:                             ; =>This Inner Loop Header: Depth=1
	s_sethalt 5
	s_branch .LBB4_6550
.LBB4_6551:
	s_trap 2
	s_sendmsg_rtn_b32 s0, sendmsg(MSG_RTN_GET_DOORBELL)
	s_mov_b32 ttmp2, m0
	s_waitcnt lgkmcnt(0)
	s_and_b32 s0, s0, 0x3ff
	s_delay_alu instid0(SALU_CYCLE_1) | instskip(NEXT) | instid1(SALU_CYCLE_1)
	s_bitset1_b32 s0, 10
	s_mov_b32 m0, s0
	s_sendmsg sendmsg(MSG_INTERRUPT)
	s_mov_b32 m0, ttmp2
.LBB4_6552:                             ; =>This Inner Loop Header: Depth=1
	s_sethalt 5
	s_branch .LBB4_6552
.LBB4_6553:
	s_trap 2
	s_sendmsg_rtn_b32 s0, sendmsg(MSG_RTN_GET_DOORBELL)
	s_mov_b32 ttmp2, m0
	s_waitcnt lgkmcnt(0)
	s_and_b32 s0, s0, 0x3ff
	s_delay_alu instid0(SALU_CYCLE_1) | instskip(NEXT) | instid1(SALU_CYCLE_1)
	s_bitset1_b32 s0, 10
	s_mov_b32 m0, s0
	s_sendmsg sendmsg(MSG_INTERRUPT)
	s_mov_b32 m0, ttmp2
.LBB4_6554:                             ; =>This Inner Loop Header: Depth=1
	s_sethalt 5
	s_branch .LBB4_6554
.LBB4_6555:
	s_trap 2
	s_sendmsg_rtn_b32 s0, sendmsg(MSG_RTN_GET_DOORBELL)
	s_mov_b32 ttmp2, m0
	s_waitcnt lgkmcnt(0)
	s_and_b32 s0, s0, 0x3ff
	s_delay_alu instid0(SALU_CYCLE_1) | instskip(NEXT) | instid1(SALU_CYCLE_1)
	s_bitset1_b32 s0, 10
	s_mov_b32 m0, s0
	s_sendmsg sendmsg(MSG_INTERRUPT)
	s_mov_b32 m0, ttmp2
.LBB4_6556:                             ; =>This Inner Loop Header: Depth=1
	s_sethalt 5
	s_branch .LBB4_6556
.LBB4_6557:
	s_trap 2
	s_sendmsg_rtn_b32 s0, sendmsg(MSG_RTN_GET_DOORBELL)
	s_mov_b32 ttmp2, m0
	s_waitcnt lgkmcnt(0)
	s_and_b32 s0, s0, 0x3ff
	s_delay_alu instid0(SALU_CYCLE_1) | instskip(NEXT) | instid1(SALU_CYCLE_1)
	s_bitset1_b32 s0, 10
	s_mov_b32 m0, s0
	s_sendmsg sendmsg(MSG_INTERRUPT)
	s_mov_b32 m0, ttmp2
.LBB4_6558:                             ; =>This Inner Loop Header: Depth=1
	s_sethalt 5
	s_branch .LBB4_6558
.LBB4_6559:
	s_trap 2
	s_sendmsg_rtn_b32 s0, sendmsg(MSG_RTN_GET_DOORBELL)
	s_mov_b32 ttmp2, m0
	s_waitcnt lgkmcnt(0)
	s_and_b32 s0, s0, 0x3ff
	s_delay_alu instid0(SALU_CYCLE_1) | instskip(NEXT) | instid1(SALU_CYCLE_1)
	s_bitset1_b32 s0, 10
	s_mov_b32 m0, s0
	s_sendmsg sendmsg(MSG_INTERRUPT)
	s_mov_b32 m0, ttmp2
.LBB4_6560:                             ; =>This Inner Loop Header: Depth=1
	s_sethalt 5
	s_branch .LBB4_6560
.LBB4_6561:
	s_trap 2
	s_sendmsg_rtn_b32 s0, sendmsg(MSG_RTN_GET_DOORBELL)
	s_mov_b32 ttmp2, m0
	s_waitcnt lgkmcnt(0)
	s_and_b32 s0, s0, 0x3ff
	s_delay_alu instid0(SALU_CYCLE_1) | instskip(NEXT) | instid1(SALU_CYCLE_1)
	s_bitset1_b32 s0, 10
	s_mov_b32 m0, s0
	s_sendmsg sendmsg(MSG_INTERRUPT)
	s_mov_b32 m0, ttmp2
.LBB4_6562:                             ; =>This Inner Loop Header: Depth=1
	s_sethalt 5
	s_branch .LBB4_6562
.LBB4_6563:
	s_trap 2
	s_sendmsg_rtn_b32 s0, sendmsg(MSG_RTN_GET_DOORBELL)
	s_mov_b32 ttmp2, m0
	s_waitcnt lgkmcnt(0)
	s_and_b32 s0, s0, 0x3ff
	s_delay_alu instid0(SALU_CYCLE_1) | instskip(NEXT) | instid1(SALU_CYCLE_1)
	s_bitset1_b32 s0, 10
	s_mov_b32 m0, s0
	s_sendmsg sendmsg(MSG_INTERRUPT)
	s_mov_b32 m0, ttmp2
.LBB4_6564:                             ; =>This Inner Loop Header: Depth=1
	s_sethalt 5
	s_branch .LBB4_6564
.LBB4_6565:
	s_trap 2
	s_sendmsg_rtn_b32 s0, sendmsg(MSG_RTN_GET_DOORBELL)
	s_mov_b32 ttmp2, m0
	s_waitcnt lgkmcnt(0)
	s_and_b32 s0, s0, 0x3ff
	s_delay_alu instid0(SALU_CYCLE_1) | instskip(NEXT) | instid1(SALU_CYCLE_1)
	s_bitset1_b32 s0, 10
	s_mov_b32 m0, s0
	s_sendmsg sendmsg(MSG_INTERRUPT)
	s_mov_b32 m0, ttmp2
.LBB4_6566:                             ; =>This Inner Loop Header: Depth=1
	s_sethalt 5
	s_branch .LBB4_6566
.LBB4_6567:
	s_trap 2
	s_sendmsg_rtn_b32 s0, sendmsg(MSG_RTN_GET_DOORBELL)
	s_mov_b32 ttmp2, m0
	s_waitcnt lgkmcnt(0)
	s_and_b32 s0, s0, 0x3ff
	s_delay_alu instid0(SALU_CYCLE_1) | instskip(NEXT) | instid1(SALU_CYCLE_1)
	s_bitset1_b32 s0, 10
	s_mov_b32 m0, s0
	s_sendmsg sendmsg(MSG_INTERRUPT)
	s_mov_b32 m0, ttmp2
.LBB4_6568:                             ; =>This Inner Loop Header: Depth=1
	s_sethalt 5
	s_branch .LBB4_6568
.LBB4_6569:
	s_trap 2
	s_sendmsg_rtn_b32 s0, sendmsg(MSG_RTN_GET_DOORBELL)
	s_mov_b32 ttmp2, m0
	s_waitcnt lgkmcnt(0)
	s_and_b32 s0, s0, 0x3ff
	s_delay_alu instid0(SALU_CYCLE_1) | instskip(NEXT) | instid1(SALU_CYCLE_1)
	s_bitset1_b32 s0, 10
	s_mov_b32 m0, s0
	s_sendmsg sendmsg(MSG_INTERRUPT)
	s_mov_b32 m0, ttmp2
.LBB4_6570:                             ; =>This Inner Loop Header: Depth=1
	s_sethalt 5
	s_branch .LBB4_6570
.LBB4_6571:
	s_trap 2
	s_sendmsg_rtn_b32 s0, sendmsg(MSG_RTN_GET_DOORBELL)
	s_mov_b32 ttmp2, m0
	s_waitcnt lgkmcnt(0)
	s_and_b32 s0, s0, 0x3ff
	s_delay_alu instid0(SALU_CYCLE_1) | instskip(NEXT) | instid1(SALU_CYCLE_1)
	s_bitset1_b32 s0, 10
	s_mov_b32 m0, s0
	s_sendmsg sendmsg(MSG_INTERRUPT)
	s_mov_b32 m0, ttmp2
.LBB4_6572:                             ; =>This Inner Loop Header: Depth=1
	s_sethalt 5
	s_branch .LBB4_6572
.LBB4_6573:
	s_trap 2
	s_sendmsg_rtn_b32 s0, sendmsg(MSG_RTN_GET_DOORBELL)
	s_mov_b32 ttmp2, m0
	s_waitcnt lgkmcnt(0)
	s_and_b32 s0, s0, 0x3ff
	s_delay_alu instid0(SALU_CYCLE_1) | instskip(NEXT) | instid1(SALU_CYCLE_1)
	s_bitset1_b32 s0, 10
	s_mov_b32 m0, s0
	s_sendmsg sendmsg(MSG_INTERRUPT)
	s_mov_b32 m0, ttmp2
.LBB4_6574:                             ; =>This Inner Loop Header: Depth=1
	s_sethalt 5
	s_branch .LBB4_6574
.LBB4_6575:
	s_trap 2
	s_sendmsg_rtn_b32 s0, sendmsg(MSG_RTN_GET_DOORBELL)
	s_mov_b32 ttmp2, m0
	s_waitcnt lgkmcnt(0)
	s_and_b32 s0, s0, 0x3ff
	s_delay_alu instid0(SALU_CYCLE_1) | instskip(NEXT) | instid1(SALU_CYCLE_1)
	s_bitset1_b32 s0, 10
	s_mov_b32 m0, s0
	s_sendmsg sendmsg(MSG_INTERRUPT)
	s_mov_b32 m0, ttmp2
.LBB4_6576:                             ; =>This Inner Loop Header: Depth=1
	s_sethalt 5
	s_branch .LBB4_6576
.LBB4_6577:
	s_trap 2
	s_sendmsg_rtn_b32 s0, sendmsg(MSG_RTN_GET_DOORBELL)
	s_mov_b32 ttmp2, m0
	s_waitcnt lgkmcnt(0)
	s_and_b32 s0, s0, 0x3ff
	s_delay_alu instid0(SALU_CYCLE_1) | instskip(NEXT) | instid1(SALU_CYCLE_1)
	s_bitset1_b32 s0, 10
	s_mov_b32 m0, s0
	s_sendmsg sendmsg(MSG_INTERRUPT)
	s_mov_b32 m0, ttmp2
.LBB4_6578:                             ; =>This Inner Loop Header: Depth=1
	s_sethalt 5
	s_branch .LBB4_6578
.LBB4_6579:
	s_trap 2
	s_sendmsg_rtn_b32 s0, sendmsg(MSG_RTN_GET_DOORBELL)
	s_mov_b32 ttmp2, m0
	s_waitcnt lgkmcnt(0)
	s_and_b32 s0, s0, 0x3ff
	s_delay_alu instid0(SALU_CYCLE_1) | instskip(NEXT) | instid1(SALU_CYCLE_1)
	s_bitset1_b32 s0, 10
	s_mov_b32 m0, s0
	s_sendmsg sendmsg(MSG_INTERRUPT)
	s_mov_b32 m0, ttmp2
.LBB4_6580:                             ; =>This Inner Loop Header: Depth=1
	s_sethalt 5
	s_branch .LBB4_6580
.LBB4_6581:
	s_trap 2
	s_sendmsg_rtn_b32 s0, sendmsg(MSG_RTN_GET_DOORBELL)
	s_mov_b32 ttmp2, m0
	s_waitcnt lgkmcnt(0)
	s_and_b32 s0, s0, 0x3ff
	s_delay_alu instid0(SALU_CYCLE_1) | instskip(NEXT) | instid1(SALU_CYCLE_1)
	s_bitset1_b32 s0, 10
	s_mov_b32 m0, s0
	s_sendmsg sendmsg(MSG_INTERRUPT)
	s_mov_b32 m0, ttmp2
.LBB4_6582:                             ; =>This Inner Loop Header: Depth=1
	s_sethalt 5
	s_branch .LBB4_6582
.LBB4_6583:
	s_trap 2
	s_sendmsg_rtn_b32 s0, sendmsg(MSG_RTN_GET_DOORBELL)
	s_mov_b32 ttmp2, m0
	s_waitcnt lgkmcnt(0)
	s_and_b32 s0, s0, 0x3ff
	s_delay_alu instid0(SALU_CYCLE_1) | instskip(NEXT) | instid1(SALU_CYCLE_1)
	s_bitset1_b32 s0, 10
	s_mov_b32 m0, s0
	s_sendmsg sendmsg(MSG_INTERRUPT)
	s_mov_b32 m0, ttmp2
.LBB4_6584:                             ; =>This Inner Loop Header: Depth=1
	s_sethalt 5
	s_branch .LBB4_6584
.LBB4_6585:
	s_trap 2
	s_sendmsg_rtn_b32 s0, sendmsg(MSG_RTN_GET_DOORBELL)
	s_mov_b32 ttmp2, m0
	s_waitcnt lgkmcnt(0)
	s_and_b32 s0, s0, 0x3ff
	s_delay_alu instid0(SALU_CYCLE_1) | instskip(NEXT) | instid1(SALU_CYCLE_1)
	s_bitset1_b32 s0, 10
	s_mov_b32 m0, s0
	s_sendmsg sendmsg(MSG_INTERRUPT)
	s_mov_b32 m0, ttmp2
.LBB4_6586:                             ; =>This Inner Loop Header: Depth=1
	s_sethalt 5
	s_branch .LBB4_6586
.LBB4_6587:
	s_trap 2
	s_sendmsg_rtn_b32 s0, sendmsg(MSG_RTN_GET_DOORBELL)
	s_mov_b32 ttmp2, m0
	s_waitcnt lgkmcnt(0)
	s_and_b32 s0, s0, 0x3ff
	s_delay_alu instid0(SALU_CYCLE_1) | instskip(NEXT) | instid1(SALU_CYCLE_1)
	s_bitset1_b32 s0, 10
	s_mov_b32 m0, s0
	s_sendmsg sendmsg(MSG_INTERRUPT)
	s_mov_b32 m0, ttmp2
.LBB4_6588:                             ; =>This Inner Loop Header: Depth=1
	s_sethalt 5
	s_branch .LBB4_6588
.LBB4_6589:
	s_trap 2
	s_sendmsg_rtn_b32 s0, sendmsg(MSG_RTN_GET_DOORBELL)
	s_mov_b32 ttmp2, m0
	s_waitcnt lgkmcnt(0)
	s_and_b32 s0, s0, 0x3ff
	s_delay_alu instid0(SALU_CYCLE_1) | instskip(NEXT) | instid1(SALU_CYCLE_1)
	s_bitset1_b32 s0, 10
	s_mov_b32 m0, s0
	s_sendmsg sendmsg(MSG_INTERRUPT)
	s_mov_b32 m0, ttmp2
.LBB4_6590:                             ; =>This Inner Loop Header: Depth=1
	s_sethalt 5
	s_branch .LBB4_6590
.LBB4_6591:
	s_trap 2
	s_sendmsg_rtn_b32 s0, sendmsg(MSG_RTN_GET_DOORBELL)
	s_mov_b32 ttmp2, m0
	s_waitcnt lgkmcnt(0)
	s_and_b32 s0, s0, 0x3ff
	s_delay_alu instid0(SALU_CYCLE_1) | instskip(NEXT) | instid1(SALU_CYCLE_1)
	s_bitset1_b32 s0, 10
	s_mov_b32 m0, s0
	s_sendmsg sendmsg(MSG_INTERRUPT)
	s_mov_b32 m0, ttmp2
.LBB4_6592:                             ; =>This Inner Loop Header: Depth=1
	s_sethalt 5
	s_branch .LBB4_6592
.LBB4_6593:
	s_trap 2
	s_sendmsg_rtn_b32 s0, sendmsg(MSG_RTN_GET_DOORBELL)
	s_mov_b32 ttmp2, m0
	s_waitcnt lgkmcnt(0)
	s_and_b32 s0, s0, 0x3ff
	s_delay_alu instid0(SALU_CYCLE_1) | instskip(NEXT) | instid1(SALU_CYCLE_1)
	s_bitset1_b32 s0, 10
	s_mov_b32 m0, s0
	s_sendmsg sendmsg(MSG_INTERRUPT)
	s_mov_b32 m0, ttmp2
.LBB4_6594:                             ; =>This Inner Loop Header: Depth=1
	s_sethalt 5
	s_branch .LBB4_6594
.LBB4_6595:
	s_trap 2
	s_sendmsg_rtn_b32 s0, sendmsg(MSG_RTN_GET_DOORBELL)
	s_mov_b32 ttmp2, m0
	s_waitcnt lgkmcnt(0)
	s_and_b32 s0, s0, 0x3ff
	s_delay_alu instid0(SALU_CYCLE_1) | instskip(NEXT) | instid1(SALU_CYCLE_1)
	s_bitset1_b32 s0, 10
	s_mov_b32 m0, s0
	s_sendmsg sendmsg(MSG_INTERRUPT)
	s_mov_b32 m0, ttmp2
.LBB4_6596:                             ; =>This Inner Loop Header: Depth=1
	s_sethalt 5
	s_branch .LBB4_6596
.LBB4_6597:
	s_trap 2
	s_sendmsg_rtn_b32 s0, sendmsg(MSG_RTN_GET_DOORBELL)
	s_mov_b32 ttmp2, m0
	s_waitcnt lgkmcnt(0)
	s_and_b32 s0, s0, 0x3ff
	s_delay_alu instid0(SALU_CYCLE_1) | instskip(NEXT) | instid1(SALU_CYCLE_1)
	s_bitset1_b32 s0, 10
	s_mov_b32 m0, s0
	s_sendmsg sendmsg(MSG_INTERRUPT)
	s_mov_b32 m0, ttmp2
.LBB4_6598:                             ; =>This Inner Loop Header: Depth=1
	s_sethalt 5
	s_branch .LBB4_6598
.LBB4_6599:
	s_trap 2
	s_sendmsg_rtn_b32 s0, sendmsg(MSG_RTN_GET_DOORBELL)
	s_mov_b32 ttmp2, m0
	s_waitcnt lgkmcnt(0)
	s_and_b32 s0, s0, 0x3ff
	s_delay_alu instid0(SALU_CYCLE_1) | instskip(NEXT) | instid1(SALU_CYCLE_1)
	s_bitset1_b32 s0, 10
	s_mov_b32 m0, s0
	s_sendmsg sendmsg(MSG_INTERRUPT)
	s_mov_b32 m0, ttmp2
.LBB4_6600:                             ; =>This Inner Loop Header: Depth=1
	s_sethalt 5
	s_branch .LBB4_6600
.LBB4_6601:
	s_trap 2
	s_sendmsg_rtn_b32 s0, sendmsg(MSG_RTN_GET_DOORBELL)
	s_mov_b32 ttmp2, m0
	s_waitcnt lgkmcnt(0)
	s_and_b32 s0, s0, 0x3ff
	s_delay_alu instid0(SALU_CYCLE_1) | instskip(NEXT) | instid1(SALU_CYCLE_1)
	s_bitset1_b32 s0, 10
	s_mov_b32 m0, s0
	s_sendmsg sendmsg(MSG_INTERRUPT)
	s_mov_b32 m0, ttmp2
.LBB4_6602:                             ; =>This Inner Loop Header: Depth=1
	s_sethalt 5
	s_branch .LBB4_6602
.LBB4_6603:
	s_trap 2
	s_sendmsg_rtn_b32 s0, sendmsg(MSG_RTN_GET_DOORBELL)
	s_mov_b32 ttmp2, m0
	s_waitcnt lgkmcnt(0)
	s_and_b32 s0, s0, 0x3ff
	s_delay_alu instid0(SALU_CYCLE_1) | instskip(NEXT) | instid1(SALU_CYCLE_1)
	s_bitset1_b32 s0, 10
	s_mov_b32 m0, s0
	s_sendmsg sendmsg(MSG_INTERRUPT)
	s_mov_b32 m0, ttmp2
.LBB4_6604:                             ; =>This Inner Loop Header: Depth=1
	s_sethalt 5
	s_branch .LBB4_6604
.LBB4_6605:
	s_trap 2
	s_sendmsg_rtn_b32 s0, sendmsg(MSG_RTN_GET_DOORBELL)
	s_mov_b32 ttmp2, m0
	s_waitcnt lgkmcnt(0)
	s_and_b32 s0, s0, 0x3ff
	s_delay_alu instid0(SALU_CYCLE_1) | instskip(NEXT) | instid1(SALU_CYCLE_1)
	s_bitset1_b32 s0, 10
	s_mov_b32 m0, s0
	s_sendmsg sendmsg(MSG_INTERRUPT)
	s_mov_b32 m0, ttmp2
.LBB4_6606:                             ; =>This Inner Loop Header: Depth=1
	s_sethalt 5
	s_branch .LBB4_6606
.LBB4_6607:
	s_trap 2
	s_sendmsg_rtn_b32 s0, sendmsg(MSG_RTN_GET_DOORBELL)
	s_mov_b32 ttmp2, m0
	s_waitcnt lgkmcnt(0)
	s_and_b32 s0, s0, 0x3ff
	s_delay_alu instid0(SALU_CYCLE_1) | instskip(NEXT) | instid1(SALU_CYCLE_1)
	s_bitset1_b32 s0, 10
	s_mov_b32 m0, s0
	s_sendmsg sendmsg(MSG_INTERRUPT)
	s_mov_b32 m0, ttmp2
.LBB4_6608:                             ; =>This Inner Loop Header: Depth=1
	s_sethalt 5
	s_branch .LBB4_6608
.LBB4_6609:
	s_trap 2
	s_sendmsg_rtn_b32 s0, sendmsg(MSG_RTN_GET_DOORBELL)
	s_mov_b32 ttmp2, m0
	s_waitcnt lgkmcnt(0)
	s_and_b32 s0, s0, 0x3ff
	s_delay_alu instid0(SALU_CYCLE_1) | instskip(NEXT) | instid1(SALU_CYCLE_1)
	s_bitset1_b32 s0, 10
	s_mov_b32 m0, s0
	s_sendmsg sendmsg(MSG_INTERRUPT)
	s_mov_b32 m0, ttmp2
.LBB4_6610:                             ; =>This Inner Loop Header: Depth=1
	s_sethalt 5
	s_branch .LBB4_6610
.LBB4_6611:
	s_trap 2
	s_sendmsg_rtn_b32 s0, sendmsg(MSG_RTN_GET_DOORBELL)
	s_mov_b32 ttmp2, m0
	s_waitcnt lgkmcnt(0)
	s_and_b32 s0, s0, 0x3ff
	s_delay_alu instid0(SALU_CYCLE_1) | instskip(NEXT) | instid1(SALU_CYCLE_1)
	s_bitset1_b32 s0, 10
	s_mov_b32 m0, s0
	s_sendmsg sendmsg(MSG_INTERRUPT)
	s_mov_b32 m0, ttmp2
.LBB4_6612:                             ; =>This Inner Loop Header: Depth=1
	s_sethalt 5
	s_branch .LBB4_6612
.Lfunc_end4:
	.size	_ZN12_GLOBAL__N_17runRingI11rccl_float87FuncSumIS1_E11ProtoSimpleILi2ELi2ELi0ELi2ELi0ELi0EELi0ELi0ELi2ELi0EEEviiP15ncclDevWorkColl, .Lfunc_end4-_ZN12_GLOBAL__N_17runRingI11rccl_float87FuncSumIS1_E11ProtoSimpleILi2ELi2ELi0ELi2ELi0ELi0EELi0ELi0ELi2ELi0EEEviiP15ncclDevWorkColl
                                        ; -- End function
	.section	.AMDGPU.csdata,"",@progbits
; Function info:
; codeLenInByte = 257388
; NumSgprs: 50
; NumVgprs: 184
; ScratchSize: 112
; MemoryBound: 1
	.text
	.p2align	2                               ; -- Begin function _Z50ncclDevFunc_AllReduce_RING_SIMPLE_Sum_f8e4m3_0_0_2v
	.type	_Z50ncclDevFunc_AllReduce_RING_SIMPLE_Sum_f8e4m3_0_0_2v,@function
_Z50ncclDevFunc_AllReduce_RING_SIMPLE_Sum_f8e4m3_0_0_2v: ; @_Z50ncclDevFunc_AllReduce_RING_SIMPLE_Sum_f8e4m3_0_0_2v
; %bb.0:
	s_waitcnt vmcnt(0) expcnt(0) lgkmcnt(0)
	s_mov_b32 s0, s33
	s_mov_b32 s33, s32
	s_or_saveexec_b32 s1, -1
	scratch_store_b32 off, v42, s33 offset:16 ; 4-byte Folded Spill
	s_mov_b32 exec_lo, s1
	v_writelane_b32 v42, s0, 21
	s_add_i32 s32, s32, 32
	s_clause 0x3
	scratch_store_b32 off, v40, s33 offset:12
	; meta instruction
	scratch_store_b32 off, v41, s33 offset:8
	; meta instruction
	;; [unrolled: 2-line block ×3, first 2 shown]
	scratch_store_b32 off, v56, s33
	v_writelane_b32 v42, s34, 0
	v_writelane_b32 v42, s35, 1
	;; [unrolled: 1-line block ×21, first 2 shown]
	s_cbranch_execnz .LBB5_13
; %bb.1:
	ds_load_b32 v0, v0
	s_waitcnt lgkmcnt(0)
	v_cmp_gt_i32_e32 vcc_lo, 1, v0
	s_cbranch_vccnz .LBB5_12
; %bb.2:
	v_and_b32_e32 v40, 0x3ff, v31
	s_mov_b32 s52, 0
	s_mov_b64 s[50:51], src_shared_base
.LBB5_3:                                ; =>This Inner Loop Header: Depth=1
	s_cbranch_execnz .LBB5_15
; %bb.4:                                ;   in Loop: Header=BB5_3 Depth=1
	ds_load_b32 v0, v0
	s_cmp_eq_u32 s52, 0
	s_cbranch_scc1 .LBB5_8
; %bb.5:                                ;   in Loop: Header=BB5_3 Depth=1
	s_cbranch_execnz .LBB5_19
; %bb.6:                                ;   in Loop: Header=BB5_3 Depth=1
	s_waitcnt lgkmcnt(0)
	ds_load_b32 v1, v0
	s_waitcnt lgkmcnt(0)
	v_xor_b32_e32 v1, v1, v0
	s_delay_alu instid0(VALU_DEP_1) | instskip(NEXT) | instid1(VALU_DEP_1)
	v_and_b32_e32 v1, 0xff0000, v1
	v_cmp_eq_u32_e32 vcc_lo, 0, v1
	s_cbranch_vccnz .LBB5_8
; %bb.7:                                ;   in Loop: Header=BB5_3 Depth=1
	s_waitcnt_vscnt null, 0x0
	s_barrier
	buffer_gl0_inv
	ds_load_b32 v0, v0
.LBB5_8:                                ;   in Loop: Header=BB5_3 Depth=1
	s_waitcnt lgkmcnt(0)
	v_lshrrev_b32_e32 v0, 11, v0
	s_mov_b32 s50, exec_lo
	s_delay_alu instid0(VALU_DEP_1) | instskip(NEXT) | instid1(VALU_DEP_1)
	v_and_b32_e32 v1, 0x1fe0, v0
	v_cmpx_lt_u32_e64 v40, v1
	s_cbranch_execz .LBB5_10
; %bb.9:                                ;   in Loop: Header=BB5_3 Depth=1
	v_dual_mov_b32 v41, v31 :: v_dual_mov_b32 v0, v40
	v_mov_b32_e32 v3, s51
	s_getpc_b64 s[0:1]
	s_add_u32 s0, s0, _ZN12_GLOBAL__N_17runRingI11rccl_float87FuncSumIS1_E11ProtoSimpleILi2ELi2ELi0ELi2ELi0ELi0EELi0ELi0ELi2ELi0EEEviiP15ncclDevWorkColl@rel32@lo+4
	s_addc_u32 s1, s1, _ZN12_GLOBAL__N_17runRingI11rccl_float87FuncSumIS1_E11ProtoSimpleILi2ELi2ELi0ELi2ELi0ELi0EELi0ELi0ELi2ELi0EEEviiP15ncclDevWorkColl@rel32@hi+12
	s_mov_b64 s[48:49], s[8:9]
	s_mov_b32 s45, s12
	s_swappc_b64 s[30:31], s[0:1]
	v_mov_b32_e32 v31, v41
	s_mov_b32 s12, s45
	s_mov_b64 s[8:9], s[48:49]
.LBB5_10:                               ;   in Loop: Header=BB5_3 Depth=1
	s_or_b32 exec_lo, exec_lo, s50
	s_cbranch_execnz .LBB5_17
; %bb.11:                               ;   in Loop: Header=BB5_3 Depth=1
	ds_load_b32 v0, v0
	s_add_i32 s52, s52, 1
	s_waitcnt lgkmcnt(0)
	v_cmp_lt_i32_e32 vcc_lo, s52, v0
	s_cbranch_vccnz .LBB5_3
.LBB5_12:
	s_clause 0x3
	scratch_load_b32 v56, off, s33
	scratch_load_b32 v47, off, s33 offset:4
	scratch_load_b32 v41, off, s33 offset:8
	;; [unrolled: 1-line block ×3, first 2 shown]
	v_readlane_b32 s30, v42, 19
	v_readlane_b32 s31, v42, 20
	;; [unrolled: 1-line block ×22, first 2 shown]
	s_or_saveexec_b32 s1, -1
	scratch_load_b32 v42, off, s33 offset:16 ; 4-byte Folded Reload
	s_mov_b32 exec_lo, s1
	s_addk_i32 s32, 0xffe0
	s_mov_b32 s33, s0
	s_waitcnt vmcnt(0)
	s_setpc_b64 s[30:31]
.LBB5_13:
	s_trap 2
	s_sendmsg_rtn_b32 s0, sendmsg(MSG_RTN_GET_DOORBELL)
	s_mov_b32 ttmp2, m0
	s_waitcnt lgkmcnt(0)
	s_and_b32 s0, s0, 0x3ff
	s_delay_alu instid0(SALU_CYCLE_1) | instskip(NEXT) | instid1(SALU_CYCLE_1)
	s_bitset1_b32 s0, 10
	s_mov_b32 m0, s0
	s_sendmsg sendmsg(MSG_INTERRUPT)
	s_mov_b32 m0, ttmp2
.LBB5_14:                               ; =>This Inner Loop Header: Depth=1
	s_sethalt 5
	s_branch .LBB5_14
.LBB5_15:
	s_trap 2
	s_sendmsg_rtn_b32 s0, sendmsg(MSG_RTN_GET_DOORBELL)
	s_mov_b32 ttmp2, m0
	s_waitcnt lgkmcnt(0)
	s_and_b32 s0, s0, 0x3ff
	s_delay_alu instid0(SALU_CYCLE_1) | instskip(NEXT) | instid1(SALU_CYCLE_1)
	s_bitset1_b32 s0, 10
	s_mov_b32 m0, s0
	s_sendmsg sendmsg(MSG_INTERRUPT)
	s_mov_b32 m0, ttmp2
.LBB5_16:                               ; =>This Inner Loop Header: Depth=1
	s_sethalt 5
	s_branch .LBB5_16
.LBB5_17:
	s_trap 2
	s_sendmsg_rtn_b32 s0, sendmsg(MSG_RTN_GET_DOORBELL)
	s_mov_b32 ttmp2, m0
	s_waitcnt lgkmcnt(0)
	s_and_b32 s0, s0, 0x3ff
	s_delay_alu instid0(SALU_CYCLE_1) | instskip(NEXT) | instid1(SALU_CYCLE_1)
	s_bitset1_b32 s0, 10
	s_mov_b32 m0, s0
	s_sendmsg sendmsg(MSG_INTERRUPT)
	s_mov_b32 m0, ttmp2
.LBB5_18:                               ; =>This Inner Loop Header: Depth=1
	s_sethalt 5
	s_branch .LBB5_18
.LBB5_19:
	s_trap 2
	s_sendmsg_rtn_b32 s0, sendmsg(MSG_RTN_GET_DOORBELL)
	s_mov_b32 ttmp2, m0
	s_waitcnt lgkmcnt(0)
	s_and_b32 s0, s0, 0x3ff
	s_delay_alu instid0(SALU_CYCLE_1) | instskip(NEXT) | instid1(SALU_CYCLE_1)
	s_bitset1_b32 s0, 10
	s_mov_b32 m0, s0
	s_sendmsg sendmsg(MSG_INTERRUPT)
	s_mov_b32 m0, ttmp2
.LBB5_20:                               ; =>This Inner Loop Header: Depth=1
	s_sethalt 5
	s_branch .LBB5_20
.Lfunc_end5:
	.size	_Z50ncclDevFunc_AllReduce_RING_SIMPLE_Sum_f8e4m3_0_0_2v, .Lfunc_end5-_Z50ncclDevFunc_AllReduce_RING_SIMPLE_Sum_f8e4m3_0_0_2v
                                        ; -- End function
	.section	.AMDGPU.csdata,"",@progbits
; Function info:
; codeLenInByte = 948
; NumSgprs: 55
; NumVgprs: 184
; ScratchSize: 144
; MemoryBound: 0
	.text
	.p2align	2                               ; -- Begin function _ZN12_GLOBAL__N_17runRingI11rccl_float87FuncSumIS1_E11ProtoSimpleILi2ELi2ELi0ELi4ELi0ELi0EELi0ELi0ELi4ELi0EEEviiP15ncclDevWorkColl
	.type	_ZN12_GLOBAL__N_17runRingI11rccl_float87FuncSumIS1_E11ProtoSimpleILi2ELi2ELi0ELi4ELi0ELi0EELi0ELi0ELi4ELi0EEEviiP15ncclDevWorkColl,@function
_ZN12_GLOBAL__N_17runRingI11rccl_float87FuncSumIS1_E11ProtoSimpleILi2ELi2ELi0ELi4ELi0ELi0EELi0ELi0ELi4ELi0EEEviiP15ncclDevWorkColl: ; @_ZN12_GLOBAL__N_17runRingI11rccl_float87FuncSumIS1_E11ProtoSimpleILi2ELi2ELi0ELi4ELi0ELi0EELi0ELi0ELi4ELi0EEEviiP15ncclDevWorkColl
; %bb.0:
	s_waitcnt vmcnt(0) expcnt(0) lgkmcnt(0)
	s_mov_b32 s0, s33
	s_mov_b32 s33, s32
	s_or_saveexec_b32 s1, -1
	s_clause 0x1
	scratch_store_b32 off, v121, s33 offset:164
	; meta instruction
	scratch_store_b32 off, v122, s33 offset:168
	s_mov_b32 exec_lo, s1
	v_writelane_b32 v121, s0, 14
	s_addk_i32 s32, 0xb0
	s_clause 0x1f
	scratch_store_b32 off, v40, s33 offset:160
	; meta instruction
	scratch_store_b32 off, v41, s33 offset:156
	; meta instruction
	;; [unrolled: 2-line block ×31, first 2 shown]
	scratch_store_b32 off, v95, s33 offset:36
	s_clause 0x8
	scratch_store_b32 off, v104, s33 offset:32
	; meta instruction
	scratch_store_b32 off, v105, s33 offset:28
	; meta instruction
	;; [unrolled: 2-line block ×8, first 2 shown]
	scratch_store_b32 off, v120, s33
	v_writelane_b32 v121, s34, 0
	v_writelane_b32 v121, s35, 1
	;; [unrolled: 1-line block ×14, first 2 shown]
	s_cbranch_execz .LBB6_1
; %bb.10069:
	s_getpc_b64 s[48:49]
.Lpost_getpc210:
	s_add_u32 s48, s48, (.LBB6_9531-.Lpost_getpc210)&4294967295
	s_addc_u32 s49, s49, (.LBB6_9531-.Lpost_getpc210)>>32
	s_setpc_b64 s[48:49]
.LBB6_1:
	flat_load_b32 v7, v[2:3]
	ds_load_b32 v6, v0
	s_mov_b32 s0, exec_lo
                                        ; implicit-def: $vgpr14_vgpr15
                                        ; implicit-def: $vgpr28_vgpr29
                                        ; implicit-def: $vgpr4_vgpr5
	s_waitcnt lgkmcnt(0)
	v_readfirstlane_b32 s19, v6
	s_waitcnt vmcnt(0)
	v_and_b32_e32 v8, 0xff, v7
	s_delay_alu instid0(VALU_DEP_1)
	v_cmpx_ne_u32_e64 v8, v6
	s_xor_b32 s0, exec_lo, s0
	s_cbranch_execz .LBB6_2
; %bb.10071:
	s_getpc_b64 s[48:49]
.Lpost_getpc211:
	s_add_u32 s48, s48, (.LBB6_9533-.Lpost_getpc211)&4294967295
	s_addc_u32 s49, s49, (.LBB6_9533-.Lpost_getpc211)>>32
	s_setpc_b64 s[48:49]
.LBB6_2:
	s_and_not1_saveexec_b32 s0, s0
	s_cbranch_execz .LBB6_3
; %bb.10073:
	s_getpc_b64 s[48:49]
.Lpost_getpc212:
	s_add_u32 s48, s48, (.LBB6_9538-.Lpost_getpc212)&4294967295
	s_addc_u32 s49, s49, (.LBB6_9538-.Lpost_getpc212)>>32
	s_setpc_b64 s[48:49]
.LBB6_3:
	s_or_b32 exec_lo, exec_lo, s0
	s_cbranch_execz .LBB6_4
; %bb.10075:
	s_getpc_b64 s[48:49]
.Lpost_getpc213:
	s_add_u32 s48, s48, (.LBB6_9539-.Lpost_getpc213)&4294967295
	s_addc_u32 s49, s49, (.LBB6_9539-.Lpost_getpc213)>>32
	s_setpc_b64 s[48:49]
.LBB6_4:
	ds_load_b64 v[6:7], v0
	s_mov_b32 s1, exec_lo
	s_waitcnt lgkmcnt(0)
	v_cmp_ne_u32_e32 vcc_lo, -1, v6
	v_cndmask_b32_e64 v17, 0, 1, vcc_lo
	v_cmp_ne_u32_e32 vcc_lo, -1, v7
	s_delay_alu instid0(VALU_DEP_2) | instskip(NEXT) | instid1(VALU_DEP_1)
	v_add_co_ci_u32_e64 v8, s0, 0, v17, vcc_lo
	v_lshlrev_b32_e32 v6, 1, v8
	s_delay_alu instid0(VALU_DEP_1)
	v_cmpx_le_i32_e64 v6, v1
	s_xor_b32 s18, exec_lo, s1
	s_cbranch_execnz .LBB6_5
; %bb.10077:
	s_getpc_b64 s[48:49]
.Lpost_getpc214:
	s_add_u32 s48, s48, (.LBB6_9782-.Lpost_getpc214)&4294967295
	s_addc_u32 s49, s49, (.LBB6_9782-.Lpost_getpc214)>>32
	s_setpc_b64 s[48:49]
.LBB6_5:
	s_clause 0x3
	flat_load_b64 v[15:16], v[2:3] offset:104
	flat_load_b128 v[10:13], v[2:3] offset:16
	flat_load_u16 v7, v[2:3] offset:8
	flat_load_b32 v6, v[2:3] offset:4
	s_cbranch_execz .LBB6_6
; %bb.10079:
	s_getpc_b64 s[48:49]
.Lpost_getpc215:
	s_add_u32 s48, s48, (.LBB6_9541-.Lpost_getpc215)&4294967295
	s_addc_u32 s49, s49, (.LBB6_9541-.Lpost_getpc215)>>32
	s_setpc_b64 s[48:49]
.LBB6_6:
	s_load_b32 s0, s[8:9], 0x0
	v_dual_mov_b32 v9, 0 :: v_dual_mov_b32 v30, 4
	s_waitcnt lgkmcnt(0)
	s_cmp_lt_u32 s12, s0
	s_cselect_b32 s0, 12, 18
	s_delay_alu instid0(SALU_CYCLE_1)
	s_add_u32 s0, s8, s0
	s_addc_u32 s1, s9, 0
	global_load_u16 v18, v9, s[0:1]
	ds_load_b32 v9, v0
	s_mov_b32 s1, exec_lo
	s_waitcnt lgkmcnt(0)
	v_readfirstlane_b32 s5, v9
	v_cmpx_ge_i32_e64 v0, v17
	s_cbranch_execz .LBB6_16
; %bb.7:
	v_cmp_le_u32_e64 s0, v8, v0
                                        ; implicit-def: $vgpr30
	s_delay_alu instid0(VALU_DEP_1) | instskip(NEXT) | instid1(SALU_CYCLE_1)
	s_and_saveexec_b32 s2, s0
	s_xor_b32 s0, exec_lo, s2
	s_cbranch_execz .LBB6_13
; %bb.8:
	v_cndmask_b32_e64 v9, 0, 1, vcc_lo
	s_mov_b32 s2, exec_lo
                                        ; implicit-def: $sgpr3
	s_delay_alu instid0(VALU_DEP_1) | instskip(NEXT) | instid1(VALU_DEP_1)
	v_sub_nc_u32_e32 v9, v1, v9
	v_cmpx_ge_u32_e64 v0, v9
	s_xor_b32 s2, exec_lo, s2
; %bb.9:
	s_mov_b32 s3, 16
                                        ; implicit-def: $vgpr8
; %bb.10:
	s_or_saveexec_b32 s2, s2
	v_mov_b32_e32 v30, s3
	s_xor_b32 exec_lo, exec_lo, s2
; %bb.11:
	v_sub_nc_u32_e32 v8, v1, v8
	s_delay_alu instid0(VALU_DEP_1) | instskip(SKIP_1) | instid1(VALU_DEP_1)
	v_cmp_ge_i32_e32 vcc_lo, v0, v8
	v_cndmask_b32_e64 v8, 0, 1, vcc_lo
	v_lshlrev_b32_e32 v30, 5, v8
; %bb.12:
	s_or_b32 exec_lo, exec_lo, s2
.LBB6_13:
	s_and_not1_saveexec_b32 s0, s0
; %bb.14:
	v_mov_b32_e32 v30, 8
; %bb.15:
	s_or_b32 exec_lo, exec_lo, s0
.LBB6_16:
	s_delay_alu instid0(SALU_CYCLE_1) | instskip(NEXT) | instid1(VALU_DEP_1)
	s_or_b32 exec_lo, exec_lo, s1
	v_and_b32_e32 v8, 36, v30
	s_delay_alu instid0(VALU_DEP_1)
	v_cmp_ne_u32_e32 vcc_lo, 0, v8
	v_mov_b32_e32 v8, -1
	s_and_saveexec_b32 s0, vcc_lo
	s_cbranch_execz .LBB6_19
; %bb.17:
	s_cbranch_execz .LBB6_18
; %bb.10081:
	s_getpc_b64 s[48:49]
.Lpost_getpc216:
	s_add_u32 s48, s48, (.LBB6_9543-.Lpost_getpc216)&4294967295
	s_addc_u32 s49, s49, (.LBB6_9543-.Lpost_getpc216)>>32
	s_setpc_b64 s[48:49]
.LBB6_18:
	ds_load_b32 v8, v0
.LBB6_19:
	s_or_b32 exec_lo, exec_lo, s0
	v_and_b32_e32 v9, 24, v30
	s_mov_b32 s1, exec_lo
	s_delay_alu instid0(VALU_DEP_1)
	v_cmpx_ne_u32_e32 0, v9
	s_cbranch_execz .LBB6_22
; %bb.20:
	s_cbranch_execz .LBB6_21
; %bb.10083:
	s_getpc_b64 s[48:49]
.Lpost_getpc217:
	s_add_u32 s48, s48, (.LBB6_9545-.Lpost_getpc217)&4294967295
	s_addc_u32 s49, s49, (.LBB6_9545-.Lpost_getpc217)>>32
	s_setpc_b64 s[48:49]
.LBB6_21:
	s_waitcnt lgkmcnt(0)
	ds_load_b32 v8, v0
.LBB6_22:
	s_or_b32 exec_lo, exec_lo, s1
	s_waitcnt vmcnt(1)
	v_lshrrev_b64 v[6:7], 31, v[6:7]
	v_mov_b32_e32 v54, 0
	v_mov_b32_e32 v55, 0
                                        ; implicit-def: $vgpr52_vgpr53
                                        ; implicit-def: $vgpr118
                                        ; implicit-def: $vgpr66_vgpr67
                                        ; implicit-def: $vgpr68_vgpr69
                                        ; implicit-def: $vgpr82_vgpr83
                                        ; implicit-def: $vgpr64_vgpr65
	s_delay_alu instid0(VALU_DEP_2) | instskip(NEXT) | instid1(VALU_DEP_2)
	v_dual_mov_b32 v6, v54 :: v_dual_and_b32 v19, 3, v6
	v_mov_b32_e32 v7, v55
	s_and_saveexec_b32 s0, vcc_lo
	s_cbranch_execz .LBB6_35
; %bb.23:
	s_cbranch_execz .LBB6_24
; %bb.10085:
	s_getpc_b64 s[48:49]
.Lpost_getpc218:
	s_add_u32 s48, s48, (.LBB6_9547-.Lpost_getpc218)&4294967295
	s_addc_u32 s49, s49, (.LBB6_9547-.Lpost_getpc218)>>32
	s_setpc_b64 s[48:49]
.LBB6_24:
	ds_load_b64 v[6:7], v0
	s_waitcnt lgkmcnt(1)
	v_ashrrev_i32_e32 v9, 31, v8
	s_mov_b32 s1, exec_lo
                                        ; implicit-def: $vgpr52_vgpr53
	s_delay_alu instid0(VALU_DEP_1) | instskip(SKIP_2) | instid1(VALU_DEP_2)
	v_lshlrev_b64 v[20:21], 3, v[8:9]
	v_and_b32_e32 v9, 0xffff, v19
	s_waitcnt lgkmcnt(0)
	v_add_co_u32 v6, vcc_lo, v6, v20
	s_delay_alu instid0(VALU_DEP_3)
	v_add_co_ci_u32_e32 v7, vcc_lo, v7, v21, vcc_lo
	flat_load_b64 v[6:7], v[6:7]
	s_waitcnt vmcnt(0) lgkmcnt(0)
	v_mad_u64_u32 v[20:21], null, 0xa8, v9, v[6:7]
	flat_load_b32 v6, v[20:21] offset:640
	v_add_co_u32 v54, vcc_lo, 0x1f8, v20
	v_add_co_ci_u32_e32 v55, vcc_lo, 0, v21, vcc_lo
	s_waitcnt vmcnt(0) lgkmcnt(0)
	v_cmpx_eq_u32_e32 1, v6
	s_cbranch_execz .LBB6_27
; %bb.25:
	flat_load_b64 v[52:53], v[54:55] offset:144
	s_waitcnt vmcnt(0) lgkmcnt(0)
	flat_load_b64 v[6:7], v[52:53]
	s_cbranch_execz .LBB6_26
; %bb.10087:
	s_getpc_b64 s[48:49]
.Lpost_getpc219:
	s_add_u32 s48, s48, (.LBB6_9555-.Lpost_getpc219)&4294967295
	s_addc_u32 s49, s49, (.LBB6_9555-.Lpost_getpc219)>>32
	s_setpc_b64 s[48:49]
.LBB6_26:
	s_waitcnt vmcnt(0) lgkmcnt(0)
	ds_store_b64 v0, v[6:7]
	flat_load_b64 v[6:7], v[52:53] offset:8
	v_or_b32_e32 v30, 0x2000, v30
	s_waitcnt vmcnt(0) lgkmcnt(0)
	ds_store_b64 v0, v[6:7]
	flat_load_b64 v[6:7], v[52:53] offset:16
	s_waitcnt vmcnt(0) lgkmcnt(0)
	ds_store_b64 v0, v[6:7]
.LBB6_27:
	s_or_b32 exec_lo, exec_lo, s1
	flat_load_b64 v[6:7], v[54:55] offset:104
	v_and_b32_e32 v9, 32, v30
	s_mov_b32 s1, exec_lo
                                        ; implicit-def: $vgpr64_vgpr65
	s_waitcnt vmcnt(0) lgkmcnt(0)
	v_add_co_u32 v6, vcc_lo, v6, 3
	v_add_co_ci_u32_e32 v67, vcc_lo, 0, v7, vcc_lo
	s_delay_alu instid0(VALU_DEP_2)
	v_and_b32_e32 v66, -4, v6
	v_cmpx_ne_u32_e32 0, v9
	s_cbranch_execz .LBB6_29
; %bb.28:
	flat_load_b64 v[64:65], v[54:55] offset:56
	s_waitcnt vmcnt(0) lgkmcnt(0)
	s_waitcnt_vscnt null, 0x0
	flat_store_b64 v[64:65], v[66:67]
.LBB6_29:
	s_or_b32 exec_lo, exec_lo, s1
	v_dual_mov_b32 v6, 0 :: v_dual_and_b32 v9, 4, v30
	v_mov_b32_e32 v7, 0
	s_mov_b32 s1, exec_lo
                                        ; implicit-def: $vgpr118
                                        ; implicit-def: $vgpr68_vgpr69
                                        ; implicit-def: $vgpr82_vgpr83
	s_delay_alu instid0(VALU_DEP_2)
	v_cmpx_ne_u32_e32 0, v9
	s_cbranch_execz .LBB6_34
; %bb.30:
	v_and_b32_e32 v6, 0x800, v30
	s_mov_b32 s2, exec_lo
	s_delay_alu instid0(VALU_DEP_1)
	v_cmpx_eq_u32_e32 0, v6
	s_cbranch_execz .LBB6_33
; %bb.31:
	s_cbranch_execz .LBB6_32
; %bb.10089:
	s_getpc_b64 s[48:49]
.Lpost_getpc220:
	s_add_u32 s48, s48, (.LBB6_9557-.Lpost_getpc220)&4294967295
	s_addc_u32 s49, s49, (.LBB6_9557-.Lpost_getpc220)>>32
	s_setpc_b64 s[48:49]
.LBB6_32:
	ds_store_b64 v0, v[54:55]
.LBB6_33:
	s_or_b32 exec_lo, exec_lo, s2
	flat_load_b64 v[64:65], v[54:55] offset:48
	v_or_b32_e32 v9, 0x100, v30
	s_waitcnt vmcnt(0) lgkmcnt(0)
	flat_load_b64 v[82:83], v[64:65] glc
	s_clause 0x2
	flat_load_b64 v[6:7], v[54:55] offset:96
	flat_load_b32 v118, v[54:55] offset:72
	flat_load_b64 v[68:69], v[54:55] offset:16
	s_waitcnt vmcnt(2) lgkmcnt(2)
	v_cmp_eq_u64_e32 vcc_lo, 0, v[6:7]
	v_cndmask_b32_e32 v30, v9, v30, vcc_lo
.LBB6_34:
	s_or_b32 exec_lo, exec_lo, s1
.LBB6_35:
	s_delay_alu instid0(SALU_CYCLE_1) | instskip(NEXT) | instid1(VALU_DEP_1)
	s_or_b32 exec_lo, exec_lo, s0
	v_and_b32_e32 v9, 24, v30
	s_mov_b32 s0, exec_lo
                                        ; implicit-def: $vgpr70_vgpr71
	s_delay_alu instid0(VALU_DEP_1)
	v_cmpx_ne_u32_e32 0, v9
	s_cbranch_execz .LBB6_45
; %bb.36:
	s_cbranch_execz .LBB6_37
; %bb.10091:
	s_getpc_b64 s[48:49]
.Lpost_getpc221:
	s_add_u32 s48, s48, (.LBB6_9549-.Lpost_getpc221)&4294967295
	s_addc_u32 s49, s49, (.LBB6_9549-.Lpost_getpc221)>>32
	s_setpc_b64 s[48:49]
.LBB6_37:
	ds_load_b64 v[6:7], v0
	s_waitcnt lgkmcnt(1)
	v_ashrrev_i32_e32 v9, 31, v8
	s_mov_b32 s1, exec_lo
                                        ; implicit-def: $vgpr70_vgpr71
	s_delay_alu instid0(VALU_DEP_1) | instskip(SKIP_1) | instid1(VALU_DEP_1)
	v_lshlrev_b64 v[8:9], 3, v[8:9]
	s_waitcnt lgkmcnt(0)
	v_add_co_u32 v6, vcc_lo, v6, v8
	s_delay_alu instid0(VALU_DEP_2)
	v_add_co_ci_u32_e32 v7, vcc_lo, v7, v9, vcc_lo
	v_and_b32_e32 v8, 0xffff, v19
	v_or_b32_e32 v19, 0x100, v30
	flat_load_b64 v[6:7], v[6:7]
	s_waitcnt vmcnt(0) lgkmcnt(0)
	v_mad_u64_u32 v[54:55], null, 0xa8, v8, v[6:7]
	flat_load_b128 v[6:9], v[54:55] offset:96
	s_waitcnt vmcnt(0) lgkmcnt(0)
	v_cmp_eq_u64_e32 vcc_lo, 0, v[6:7]
	v_cndmask_b32_e32 v30, v19, v30, vcc_lo
	s_delay_alu instid0(VALU_DEP_1) | instskip(NEXT) | instid1(VALU_DEP_1)
	v_and_b32_e32 v19, 16, v30
	v_cmpx_ne_u32_e32 0, v19
; %bb.38:
	s_clause 0x2
	flat_load_b64 v[70:71], v[54:55] offset:120
	flat_load_b64 v[64:65], v[54:55] offset:48
	flat_load_b64 v[68:69], v[54:55] offset:16
; %bb.39:
	s_or_b32 exec_lo, exec_lo, s1
	v_and_b32_e32 v19, 8, v30
	s_mov_b32 s1, exec_lo
	s_delay_alu instid0(VALU_DEP_1)
	v_cmpx_ne_u32_e32 0, v19
	s_cbranch_execz .LBB6_44
; %bb.40:
	v_and_b32_e32 v19, 0x800, v30
	s_mov_b32 s2, exec_lo
	s_delay_alu instid0(VALU_DEP_1)
	v_cmpx_eq_u32_e32 0, v19
	s_cbranch_execz .LBB6_43
; %bb.41:
	s_cbranch_execz .LBB6_42
; %bb.10093:
	s_getpc_b64 s[48:49]
.Lpost_getpc222:
	s_add_u32 s48, s48, (.LBB6_9559-.Lpost_getpc222)&4294967295
	s_addc_u32 s49, s49, (.LBB6_9559-.Lpost_getpc222)>>32
	s_setpc_b64 s[48:49]
.LBB6_42:
	ds_store_b64 v0, v[54:55]
.LBB6_43:
	s_or_b32 exec_lo, exec_lo, s2
	s_waitcnt vmcnt(1) lgkmcnt(1)
	flat_load_b64 v[64:65], v[54:55] offset:56
	s_waitcnt vmcnt(0) lgkmcnt(0)
	flat_load_b64 v[82:83], v[64:65] glc
	s_clause 0x1
	flat_load_b32 v118, v[54:55] offset:72
	flat_load_b64 v[68:69], v[54:55] offset:16
.LBB6_44:
	s_or_b32 exec_lo, exec_lo, s1
	v_add_co_u32 v8, vcc_lo, v8, 3
	v_add_co_ci_u32_e32 v67, vcc_lo, 0, v9, vcc_lo
	s_delay_alu instid0(VALU_DEP_2)
	v_and_b32_e32 v66, -4, v8
.LBB6_45:
	s_or_b32 exec_lo, exec_lo, s0
	v_cmp_eq_u32_e64 s0, 0, v0
	s_delay_alu instid0(VALU_DEP_1)
	s_and_saveexec_b32 s1, s0
	s_cbranch_execz .LBB6_48
; %bb.46:
	s_waitcnt lgkmcnt(0)
	flat_load_b64 v[8:9], v[2:3] offset:32
	ds_store_2addr_b64 v0, v[12:13], v[10:11] offset1:1
	s_cbranch_execz .LBB6_47
; %bb.10095:
	s_getpc_b64 s[48:49]
.Lpost_getpc223:
	s_add_u32 s48, s48, (.LBB6_9551-.Lpost_getpc223)&4294967295
	s_addc_u32 s49, s49, (.LBB6_9551-.Lpost_getpc223)>>32
	s_setpc_b64 s[48:49]
.LBB6_47:
	s_waitcnt vmcnt(0) lgkmcnt(1)
	ds_store_b64 v0, v[8:9]
	ds_store_b64 v0, v[15:16]
.LBB6_48:
	s_or_b32 exec_lo, exec_lo, s1
	s_waitcnt vmcnt(0)
	v_dual_mov_b32 v80, 0 :: v_dual_and_b32 v119, 0xffff, v18
	v_mov_b32_e32 v81, 0
	s_mov_b32 s20, exec_lo
	v_cmpx_lt_i64_e32 0, v[4:5]
	s_cbranch_execnz .LBB6_49
; %bb.10097:
	s_getpc_b64 s[48:49]
.Lpost_getpc224:
	s_add_u32 s48, s48, (.LBB6_9525-.Lpost_getpc224)&4294967295
	s_addc_u32 s49, s49, (.LBB6_9525-.Lpost_getpc224)>>32
	s_setpc_b64 s[48:49]
.LBB6_49:
	s_waitcnt lgkmcnt(0)
	flat_load_b32 v8, v[2:3] offset:4
	v_dual_mov_b32 v3, 0 :: v_dual_and_b32 v2, 31, v31
	s_ashr_i32 s21, s19, 31
	s_add_u32 s22, s19, -1
	s_addc_u32 s23, s21, -1
	s_not_b32 s2, s19
	v_cmp_ge_i32_e32 vcc_lo, v0, v1
	v_cmp_eq_u32_e64 s1, 0, v2
	s_cmp_gt_i32 s19, 0
	s_mov_b32 s24, 0
	s_cselect_b32 s26, s2, -1
	s_cbranch_execz .LBB6_50
; %bb.10099:
	s_getpc_b64 s[48:49]
.Lpost_getpc225:
	s_add_u32 s48, s48, (.LBB6_9553-.Lpost_getpc225)&4294967295
	s_addc_u32 s49, s49, (.LBB6_9553-.Lpost_getpc225)>>32
	s_setpc_b64 s[48:49]
.LBB6_50:
	v_ashrrev_i32_e32 v9, 31, v0
	v_lshrrev_b32_e32 v129, 5, v1
	v_and_b32_e32 v2, 0x3ffffe00, v14
	v_dual_mov_b32 v176, 1 :: v_dual_and_b32 v147, 0xffffffe0, v1
	s_delay_alu instid0(VALU_DEP_4) | instskip(NEXT) | instid1(VALU_DEP_4)
	v_lshrrev_b32_e32 v9, 27, v9
	v_lshlrev_b32_e32 v132, 9, v129
	s_waitcnt vmcnt(0) lgkmcnt(0)
	v_and_b32_e32 v8, 1, v8
	v_subrev_nc_u32_e32 v150, 32, v147
	s_ashr_i32 s6, s5, 31
	v_dual_mov_b32 v86, 0 :: v_dual_add_nc_u32 v9, v0, v9
	v_dual_mov_b32 v87, 0 :: v_dual_add_nc_u32 v134, 0xfffffe00, v132
	s_delay_alu instid0(VALU_DEP_2) | instskip(NEXT) | instid1(VALU_DEP_3)
	v_mov_b32_e32 v80, v86
	v_dual_mov_b32 v97, v3 :: v_dual_and_b32 v10, 0xffffffe0, v9
	v_ashrrev_i32_e32 v130, 5, v9
	v_lshl_add_u32 v9, v129, 12, 0xfffff000
	v_ashrrev_i32_e32 v146, 31, v134
	s_delay_alu instid0(VALU_DEP_4) | instskip(NEXT) | instid1(VALU_DEP_4)
	v_sub_nc_u32_e32 v131, v0, v10
	v_dual_mov_b32 v81, v87 :: v_dual_lshlrev_b32 v10, 12, v130
	s_delay_alu instid0(VALU_DEP_4) | instskip(SKIP_2) | instid1(VALU_DEP_3)
	v_add_co_u32 v144, s7, 0x1000, v9
	v_ashrrev_i32_e32 v161, 31, v150
	s_add_i32 s25, s19, s19
	v_lshl_add_u32 v133, v131, 4, v10
	v_ashrrev_i32_e32 v10, 31, v9
	v_lshl_add_u32 v9, v129, 10, 0xfffffc00
	s_lshr_b32 s6, s6, 25
	s_add_i32 s26, s26, s25
	s_add_i32 s5, s5, s6
	v_add_co_ci_u32_e64 v145, s7, 0, v10, s7
	v_add_co_u32 v148, s7, 0x200, v134
	v_ashrrev_i32_e32 v10, 31, v9
	v_add_co_ci_u32_e64 v149, s7, 0, v146, s7
	v_add_co_u32 v151, s7, 0x400, v9
	s_delay_alu instid0(VALU_DEP_1) | instskip(SKIP_1) | instid1(VALU_DEP_1)
	v_add_co_ci_u32_e64 v160, s7, 0, v10, s7
	v_add_co_u32 v162, s7, v150, 32
	v_add_co_ci_u32_e64 v163, s7, 0, v161, s7
	v_cmp_eq_u32_e64 s7, 1, v8
	v_lshlrev_b32_e32 v8, 11, v130
	s_ashr_i32 s27, s26, 31
	s_ashr_i32 s28, s5, 7
	s_cmp_gt_i32 s19, 2
	v_mad_i64_i32 v[84:85], null, v2, s19, 0
	v_sub_nc_u32_e32 v164, v133, v8
	v_lshl_add_u32 v8, v129, 11, 0xfffff800
	s_cselect_b32 s29, -1, 0
	s_add_i32 s12, s19, 1
	s_xor_b32 vcc_hi, s7, -1
	s_cmp_le_i32 s19, s12
	v_ashrrev_i32_e32 v9, 31, v8
	s_cselect_b32 s13, s19, 0
	v_cmp_eq_u64_e64 s10, 0, v[70:71]
	s_sub_i32 s14, s12, s13
	v_add_co_u32 v166, s13, 0x800, v8
	v_cmp_ne_u64_e64 s11, 0, v[70:71]
	v_ashrrev_i32_e32 v128, 31, v118
	v_cmp_eq_u32_e64 s2, 32, v1
	v_cmp_ne_u32_e64 s3, 32, v1
	v_cmp_ne_u32_e64 s4, v119, v1
	v_cmp_gt_i32_e64 s5, 1, v131
	v_cmp_lt_i32_e64 s6, v131, v17
	v_ashrrev_i32_e32 v135, 31, v133
	v_cmp_le_i32_e64 s36, v131, v17
	v_ashrrev_i32_e32 v165, 31, v164
	v_add_co_ci_u32_e64 v167, s13, 0, v9, s13
	v_mov_b32_e32 v96, v2
	s_ashr_i32 s31, s14, 31
	s_add_i32 s34, s19, -2
	s_xor_b32 s30, vcc_lo, -1
	s_sub_i32 s35, 0, s19
.LBB6_51:                               ; =>This Loop Header: Depth=1
                                        ;     Child Loop BB6_59 Depth 2
                                        ;       Child Loop BB6_68 Depth 3
                                        ;       Child Loop BB6_95 Depth 3
	;; [unrolled: 1-line block ×9, first 2 shown]
                                        ;     Child Loop BB6_222 Depth 2
                                        ;       Child Loop BB6_228 Depth 3
                                        ;       Child Loop BB6_255 Depth 3
	;; [unrolled: 1-line block ×3, first 2 shown]
                                        ;     Child Loop BB6_303 Depth 2
                                        ;       Child Loop BB6_305 Depth 3
                                        ;         Child Loop BB6_314 Depth 4
                                        ;         Child Loop BB6_344 Depth 4
	;; [unrolled: 1-line block ×9, first 2 shown]
                                        ;       Child Loop BB6_3183 Depth 3
                                        ;         Child Loop BB6_3189 Depth 4
                                        ;         Child Loop BB6_3221 Depth 4
	;; [unrolled: 1-line block ×3, first 2 shown]
                                        ;     Child Loop BB6_3271 Depth 2
                                        ;       Child Loop BB6_3280 Depth 3
                                        ;       Child Loop BB6_3310 Depth 3
	;; [unrolled: 1-line block ×5, first 2 shown]
                                        ;         Child Loop BB6_5158 Depth 4
                                        ;       Child Loop BB6_5300 Depth 3
                                        ;       Child Loop BB6_6071 Depth 3
                                        ;         Child Loop BB6_6088 Depth 4
                                        ;       Child Loop BB6_6112 Depth 3
                                        ;       Child Loop BB6_7654 Depth 3
	;; [unrolled: 1-line block ×6, first 2 shown]
                                        ;     Child Loop BB6_8902 Depth 2
                                        ;       Child Loop BB6_8908 Depth 3
                                        ;       Child Loop BB6_8940 Depth 3
                                        ;       Child Loop BB6_8967 Depth 3
                                        ;     Child Loop BB6_8988 Depth 2
                                        ;       Child Loop BB6_8990 Depth 3
                                        ;         Child Loop BB6_8999 Depth 4
                                        ;         Child Loop BB6_9029 Depth 4
	;; [unrolled: 1-line block ×5, first 2 shown]
                                        ;           Child Loop BB6_9084 Depth 5
                                        ;         Child Loop BB6_9095 Depth 4
                                        ;         Child Loop BB6_9101 Depth 4
                                        ;           Child Loop BB6_9102 Depth 5
                                        ;         Child Loop BB6_9116 Depth 4
                                        ;         Child Loop BB6_9122 Depth 4
	;; [unrolled: 1-line block ×6, first 2 shown]
                                        ;       Child Loop BB6_9197 Depth 3
                                        ;         Child Loop BB6_9203 Depth 4
                                        ;         Child Loop BB6_9235 Depth 4
	;; [unrolled: 1-line block ×3, first 2 shown]
                                        ;     Child Loop BB6_9285 Depth 2
                                        ;       Child Loop BB6_9294 Depth 3
                                        ;       Child Loop BB6_9321 Depth 3
	;; [unrolled: 1-line block ×9, first 2 shown]
                                        ;     Child Loop BB6_9446 Depth 2
                                        ;       Child Loop BB6_9452 Depth 3
                                        ;       Child Loop BB6_9479 Depth 3
	;; [unrolled: 1-line block ×3, first 2 shown]
	v_sub_co_u32 v98, vcc_lo, v4, v86
	v_sub_co_ci_u32_e32 v99, vcc_lo, v5, v87, vcc_lo
	s_mov_b32 s12, exec_lo
	s_delay_alu instid0(VALU_DEP_1)
	v_cmpx_lt_i64_e64 v[98:99], v[84:85]
	s_cbranch_execz .LBB6_57
; %bb.52:                               ;   in Loop: Header=BB6_51 Depth=1
	v_add_co_u32 v2, vcc_lo, s22, v98
	v_add_co_ci_u32_e32 v10, vcc_lo, s23, v99, vcc_lo
	v_mov_b32_e32 v8, v3
	s_delay_alu instid0(VALU_DEP_2) | instskip(NEXT) | instid1(VALU_DEP_1)
	v_or_b32_e32 v9, s21, v10
	v_cmp_ne_u64_e32 vcc_lo, 0, v[8:9]
                                        ; implicit-def: $vgpr8_vgpr9
	s_and_saveexec_b32 s13, vcc_lo
	s_delay_alu instid0(SALU_CYCLE_1)
	s_xor_b32 s37, exec_lo, s13
	s_cbranch_execz .LBB6_54
; %bb.53:                               ;   in Loop: Header=BB6_51 Depth=1
	s_add_u32 s16, s19, s21
	s_mov_b32 s38, s14
	s_mov_b32 s14, s21
	;; [unrolled: 1-line block ×3, first 2 shown]
	s_addc_u32 s17, s21, s21
	s_delay_alu instid0(SALU_CYCLE_1) | instskip(NEXT) | instid1(SALU_CYCLE_1)
	s_xor_b64 s[16:17], s[16:17], s[14:15]
	v_cvt_f32_u32_e32 v8, s16
	v_cvt_f32_u32_e32 v9, s17
	s_sub_u32 s13, 0, s16
	s_subb_u32 s39, 0, s17
	s_delay_alu instid0(VALU_DEP_1) | instskip(NEXT) | instid1(VALU_DEP_1)
	v_fmac_f32_e32 v8, 0x4f800000, v9
	v_rcp_f32_e32 v8, v8
	s_waitcnt_depctr 0xfff
	v_mul_f32_e32 v8, 0x5f7ffffc, v8
	s_delay_alu instid0(VALU_DEP_1) | instskip(NEXT) | instid1(VALU_DEP_1)
	v_mul_f32_e32 v9, 0x2f800000, v8
	v_trunc_f32_e32 v9, v9
	s_delay_alu instid0(VALU_DEP_1) | instskip(SKIP_1) | instid1(VALU_DEP_2)
	v_fmac_f32_e32 v8, 0xcf800000, v9
	v_cvt_u32_f32_e32 v9, v9
	v_cvt_u32_f32_e32 v8, v8
	s_delay_alu instid0(VALU_DEP_2) | instskip(NEXT) | instid1(VALU_DEP_2)
	v_mul_lo_u32 v11, s13, v9
	v_mul_hi_u32 v12, s13, v8
	v_mul_lo_u32 v13, s39, v8
	s_delay_alu instid0(VALU_DEP_2) | instskip(SKIP_1) | instid1(VALU_DEP_2)
	v_add_nc_u32_e32 v11, v12, v11
	v_mul_lo_u32 v12, s13, v8
	v_add_nc_u32_e32 v11, v11, v13
	s_delay_alu instid0(VALU_DEP_2) | instskip(NEXT) | instid1(VALU_DEP_2)
	v_mul_hi_u32 v13, v8, v12
	v_mul_lo_u32 v14, v8, v11
	v_mul_hi_u32 v15, v8, v11
	v_mul_hi_u32 v16, v9, v12
	v_mul_lo_u32 v12, v9, v12
	v_mul_hi_u32 v17, v9, v11
	v_mul_lo_u32 v11, v9, v11
	v_add_co_u32 v13, vcc_lo, v13, v14
	v_add_co_ci_u32_e32 v14, vcc_lo, 0, v15, vcc_lo
	s_delay_alu instid0(VALU_DEP_2) | instskip(NEXT) | instid1(VALU_DEP_2)
	v_add_co_u32 v12, vcc_lo, v13, v12
	v_add_co_ci_u32_e32 v12, vcc_lo, v14, v16, vcc_lo
	v_add_co_ci_u32_e32 v13, vcc_lo, 0, v17, vcc_lo
	v_ashrrev_i32_e32 v16, 31, v10
	s_delay_alu instid0(VALU_DEP_3) | instskip(NEXT) | instid1(VALU_DEP_3)
	v_add_co_u32 v11, vcc_lo, v12, v11
	v_add_co_ci_u32_e32 v12, vcc_lo, 0, v13, vcc_lo
	s_delay_alu instid0(VALU_DEP_2) | instskip(NEXT) | instid1(VALU_DEP_2)
	v_add_co_u32 v8, vcc_lo, v8, v11
	v_add_co_ci_u32_e32 v9, vcc_lo, v9, v12, vcc_lo
	s_delay_alu instid0(VALU_DEP_2) | instskip(SKIP_1) | instid1(VALU_DEP_3)
	v_mul_hi_u32 v11, s13, v8
	v_mul_lo_u32 v13, s39, v8
	v_mul_lo_u32 v12, s13, v9
	s_delay_alu instid0(VALU_DEP_1) | instskip(SKIP_1) | instid1(VALU_DEP_2)
	v_add_nc_u32_e32 v11, v11, v12
	v_mul_lo_u32 v12, s13, v8
	v_add_nc_u32_e32 v11, v11, v13
	s_delay_alu instid0(VALU_DEP_2) | instskip(NEXT) | instid1(VALU_DEP_2)
	v_mul_hi_u32 v13, v8, v12
	v_mul_lo_u32 v14, v8, v11
	v_mul_hi_u32 v15, v8, v11
	v_mul_hi_u32 v17, v9, v12
	v_mul_lo_u32 v12, v9, v12
	v_mul_hi_u32 v18, v9, v11
	v_mul_lo_u32 v11, v9, v11
	v_add_co_u32 v13, vcc_lo, v13, v14
	v_add_co_ci_u32_e32 v14, vcc_lo, 0, v15, vcc_lo
	s_delay_alu instid0(VALU_DEP_2) | instskip(NEXT) | instid1(VALU_DEP_2)
	v_add_co_u32 v12, vcc_lo, v13, v12
	v_add_co_ci_u32_e32 v12, vcc_lo, v14, v17, vcc_lo
	v_add_co_ci_u32_e32 v13, vcc_lo, 0, v18, vcc_lo
	v_add_co_u32 v2, vcc_lo, v2, v16
	v_add_co_ci_u32_e32 v10, vcc_lo, v10, v16, vcc_lo
	s_delay_alu instid0(VALU_DEP_4) | instskip(NEXT) | instid1(VALU_DEP_4)
	v_add_co_u32 v11, vcc_lo, v12, v11
	v_add_co_ci_u32_e32 v12, vcc_lo, 0, v13, vcc_lo
	s_delay_alu instid0(VALU_DEP_4) | instskip(NEXT) | instid1(VALU_DEP_3)
	v_xor_b32_e32 v2, v2, v16
	v_add_co_u32 v13, vcc_lo, v8, v11
	s_delay_alu instid0(VALU_DEP_3) | instskip(SKIP_1) | instid1(VALU_DEP_3)
	v_add_co_ci_u32_e32 v14, vcc_lo, v9, v12, vcc_lo
	v_xor_b32_e32 v15, v10, v16
	v_mul_hi_u32 v17, v2, v13
	s_delay_alu instid0(VALU_DEP_3) | instskip(NEXT) | instid1(VALU_DEP_3)
	v_mad_u64_u32 v[8:9], null, v2, v14, 0
	v_mad_u64_u32 v[10:11], null, v15, v13, 0
	;; [unrolled: 1-line block ×3, first 2 shown]
	s_delay_alu instid0(VALU_DEP_3) | instskip(NEXT) | instid1(VALU_DEP_4)
	v_add_co_u32 v8, vcc_lo, v17, v8
	v_add_co_ci_u32_e32 v9, vcc_lo, 0, v9, vcc_lo
	s_delay_alu instid0(VALU_DEP_2) | instskip(NEXT) | instid1(VALU_DEP_2)
	v_add_co_u32 v8, vcc_lo, v8, v10
	v_add_co_ci_u32_e32 v8, vcc_lo, v9, v11, vcc_lo
	v_add_co_ci_u32_e32 v9, vcc_lo, 0, v13, vcc_lo
	s_delay_alu instid0(VALU_DEP_2) | instskip(NEXT) | instid1(VALU_DEP_2)
	v_add_co_u32 v10, vcc_lo, v8, v12
	v_add_co_ci_u32_e32 v11, vcc_lo, 0, v9, vcc_lo
	s_delay_alu instid0(VALU_DEP_2) | instskip(SKIP_1) | instid1(VALU_DEP_3)
	v_mul_lo_u32 v12, s17, v10
	v_mad_u64_u32 v[8:9], null, s16, v10, 0
	v_mul_lo_u32 v13, s16, v11
	s_delay_alu instid0(VALU_DEP_2) | instskip(NEXT) | instid1(VALU_DEP_2)
	v_sub_co_u32 v2, vcc_lo, v2, v8
	v_add3_u32 v9, v9, v13, v12
	s_delay_alu instid0(VALU_DEP_1) | instskip(NEXT) | instid1(VALU_DEP_1)
	v_sub_nc_u32_e32 v12, v15, v9
	v_subrev_co_ci_u32_e64 v8, s13, s17, v12, vcc_lo
	v_add_co_u32 v12, s13, v10, 2
	s_delay_alu instid0(VALU_DEP_1) | instskip(SKIP_3) | instid1(VALU_DEP_3)
	v_add_co_ci_u32_e64 v13, s13, 0, v11, s13
	v_sub_co_u32 v14, s13, v2, s16
	v_sub_co_ci_u32_e32 v9, vcc_lo, v15, v9, vcc_lo
	v_subrev_co_ci_u32_e64 v8, s13, 0, v8, s13
	v_cmp_le_u32_e32 vcc_lo, s16, v14
	s_delay_alu instid0(VALU_DEP_3) | instskip(SKIP_1) | instid1(VALU_DEP_4)
	v_cmp_eq_u32_e64 s13, s17, v9
	v_cndmask_b32_e64 v14, 0, -1, vcc_lo
	v_cmp_le_u32_e32 vcc_lo, s17, v8
	v_cndmask_b32_e64 v15, 0, -1, vcc_lo
	v_cmp_le_u32_e32 vcc_lo, s16, v2
	;; [unrolled: 2-line block ×3, first 2 shown]
	v_cndmask_b32_e64 v17, 0, -1, vcc_lo
	v_cmp_eq_u32_e32 vcc_lo, s17, v8
	s_delay_alu instid0(VALU_DEP_2) | instskip(SKIP_3) | instid1(VALU_DEP_3)
	v_cndmask_b32_e64 v2, v17, v2, s13
	v_cndmask_b32_e32 v8, v15, v14, vcc_lo
	v_add_co_u32 v14, vcc_lo, v10, 1
	v_add_co_ci_u32_e32 v15, vcc_lo, 0, v11, vcc_lo
	v_cmp_ne_u32_e32 vcc_lo, 0, v8
	s_delay_alu instid0(VALU_DEP_2) | instskip(SKIP_3) | instid1(VALU_DEP_3)
	v_dual_cndmask_b32 v8, v15, v13 :: v_dual_cndmask_b32 v9, v14, v12
	v_cmp_ne_u32_e32 vcc_lo, 0, v2
	v_xor_b32_e32 v2, s14, v16
	s_mov_b32 s14, s38
	v_dual_cndmask_b32 v8, v11, v8 :: v_dual_cndmask_b32 v9, v10, v9
	v_xor_b32_e32 v10, s15, v16
	s_delay_alu instid0(VALU_DEP_2) | instskip(NEXT) | instid1(VALU_DEP_2)
	v_xor_b32_e32 v9, v9, v2
	v_xor_b32_e32 v11, v8, v10
	s_delay_alu instid0(VALU_DEP_2) | instskip(NEXT) | instid1(VALU_DEP_2)
	v_sub_co_u32 v8, vcc_lo, v9, v2
	v_sub_co_ci_u32_e32 v9, vcc_lo, v11, v10, vcc_lo
                                        ; implicit-def: $vgpr2
.LBB6_54:                               ;   in Loop: Header=BB6_51 Depth=1
	s_and_not1_saveexec_b32 s13, s37
	s_cbranch_execz .LBB6_56
; %bb.55:                               ;   in Loop: Header=BB6_51 Depth=1
	v_cvt_f32_u32_e32 v8, s19
	s_delay_alu instid0(VALU_DEP_1) | instskip(SKIP_2) | instid1(VALU_DEP_1)
	v_rcp_iflag_f32_e32 v8, v8
	s_waitcnt_depctr 0xfff
	v_mul_f32_e32 v8, 0x4f7ffffe, v8
	v_cvt_u32_f32_e32 v8, v8
	s_delay_alu instid0(VALU_DEP_1) | instskip(NEXT) | instid1(VALU_DEP_1)
	v_mul_lo_u32 v9, s35, v8
	v_mul_hi_u32 v9, v8, v9
	s_delay_alu instid0(VALU_DEP_1) | instskip(NEXT) | instid1(VALU_DEP_1)
	v_add_nc_u32_e32 v8, v8, v9
	v_mul_hi_u32 v8, v2, v8
	s_delay_alu instid0(VALU_DEP_1) | instskip(NEXT) | instid1(VALU_DEP_1)
	v_mul_lo_u32 v9, v8, s19
	v_sub_nc_u32_e32 v2, v2, v9
	s_delay_alu instid0(VALU_DEP_1) | instskip(SKIP_1) | instid1(VALU_DEP_2)
	v_subrev_nc_u32_e32 v10, s19, v2
	v_cmp_le_u32_e32 vcc_lo, s19, v2
	v_dual_cndmask_b32 v2, v2, v10 :: v_dual_add_nc_u32 v9, 1, v8
	s_delay_alu instid0(VALU_DEP_1) | instskip(NEXT) | instid1(VALU_DEP_2)
	v_cndmask_b32_e32 v8, v8, v9, vcc_lo
	v_cmp_le_u32_e32 vcc_lo, s19, v2
	s_delay_alu instid0(VALU_DEP_2) | instskip(NEXT) | instid1(VALU_DEP_1)
	v_add_nc_u32_e32 v9, 1, v8
	v_cndmask_b32_e32 v2, v8, v9, vcc_lo
	s_delay_alu instid0(VALU_DEP_1)
	v_dual_mov_b32 v9, v3 :: v_dual_mov_b32 v8, v2
.LBB6_56:                               ;   in Loop: Header=BB6_51 Depth=1
	s_or_b32 exec_lo, exec_lo, s13
	s_delay_alu instid0(VALU_DEP_1) | instskip(NEXT) | instid1(VALU_DEP_2)
	v_add_co_u32 v2, vcc_lo, v8, 15
	v_add_co_ci_u32_e32 v97, vcc_lo, 0, v9, vcc_lo
	s_delay_alu instid0(VALU_DEP_2)
	v_and_b32_e32 v96, -16, v2
.LBB6_57:                               ;   in Loop: Header=BB6_51 Depth=1
	s_or_b32 exec_lo, exec_lo, s12
	s_delay_alu instid0(VALU_DEP_2) | instskip(NEXT) | instid1(VALU_DEP_2)
	v_mul_lo_u32 v2, v97, s26
	v_mul_lo_u32 v8, v96, s27
	v_mad_u64_u32 v[10:11], null, v96, s26, 0
	s_mov_b32 s15, 0
	v_mov_b32_e32 v17, 0
	s_delay_alu instid0(VALU_DEP_2) | instskip(NEXT) | instid1(VALU_DEP_3)
	v_add3_u32 v11, v11, v8, v2
	v_sub_co_u32 v8, vcc_lo, v98, v10
	s_delay_alu instid0(VALU_DEP_2) | instskip(NEXT) | instid1(VALU_DEP_1)
	v_sub_co_ci_u32_e32 v9, vcc_lo, v99, v11, vcc_lo
	v_cmp_lt_i64_e32 vcc_lo, v[96:97], v[8:9]
	v_cndmask_b32_e32 v8, v8, v96, vcc_lo
	v_add_co_u32 v177, vcc_lo, v86, v28
	v_add_co_ci_u32_e32 v178, vcc_lo, v87, v29, vcc_lo
	s_delay_alu instid0(VALU_DEP_3) | instskip(NEXT) | instid1(VALU_DEP_1)
	v_max_i32_e32 v16, 0, v8
	v_add_nc_u32_e32 v2, 31, v16
	s_delay_alu instid0(VALU_DEP_1) | instskip(NEXT) | instid1(VALU_DEP_1)
	v_lshrrev_b32_e32 v2, 1, v2
	v_and_b32_e32 v9, 0x3ffffff0, v2
	v_cmp_lt_i32_e32 vcc_lo, 0, v8
	v_mov_b32_e32 v2, 0
	s_delay_alu instid0(VALU_DEP_3) | instskip(SKIP_1) | instid1(SALU_CYCLE_1)
	v_max_i32_e32 v8, s28, v9
	s_and_b32 s13, s30, vcc_lo
	s_and_saveexec_b32 s12, s13
	s_cbranch_execz .LBB6_220
; %bb.58:                               ;   in Loop: Header=BB6_51 Depth=1
	v_mov_b32_e32 v17, 0
	s_mov_b32 s17, 1
	s_mov_b32 s16, -1
.LBB6_59:                               ;   Parent Loop BB6_51 Depth=1
                                        ; =>  This Loop Header: Depth=2
                                        ;       Child Loop BB6_68 Depth 3
                                        ;       Child Loop BB6_95 Depth 3
	;; [unrolled: 1-line block ×9, first 2 shown]
	s_and_saveexec_b32 s13, s0
	s_cbranch_execz .LBB6_62
; %bb.60:                               ;   in Loop: Header=BB6_59 Depth=2
	s_cbranch_execz .LBB6_61
; %bb.10101:
	s_getpc_b64 s[48:49]
.Lpost_getpc226:
	s_add_u32 s48, s48, (.LBB6_9576-.Lpost_getpc226)&4294967295
	s_addc_u32 s49, s49, (.LBB6_9576-.Lpost_getpc226)>>32
	s_setpc_b64 s[48:49]
.LBB6_61:                               ;   in Loop: Header=BB6_59 Depth=2
	ds_load_b64 v[12:13], v0
	s_waitcnt lgkmcnt(0)
	v_add_co_u32 v2, vcc_lo, v12, v177
	v_add_co_ci_u32_e32 v9, vcc_lo, v13, v178, vcc_lo
	v_ashrrev_i32_e32 v13, 31, v17
	s_delay_alu instid0(VALU_DEP_3) | instskip(NEXT) | instid1(VALU_DEP_3)
	v_add_co_u32 v2, vcc_lo, v2, v10
	v_add_co_ci_u32_e32 v9, vcc_lo, v9, v11, vcc_lo
	s_delay_alu instid0(VALU_DEP_2) | instskip(NEXT) | instid1(VALU_DEP_2)
	v_add_co_u32 v12, vcc_lo, v2, v17
	v_add_co_ci_u32_e32 v13, vcc_lo, v9, v13, vcc_lo
	v_mov_b32_e32 v2, v3
	ds_store_b64 v0, v[12:13]
	ds_store_b64 v0, v[2:3]
.LBB6_62:                               ;   in Loop: Header=BB6_59 Depth=2
	s_or_b32 exec_lo, exec_lo, s13
	v_and_b32_e32 v2, 8, v30
	s_mov_b32 s37, -1
	s_mov_b32 s13, exec_lo
	s_delay_alu instid0(VALU_DEP_1)
	v_cmpx_ne_u32_e32 0, v2
	s_cbranch_execz .LBB6_76
; %bb.63:                               ;   in Loop: Header=BB6_59 Depth=2
	v_add_co_u32 v14, vcc_lo, v82, 8
	v_add_co_ci_u32_e32 v15, vcc_lo, 0, v83, vcc_lo
	v_add_co_u32 v12, vcc_lo, v66, 2
	v_add_co_ci_u32_e32 v13, vcc_lo, 0, v67, vcc_lo
	v_mov_b32_e32 v2, 1
	s_mov_b32 s37, exec_lo
	s_delay_alu instid0(VALU_DEP_2)
	v_cmpx_lt_u64_e64 v[14:15], v[12:13]
	s_cbranch_execz .LBB6_75
; %bb.64:                               ;   in Loop: Header=BB6_59 Depth=2
	v_mov_b32_e32 v2, 0
	s_mov_b32 s38, 0
                                        ; implicit-def: $sgpr39
	s_branch .LBB6_68
.LBB6_65:                               ;   in Loop: Header=BB6_68 Depth=3
	s_or_b32 exec_lo, exec_lo, s43
	v_mov_b32_e32 v9, 0
	s_or_not1_b32 s42, s42, exec_lo
.LBB6_66:                               ;   in Loop: Header=BB6_68 Depth=3
	s_or_b32 exec_lo, exec_lo, s41
	s_delay_alu instid0(VALU_DEP_1) | instskip(SKIP_2) | instid1(SALU_CYCLE_1)
	v_mov_b32_e32 v2, v9
	s_and_not1_b32 vcc_lo, s39, exec_lo
	s_and_b32 s39, s42, exec_lo
	s_or_b32 s39, vcc_lo, s39
.LBB6_67:                               ;   in Loop: Header=BB6_68 Depth=3
	s_or_b32 exec_lo, exec_lo, s40
	s_waitcnt vmcnt(0) lgkmcnt(0)
	v_add_co_u32 v14, vcc_lo, v82, 8
	v_add_co_ci_u32_e32 v15, vcc_lo, 0, v83, vcc_lo
	s_xor_b32 s40, s39, -1
	s_delay_alu instid0(VALU_DEP_1) | instskip(SKIP_1) | instid1(SALU_CYCLE_1)
	v_cmp_ge_u64_e32 vcc_lo, v[14:15], v[12:13]
	s_or_b32 vcc_lo, s40, vcc_lo
	s_and_b32 vcc_lo, exec_lo, vcc_lo
	s_delay_alu instid0(SALU_CYCLE_1) | instskip(NEXT) | instid1(SALU_CYCLE_1)
	s_or_b32 s38, vcc_lo, s38
	s_and_not1_b32 exec_lo, exec_lo, s38
	s_cbranch_execz .LBB6_74
.LBB6_68:                               ;   Parent Loop BB6_51 Depth=1
                                        ;     Parent Loop BB6_59 Depth=2
                                        ; =>    This Inner Loop Header: Depth=3
	s_sleep 1
	flat_load_b64 v[82:83], v[64:65] glc
	v_and_b32_e32 v9, 64, v30
	s_and_not1_b32 s39, s39, exec_lo
	s_mov_b32 s40, exec_lo
	s_delay_alu instid0(VALU_DEP_1)
	v_cmpx_eq_u32_e32 0, v9
	s_cbranch_execz .LBB6_67
; %bb.69:                               ;   in Loop: Header=BB6_68 Depth=3
	v_add_nc_u32_e32 v9, 1, v2
	s_mov_b32 s42, -1
	s_mov_b32 s41, exec_lo
	v_cmpx_lt_i32_e32 0x270e, v2
	s_cbranch_execz .LBB6_66
; %bb.70:                               ;   in Loop: Header=BB6_68 Depth=3
	s_cbranch_execz .LBB6_71
; %bb.10103:
	s_getpc_b64 s[48:49]
.Lpost_getpc227:
	s_add_u32 s48, s48, (.LBB6_9598-.Lpost_getpc227)&4294967295
	s_addc_u32 s49, s49, (.LBB6_9598-.Lpost_getpc227)>>32
	s_setpc_b64 s[48:49]
.LBB6_71:                               ;   in Loop: Header=BB6_68 Depth=3
	ds_load_b64 v[14:15], v0
	s_mov_b32 s43, exec_lo
	s_waitcnt vmcnt(0) lgkmcnt(0)
	s_waitcnt_vscnt null, 0x0
	flat_load_b32 v2, v[14:15] glc
	s_waitcnt vmcnt(0) lgkmcnt(0)
	buffer_gl1_inv
	buffer_gl0_inv
	v_cmpx_ne_u32_e32 0, v2
	s_cbranch_execz .LBB6_65
; %bb.72:                               ;   in Loop: Header=BB6_68 Depth=3
	ds_store_b32 v0, v2
	s_cbranch_execz .LBB6_73
; %bb.10105:
	s_getpc_b64 s[48:49]
.Lpost_getpc228:
	s_add_u32 s48, s48, (.LBB6_9617-.Lpost_getpc228)&4294967295
	s_addc_u32 s49, s49, (.LBB6_9617-.Lpost_getpc228)>>32
	s_setpc_b64 s[48:49]
.LBB6_73:                               ;   in Loop: Header=BB6_68 Depth=3
	v_or_b32_e32 v30, 64, v30
	s_xor_b32 s42, exec_lo, -1
	s_branch .LBB6_65
.LBB6_74:                               ;   in Loop: Header=BB6_59 Depth=2
	s_or_b32 exec_lo, exec_lo, s38
	v_and_b32_e32 v2, 8, v30
.LBB6_75:                               ;   in Loop: Header=BB6_59 Depth=2
	s_or_b32 exec_lo, exec_lo, s37
	s_delay_alu instid0(VALU_DEP_1)
	v_cmp_eq_u32_e32 vcc_lo, 0, v2
	;;#ASMSTART
	s_wakeup
	;;#ASMEND
	s_or_not1_b32 s37, vcc_lo, exec_lo
.LBB6_76:                               ;   in Loop: Header=BB6_59 Depth=2
	s_or_b32 exec_lo, exec_lo, s13
	v_sub_nc_u32_e32 v2, v16, v17
	s_xor_b32 s13, s37, -1
	s_delay_alu instid0(VALU_DEP_1)
	v_min_i32_e32 v8, v8, v2
	s_and_saveexec_b32 s37, s13
	s_cbranch_execz .LBB6_86
; %bb.77:                               ;   in Loop: Header=BB6_59 Depth=2
	v_and_b32_e32 v2, 0x100, v30
	s_mov_b32 s13, -1
                                        ; implicit-def: $vgpr12_vgpr13
	s_delay_alu instid0(VALU_DEP_1)
	v_cmp_ne_u32_e32 vcc_lo, 0, v2
	v_and_b32_e32 v2, 7, v66
	s_and_saveexec_b32 s38, vcc_lo
	s_cbranch_execz .LBB6_81
; %bb.78:                               ;   in Loop: Header=BB6_59 Depth=2
	s_delay_alu instid0(VALU_DEP_1)
	v_mad_u64_u32 v[14:15], null, v2, 24, v[6:7]
	v_ashrrev_i32_e32 v9, 31, v8
	flat_load_b32 v12, v[14:15]
	flat_store_b64 v[14:15], v[8:9] offset:8
	s_waitcnt vmcnt(0) lgkmcnt(1)
	v_cmp_ne_u32_e32 vcc_lo, 1, v12
	v_cmp_eq_u32_e64 s13, 1, v12
                                        ; implicit-def: $vgpr12_vgpr13
	s_delay_alu instid0(VALU_DEP_1)
	s_and_saveexec_b32 s39, s13
	s_cbranch_execz .LBB6_80
; %bb.79:                               ;   in Loop: Header=BB6_59 Depth=2
	flat_load_b32 v12, v[14:15] offset:4 glc
	s_waitcnt vmcnt(0) lgkmcnt(0)
	v_ashrrev_i32_e32 v13, 31, v12
.LBB6_80:                               ;   in Loop: Header=BB6_59 Depth=2
	s_or_b32 exec_lo, exec_lo, s39
	s_delay_alu instid0(SALU_CYCLE_1)
	s_or_not1_b32 s13, vcc_lo, exec_lo
.LBB6_81:                               ;   in Loop: Header=BB6_59 Depth=2
	s_or_b32 exec_lo, exec_lo, s38
	s_and_saveexec_b32 vcc_lo, s13
; %bb.82:                               ;   in Loop: Header=BB6_59 Depth=2
	v_mad_i64_i32 v[12:13], null, v2, v118, 0
; %bb.83:                               ;   in Loop: Header=BB6_59 Depth=2
	s_or_b32 exec_lo, exec_lo, vcc_lo
	s_delay_alu instid0(VALU_DEP_1) | instskip(SKIP_1) | instid1(VALU_DEP_3)
	v_add_co_u32 v12, vcc_lo, v68, v12
	v_and_b32_e32 v2, 0x2000, v30
	v_add_co_ci_u32_e32 v13, vcc_lo, v69, v13, vcc_lo
	s_mov_b32 s13, exec_lo
	ds_store_b64 v0, v[12:13] offset:784
	v_cmpx_ne_u32_e32 0, v2
	s_cbranch_execz .LBB6_85
; %bb.84:                               ;   in Loop: Header=BB6_59 Depth=2
	ds_load_b64 v[12:13], v0 offset:584
	s_waitcnt lgkmcnt(0)
	v_add_co_u32 v12, vcc_lo, v12, 1
	v_add_co_ci_u32_e32 v13, vcc_lo, 0, v13, vcc_lo
	ds_store_b64 v0, v[12:13] offset:584
.LBB6_85:                               ;   in Loop: Header=BB6_59 Depth=2
	s_or_b32 exec_lo, exec_lo, s13
	v_add_co_u32 v66, vcc_lo, v66, 2
	v_add_co_ci_u32_e32 v67, vcc_lo, 0, v67, vcc_lo
.LBB6_86:                               ;   in Loop: Header=BB6_59 Depth=2
	s_or_b32 exec_lo, exec_lo, s37
	s_and_saveexec_b32 s13, s3
	s_cbranch_execz .LBB6_108
; %bb.87:                               ;   in Loop: Header=BB6_59 Depth=2
	s_and_saveexec_b32 vcc_lo, s4
	s_delay_alu instid0(SALU_CYCLE_1)
	s_xor_b32 s37, exec_lo, vcc_lo
	s_cbranch_execz .LBB6_105
; %bb.88:                               ;   in Loop: Header=BB6_59 Depth=2
	s_and_saveexec_b32 s38, s1
	s_cbranch_execz .LBB6_104
; %bb.89:                               ;   in Loop: Header=BB6_59 Depth=2
	s_mov_b32 s40, exec_lo
	s_mov_b32 s39, exec_lo
	v_mbcnt_lo_u32_b32 v2, s40, 0
	s_waitcnt lgkmcnt(0)
	s_waitcnt_vscnt null, 0x0
	buffer_gl1_inv
	buffer_gl0_inv
	v_cmpx_eq_u32_e32 0, v2
	s_cbranch_execz .LBB6_91
; %bb.90:                               ;   in Loop: Header=BB6_59 Depth=2
	s_bcnt1_i32_b32 vcc_lo, s40
	s_delay_alu instid0(SALU_CYCLE_1)
	v_mov_b32_e32 v2, vcc_lo
	ds_add_u64 v0, v[2:3]
	s_cbranch_execz .LBB6_91
; %bb.10107:
	s_getpc_b64 s[48:49]
.Lpost_getpc229:
	s_add_u32 s48, s48, (.LBB6_9643-.Lpost_getpc229)&4294967295
	s_addc_u32 s49, s49, (.LBB6_9643-.Lpost_getpc229)>>32
	s_setpc_b64 s[48:49]
.LBB6_91:                               ;   in Loop: Header=BB6_59 Depth=2
	s_or_b32 exec_lo, exec_lo, s39
	s_cbranch_execz .LBB6_92
; %bb.10109:
	s_getpc_b64 s[48:49]
.Lpost_getpc230:
	s_add_u32 s48, s48, (.LBB6_9623-.Lpost_getpc230)&4294967295
	s_addc_u32 s49, s49, (.LBB6_9623-.Lpost_getpc230)>>32
	s_setpc_b64 s[48:49]
.LBB6_92:                               ;   in Loop: Header=BB6_59 Depth=2
	ds_load_b64 v[12:13], v0
	v_add_co_u32 v80, vcc_lo, v80, v129
	v_add_co_ci_u32_e32 v81, vcc_lo, 0, v81, vcc_lo
	s_mov_b32 s39, exec_lo
	s_waitcnt lgkmcnt(0)
	s_delay_alu instid0(VALU_DEP_1)
	v_cmpx_lt_u64_e64 v[12:13], v[80:81]
	s_cbranch_execz .LBB6_103
; %bb.93:                               ;   in Loop: Header=BB6_59 Depth=2
	s_mov_b32 s40, 0
	s_mov_b32 s43, 0
                                        ; implicit-def: $sgpr41
                                        ; implicit-def: $sgpr42
	s_branch .LBB6_95
.LBB6_94:                               ;   in Loop: Header=BB6_95 Depth=3
	s_or_b32 exec_lo, exec_lo, s45
	s_delay_alu instid0(SALU_CYCLE_1) | instskip(NEXT) | instid1(SALU_CYCLE_1)
	s_and_b32 vcc_lo, exec_lo, vcc_lo
	s_or_b32 s40, vcc_lo, s40
	s_and_not1_b32 vcc_lo, s41, exec_lo
	s_and_b32 s41, s42, exec_lo
	s_delay_alu instid0(SALU_CYCLE_1)
	s_or_b32 s41, vcc_lo, s41
	s_and_not1_b32 exec_lo, exec_lo, s40
	s_cbranch_execz .LBB6_101
.LBB6_95:                               ;   Parent Loop BB6_51 Depth=1
                                        ;     Parent Loop BB6_59 Depth=2
                                        ; =>    This Inner Loop Header: Depth=3
	s_add_i32 s43, s43, 1
                                        ; implicit-def: $sgpr45
	s_delay_alu instid0(SALU_CYCLE_1) | instskip(SKIP_1) | instid1(SALU_CYCLE_1)
	s_cmpk_lg_i32 s43, 0x2710
	s_cselect_b32 s44, -1, 0
	s_and_b32 vcc_lo, exec_lo, s44
	s_cbranch_vccz .LBB6_99
.LBB6_96:                               ;   in Loop: Header=BB6_95 Depth=3
	s_and_not1_b32 s42, s42, exec_lo
	s_and_b32 s45, s45, exec_lo
	s_mov_b32 vcc_lo, -1
	s_or_b32 s42, s42, s45
	s_and_saveexec_b32 s45, s44
	s_cbranch_execz .LBB6_94
; %bb.97:                               ;   in Loop: Header=BB6_95 Depth=3
	s_sleep 1
	s_cbranch_execz .LBB6_98
; %bb.10111:
	s_getpc_b64 s[48:49]
.Lpost_getpc231:
	s_add_u32 s48, s48, (.LBB6_9671-.Lpost_getpc231)&4294967295
	s_addc_u32 s49, s49, (.LBB6_9671-.Lpost_getpc231)>>32
	s_setpc_b64 s[48:49]
.LBB6_98:                               ;   in Loop: Header=BB6_95 Depth=3
	ds_load_b64 v[12:13], v0
	s_and_not1_b32 s42, s42, exec_lo
	s_waitcnt lgkmcnt(0)
	v_cmp_ge_u64_e32 vcc_lo, v[12:13], v[80:81]
	s_or_not1_b32 vcc_lo, vcc_lo, exec_lo
	s_branch .LBB6_94
.LBB6_99:                               ;   in Loop: Header=BB6_95 Depth=3
	s_cbranch_execz .LBB6_100
; %bb.10113:
	s_getpc_b64 s[48:49]
.Lpost_getpc232:
	s_add_u32 s48, s48, (.LBB6_9677-.Lpost_getpc232)&4294967295
	s_addc_u32 s49, s49, (.LBB6_9677-.Lpost_getpc232)>>32
	s_setpc_b64 s[48:49]
.LBB6_100:                              ;   in Loop: Header=BB6_95 Depth=3
	ds_load_b64 v[12:13], v0
	s_and_not1_b32 s44, s44, exec_lo
	s_mov_b32 s43, 0
	s_mov_b32 s45, -1
	s_waitcnt lgkmcnt(0)
	flat_load_b32 v2, v[12:13] glc
	s_waitcnt vmcnt(0) lgkmcnt(0)
	buffer_gl1_inv
	buffer_gl0_inv
	v_cmp_eq_u32_e32 vcc_lo, 0, v2
	s_and_b32 vcc_lo, vcc_lo, exec_lo
	s_delay_alu instid0(SALU_CYCLE_1)
	s_or_b32 s44, s44, vcc_lo
	s_branch .LBB6_96
.LBB6_101:                              ;   in Loop: Header=BB6_59 Depth=2
	s_or_b32 exec_lo, exec_lo, s40
	s_and_saveexec_b32 vcc_lo, s41
	s_delay_alu instid0(SALU_CYCLE_1)
	s_xor_b32 vcc_lo, exec_lo, vcc_lo
	s_cbranch_execz .LBB6_103
; %bb.102:                              ;   in Loop: Header=BB6_59 Depth=2
	ds_store_b32 v0, v176
	s_cbranch_execz .LBB6_103
; %bb.10115:
	s_getpc_b64 s[48:49]
.Lpost_getpc233:
	s_add_u32 s48, s48, (.LBB6_9889-.Lpost_getpc233)&4294967295
	s_addc_u32 s49, s49, (.LBB6_9889-.Lpost_getpc233)>>32
	s_setpc_b64 s[48:49]
.LBB6_103:                              ;   in Loop: Header=BB6_59 Depth=2
	s_or_b32 exec_lo, exec_lo, s39
	;;#ASMSTART
	s_wakeup
	;;#ASMEND
.LBB6_104:                              ;   in Loop: Header=BB6_59 Depth=2
	s_or_b32 exec_lo, exec_lo, s38
.LBB6_105:                              ;   in Loop: Header=BB6_59 Depth=2
	s_and_not1_saveexec_b32 vcc_lo, s37
	s_cbranch_execz .LBB6_107
; %bb.106:                              ;   in Loop: Header=BB6_59 Depth=2
	s_waitcnt lgkmcnt(0)
	s_waitcnt_vscnt null, 0x0
	buffer_gl1_inv
	buffer_gl0_inv
	s_barrier
.LBB6_107:                              ;   in Loop: Header=BB6_59 Depth=2
	s_or_b32 exec_lo, exec_lo, vcc_lo
.LBB6_108:                              ;   in Loop: Header=BB6_59 Depth=2
	s_delay_alu instid0(SALU_CYCLE_1)
	s_or_b32 exec_lo, exec_lo, s13
	s_cbranch_execz .LBB6_109
; %bb.10117:
	s_getpc_b64 s[48:49]
.Lpost_getpc234:
	s_add_u32 s48, s48, (.LBB6_9574-.Lpost_getpc234)&4294967295
	s_addc_u32 s49, s49, (.LBB6_9574-.Lpost_getpc234)>>32
	s_setpc_b64 s[48:49]
.LBB6_109:                              ;   in Loop: Header=BB6_59 Depth=2
	ds_load_b32 v12, v0
	v_and_b32_e32 v2, 0x4000, v30
	s_xor_b32 s13, s2, -1
	s_delay_alu instid0(VALU_DEP_1) | instskip(SKIP_1) | instid1(SALU_CYCLE_1)
	v_cmp_ne_u32_e32 vcc_lo, 0, v2
	s_and_b32 vcc_lo, s13, vcc_lo
	s_and_saveexec_b32 s13, vcc_lo
	s_cbranch_execz .LBB6_131
; %bb.110:                              ;   in Loop: Header=BB6_59 Depth=2
	s_and_saveexec_b32 vcc_lo, s4
	s_delay_alu instid0(SALU_CYCLE_1)
	s_xor_b32 s37, exec_lo, vcc_lo
	s_cbranch_execz .LBB6_128
; %bb.111:                              ;   in Loop: Header=BB6_59 Depth=2
	s_and_saveexec_b32 s38, s1
	s_cbranch_execz .LBB6_127
; %bb.112:                              ;   in Loop: Header=BB6_59 Depth=2
	s_mov_b32 s40, exec_lo
	s_mov_b32 s39, exec_lo
	v_mbcnt_lo_u32_b32 v2, s40, 0
	s_waitcnt lgkmcnt(0)
	s_waitcnt_vscnt null, 0x0
	buffer_gl1_inv
	buffer_gl0_inv
	v_cmpx_eq_u32_e32 0, v2
	s_cbranch_execz .LBB6_114
; %bb.113:                              ;   in Loop: Header=BB6_59 Depth=2
	s_bcnt1_i32_b32 vcc_lo, s40
	s_delay_alu instid0(SALU_CYCLE_1)
	v_mov_b32_e32 v2, vcc_lo
	ds_add_u64 v0, v[2:3]
	s_cbranch_execz .LBB6_114
; %bb.10119:
	s_getpc_b64 s[48:49]
.Lpost_getpc235:
	s_add_u32 s48, s48, (.LBB6_9669-.Lpost_getpc235)&4294967295
	s_addc_u32 s49, s49, (.LBB6_9669-.Lpost_getpc235)>>32
	s_setpc_b64 s[48:49]
.LBB6_114:                              ;   in Loop: Header=BB6_59 Depth=2
	s_or_b32 exec_lo, exec_lo, s39
	s_cbranch_execz .LBB6_115
; %bb.10121:
	s_getpc_b64 s[48:49]
.Lpost_getpc236:
	s_add_u32 s48, s48, (.LBB6_9657-.Lpost_getpc236)&4294967295
	s_addc_u32 s49, s49, (.LBB6_9657-.Lpost_getpc236)>>32
	s_setpc_b64 s[48:49]
.LBB6_115:                              ;   in Loop: Header=BB6_59 Depth=2
	ds_load_b64 v[13:14], v0
	v_add_co_u32 v80, vcc_lo, v80, v129
	v_add_co_ci_u32_e32 v81, vcc_lo, 0, v81, vcc_lo
	s_mov_b32 s39, exec_lo
	s_waitcnt lgkmcnt(0)
	s_delay_alu instid0(VALU_DEP_1)
	v_cmpx_lt_u64_e64 v[13:14], v[80:81]
	s_cbranch_execz .LBB6_126
; %bb.116:                              ;   in Loop: Header=BB6_59 Depth=2
	s_mov_b32 s40, 0
	s_mov_b32 s43, 0
                                        ; implicit-def: $sgpr41
                                        ; implicit-def: $sgpr42
	s_branch .LBB6_118
.LBB6_117:                              ;   in Loop: Header=BB6_118 Depth=3
	s_or_b32 exec_lo, exec_lo, s45
	s_delay_alu instid0(SALU_CYCLE_1) | instskip(NEXT) | instid1(SALU_CYCLE_1)
	s_and_b32 vcc_lo, exec_lo, vcc_lo
	s_or_b32 s40, vcc_lo, s40
	s_and_not1_b32 vcc_lo, s41, exec_lo
	s_and_b32 s41, s42, exec_lo
	s_delay_alu instid0(SALU_CYCLE_1)
	s_or_b32 s41, vcc_lo, s41
	s_and_not1_b32 exec_lo, exec_lo, s40
	s_cbranch_execz .LBB6_124
.LBB6_118:                              ;   Parent Loop BB6_51 Depth=1
                                        ;     Parent Loop BB6_59 Depth=2
                                        ; =>    This Inner Loop Header: Depth=3
	s_add_i32 s43, s43, 1
                                        ; implicit-def: $sgpr45
	s_delay_alu instid0(SALU_CYCLE_1) | instskip(SKIP_1) | instid1(SALU_CYCLE_1)
	s_cmpk_lg_i32 s43, 0x2710
	s_cselect_b32 s44, -1, 0
	s_and_b32 vcc_lo, exec_lo, s44
	s_cbranch_vccz .LBB6_122
.LBB6_119:                              ;   in Loop: Header=BB6_118 Depth=3
	s_and_not1_b32 s42, s42, exec_lo
	s_and_b32 s45, s45, exec_lo
	s_mov_b32 vcc_lo, -1
	s_or_b32 s42, s42, s45
	s_and_saveexec_b32 s45, s44
	s_cbranch_execz .LBB6_117
; %bb.120:                              ;   in Loop: Header=BB6_118 Depth=3
	s_sleep 1
	s_cbranch_execz .LBB6_121
; %bb.10123:
	s_getpc_b64 s[48:49]
.Lpost_getpc237:
	s_add_u32 s48, s48, (.LBB6_9709-.Lpost_getpc237)&4294967295
	s_addc_u32 s49, s49, (.LBB6_9709-.Lpost_getpc237)>>32
	s_setpc_b64 s[48:49]
.LBB6_121:                              ;   in Loop: Header=BB6_118 Depth=3
	ds_load_b64 v[13:14], v0
	s_and_not1_b32 s42, s42, exec_lo
	s_waitcnt lgkmcnt(0)
	v_cmp_ge_u64_e32 vcc_lo, v[13:14], v[80:81]
	s_or_not1_b32 vcc_lo, vcc_lo, exec_lo
	s_branch .LBB6_117
.LBB6_122:                              ;   in Loop: Header=BB6_118 Depth=3
	s_cbranch_execz .LBB6_123
; %bb.10125:
	s_getpc_b64 s[48:49]
.Lpost_getpc238:
	s_add_u32 s48, s48, (.LBB6_9727-.Lpost_getpc238)&4294967295
	s_addc_u32 s49, s49, (.LBB6_9727-.Lpost_getpc238)>>32
	s_setpc_b64 s[48:49]
.LBB6_123:                              ;   in Loop: Header=BB6_118 Depth=3
	ds_load_b64 v[13:14], v0
	s_and_not1_b32 s44, s44, exec_lo
	s_mov_b32 s43, 0
	s_mov_b32 s45, -1
	s_waitcnt lgkmcnt(0)
	flat_load_b32 v2, v[13:14] glc
	s_waitcnt vmcnt(0) lgkmcnt(0)
	buffer_gl1_inv
	buffer_gl0_inv
	v_cmp_eq_u32_e32 vcc_lo, 0, v2
	s_and_b32 vcc_lo, vcc_lo, exec_lo
	s_delay_alu instid0(SALU_CYCLE_1)
	s_or_b32 s44, s44, vcc_lo
	s_branch .LBB6_119
.LBB6_124:                              ;   in Loop: Header=BB6_59 Depth=2
	s_or_b32 exec_lo, exec_lo, s40
	s_and_saveexec_b32 vcc_lo, s41
	s_delay_alu instid0(SALU_CYCLE_1)
	s_xor_b32 vcc_lo, exec_lo, vcc_lo
	s_cbranch_execz .LBB6_126
; %bb.125:                              ;   in Loop: Header=BB6_59 Depth=2
	ds_store_b32 v0, v176
	s_cbranch_execz .LBB6_126
; %bb.10127:
	s_getpc_b64 s[48:49]
.Lpost_getpc239:
	s_add_u32 s48, s48, (.LBB6_9939-.Lpost_getpc239)&4294967295
	s_addc_u32 s49, s49, (.LBB6_9939-.Lpost_getpc239)>>32
	s_setpc_b64 s[48:49]
.LBB6_126:                              ;   in Loop: Header=BB6_59 Depth=2
	s_or_b32 exec_lo, exec_lo, s39
	;;#ASMSTART
	s_wakeup
	;;#ASMEND
.LBB6_127:                              ;   in Loop: Header=BB6_59 Depth=2
	s_or_b32 exec_lo, exec_lo, s38
.LBB6_128:                              ;   in Loop: Header=BB6_59 Depth=2
	s_and_not1_saveexec_b32 vcc_lo, s37
	s_cbranch_execz .LBB6_130
; %bb.129:                              ;   in Loop: Header=BB6_59 Depth=2
	s_waitcnt lgkmcnt(0)
	s_waitcnt_vscnt null, 0x0
	buffer_gl1_inv
	buffer_gl0_inv
	s_barrier
.LBB6_130:                              ;   in Loop: Header=BB6_59 Depth=2
	s_or_b32 exec_lo, exec_lo, vcc_lo
.LBB6_131:                              ;   in Loop: Header=BB6_59 Depth=2
	s_delay_alu instid0(SALU_CYCLE_1)
	s_or_b32 exec_lo, exec_lo, s13
	s_cbranch_execz .LBB6_132
; %bb.10129:
	s_getpc_b64 s[48:49]
.Lpost_getpc240:
	s_add_u32 s48, s48, (.LBB6_9600-.Lpost_getpc240)&4294967295
	s_addc_u32 s49, s49, (.LBB6_9600-.Lpost_getpc240)>>32
	s_setpc_b64 s[48:49]
.LBB6_132:                              ;   in Loop: Header=BB6_59 Depth=2
	ds_load_b64 v[13:14], v0
	v_mov_b32_e32 v9, 0
	s_waitcnt lgkmcnt(0)
	v_cmp_eq_u64_e32 vcc_lo, 0, v[13:14]
	s_or_b32 s13, vcc_lo, vcc_lo
	s_delay_alu instid0(SALU_CYCLE_1)
	s_and_b32 vcc_lo, exec_lo, s13
	s_cbranch_vccnz .LBB6_166
; %bb.133:                              ;   in Loop: Header=BB6_59 Depth=2
	s_mov_b32 s37, s14
	s_mov_b32 s13, -1
	s_and_saveexec_b32 s14, s5
	s_cbranch_execz .LBB6_135
; %bb.134:                              ;   in Loop: Header=BB6_59 Depth=2
	ds_load_b32 v2, v0 offset:720
	s_waitcnt lgkmcnt(0)
	v_and_b32_e32 v2, 15, v2
	s_delay_alu instid0(VALU_DEP_1)
	v_cmp_eq_u32_e32 vcc_lo, 0, v2
	s_or_not1_b32 s13, vcc_lo, exec_lo
.LBB6_135:                              ;   in Loop: Header=BB6_59 Depth=2
	s_or_b32 exec_lo, exec_lo, s14
	s_and_saveexec_b32 s14, s6
	s_cbranch_execz .LBB6_137
; %bb.136:                              ;   in Loop: Header=BB6_59 Depth=2
	ds_load_b32 v2, v0 offset:784
	s_waitcnt lgkmcnt(0)
	v_and_b32_e32 v2, 15, v2
	s_delay_alu instid0(VALU_DEP_1) | instskip(SKIP_3) | instid1(SALU_CYCLE_1)
	v_cmp_eq_u32_e32 vcc_lo, 0, v2
	s_and_b32 vcc_lo, s13, vcc_lo
	s_and_not1_b32 s13, s13, exec_lo
	s_and_b32 vcc_lo, vcc_lo, exec_lo
	s_or_b32 s13, s13, vcc_lo
.LBB6_137:                              ;   in Loop: Header=BB6_59 Depth=2
	s_or_b32 exec_lo, exec_lo, s14
	v_cmp_eq_u32_e32 vcc_lo, 0, v12
	s_xor_b32 s13, s13, -1
	v_mov_b32_e32 v22, v130
	v_cndmask_b32_e64 v2, 0, 1, s13
	;;#ASMSTART
	;;#ASMEND
	v_cndmask_b32_e32 v9, 0, v8, vcc_lo
	s_delay_alu instid0(VALU_DEP_2) | instskip(SKIP_2) | instid1(VALU_DEP_3)
	v_cmp_ne_u32_e32 vcc_lo, 0, v2
	v_mov_b32_e32 v2, 0
	s_mov_b32 s13, -1
	v_dual_mov_b32 v19, v0 :: v_dual_mov_b32 v18, v9
	s_cbranch_vccnz .LBB6_153
; %bb.138:                              ;   in Loop: Header=BB6_59 Depth=2
	v_ashrrev_i32_e32 v2, 31, v9
	s_mov_b32 s13, exec_lo
	s_delay_alu instid0(VALU_DEP_1) | instskip(NEXT) | instid1(VALU_DEP_1)
	v_lshrrev_b32_e32 v2, 20, v2
	v_add_nc_u32_e32 v2, v9, v2
	s_delay_alu instid0(VALU_DEP_1) | instskip(NEXT) | instid1(VALU_DEP_1)
	v_ashrrev_i32_e32 v2, 12, v2
	v_sub_nc_u32_e32 v20, v2, v130
	s_delay_alu instid0(VALU_DEP_1)
	v_cmpx_lt_i32_e32 0, v20
	s_cbranch_execz .LBB6_143
; %bb.139:                              ;   in Loop: Header=BB6_59 Depth=2
	s_cbranch_execz .LBB6_140
; %bb.10131:
	s_getpc_b64 s[48:49]
.Lpost_getpc241:
	s_add_u32 s48, s48, (.LBB6_9681-.Lpost_getpc241)&4294967295
	s_addc_u32 s49, s49, (.LBB6_9681-.Lpost_getpc241)>>32
	s_setpc_b64 s[48:49]
.LBB6_140:                              ;   in Loop: Header=BB6_59 Depth=2
	ds_load_b64 v[12:13], v0
	s_mov_b32 s14, 0
	s_waitcnt lgkmcnt(0)
	v_dual_mov_b32 v15, v13 :: v_dual_mov_b32 v14, v12
.LBB6_141:                              ;   Parent Loop BB6_51 Depth=1
                                        ;     Parent Loop BB6_59 Depth=2
                                        ; =>    This Inner Loop Header: Depth=3
	s_delay_alu instid0(VALU_DEP_1) | instskip(NEXT) | instid1(VALU_DEP_2)
	v_add_co_u32 v18, vcc_lo, v133, v14
	v_add_co_ci_u32_e32 v19, vcc_lo, v135, v15, vcc_lo
	v_sub_nc_u32_e32 v20, v20, v129
	s_clause 0x7
	global_load_b128 v[21:24], v[18:19], off slc dlc
	global_load_b128 v[32:35], v[18:19], off offset:512 slc dlc
	global_load_b128 v[36:39], v[18:19], off offset:1024 slc dlc
	;; [unrolled: 1-line block ×7, first 2 shown]
	v_add_co_u32 v18, vcc_lo, v133, v12
	v_add_co_ci_u32_e32 v19, vcc_lo, v135, v13, vcc_lo
	v_add_co_u32 v14, vcc_lo, v14, v144
	v_add_co_ci_u32_e32 v15, vcc_lo, v15, v145, vcc_lo
	;; [unrolled: 2-line block ×3, first 2 shown]
	v_cmp_gt_i32_e32 vcc_lo, 1, v20
	s_waitcnt vmcnt(7)
	global_store_b128 v[18:19], v[21:24], off glc slc dlc
	s_waitcnt vmcnt(6)
	global_store_b128 v[18:19], v[32:35], off offset:512 glc slc dlc
	s_waitcnt vmcnt(5)
	global_store_b128 v[18:19], v[36:39], off offset:1024 glc slc dlc
	;; [unrolled: 2-line block ×7, first 2 shown]
	s_or_b32 s14, vcc_lo, s14
	s_delay_alu instid0(SALU_CYCLE_1)
	s_and_not1_b32 exec_lo, exec_lo, s14
	s_cbranch_execnz .LBB6_141
; %bb.142:                              ;   in Loop: Header=BB6_59 Depth=2
	s_or_b32 exec_lo, exec_lo, s14
.LBB6_143:                              ;   in Loop: Header=BB6_59 Depth=2
	s_delay_alu instid0(SALU_CYCLE_1) | instskip(SKIP_4) | instid1(VALU_DEP_2)
	s_or_b32 exec_lo, exec_lo, s13
	v_lshlrev_b32_e32 v14, 12, v2
	v_mov_b32_e32 v2, 0
	s_mov_b32 s13, 0
	s_mov_b32 s38, exec_lo
                                        ; implicit-def: $vgpr18
                                        ; implicit-def: $vgpr19
                                        ; implicit-def: $vgpr22
	v_cmpx_ne_u32_e64 v9, v14
	s_cbranch_execz .LBB6_152
; %bb.144:                              ;   in Loop: Header=BB6_59 Depth=2
	v_lshlrev_b32_e32 v2, 5, v20
	v_sub_nc_u32_e32 v13, v9, v14
	s_mov_b32 s39, exec_lo
	s_delay_alu instid0(VALU_DEP_2) | instskip(NEXT) | instid1(VALU_DEP_2)
	v_sub_nc_u32_e32 v2, v131, v2
	v_ashrrev_i32_e32 v15, 31, v13
	s_delay_alu instid0(VALU_DEP_2) | instskip(NEXT) | instid1(VALU_DEP_2)
	v_ashrrev_i32_e32 v12, 31, v2
	v_lshrrev_b32_e32 v15, 23, v15
	s_delay_alu instid0(VALU_DEP_2) | instskip(NEXT) | instid1(VALU_DEP_2)
	v_lshrrev_b32_e32 v12, 27, v12
	v_add_nc_u32_e32 v19, v13, v15
	s_delay_alu instid0(VALU_DEP_2) | instskip(NEXT) | instid1(VALU_DEP_2)
	v_add_nc_u32_e32 v12, v2, v12
	v_and_b32_e32 v15, 0xfffffe00, v19
	v_ashrrev_i32_e32 v19, 9, v19
	s_delay_alu instid0(VALU_DEP_3) | instskip(NEXT) | instid1(VALU_DEP_3)
	v_and_b32_e32 v18, 0xffffffe0, v12
	v_sub_nc_u32_e32 v21, v13, v15
	v_ashrrev_i32_e32 v12, 5, v12
	s_delay_alu instid0(VALU_DEP_3) | instskip(NEXT) | instid1(VALU_DEP_3)
	v_sub_nc_u32_e32 v20, v2, v18
	v_cmp_lt_i32_e32 vcc_lo, 15, v21
	s_delay_alu instid0(VALU_DEP_2) | instskip(SKIP_1) | instid1(VALU_DEP_2)
	v_lshlrev_b32_e32 v2, 4, v20
	v_add_co_ci_u32_e64 v19, s13, 0, v19, vcc_lo
	v_lshl_add_u32 v18, v12, 9, v2
	s_delay_alu instid0(VALU_DEP_2) | instskip(NEXT) | instid1(VALU_DEP_2)
	v_sub_nc_u32_e32 v23, v19, v12
	v_sub_nc_u32_e32 v2, v13, v18
	s_delay_alu instid0(VALU_DEP_1)
	v_cmpx_lt_i32_e32 15, v2
	s_cbranch_execz .LBB6_149
; %bb.145:                              ;   in Loop: Header=BB6_59 Depth=2
	s_cbranch_execz .LBB6_146
; %bb.10133:
	s_getpc_b64 s[48:49]
.Lpost_getpc242:
	s_add_u32 s48, s48, (.LBB6_9745-.Lpost_getpc242)&4294967295
	s_addc_u32 s49, s49, (.LBB6_9745-.Lpost_getpc242)>>32
	s_setpc_b64 s[48:49]
.LBB6_146:                              ;   in Loop: Header=BB6_59 Depth=2
	ds_load_b64 v[12:13], v0
	v_add_nc_u32_e32 v18, v18, v14
	s_mov_b32 s40, 0
	s_delay_alu instid0(VALU_DEP_1)
	v_ashrrev_i32_e32 v19, 31, v18
.LBB6_147:                              ;   Parent Loop BB6_51 Depth=1
                                        ;     Parent Loop BB6_59 Depth=2
                                        ; =>    This Inner Loop Header: Depth=3
	s_waitcnt lgkmcnt(0)
	v_add_co_u32 v32, s13, v12, v18
	s_delay_alu instid0(VALU_DEP_1)
	v_add_co_ci_u32_e64 v33, s13, v13, v19, s13
	v_sub_nc_u32_e32 v2, v2, v132
	v_add_co_u32 v18, s14, v18, v148
	global_load_b128 v[24:27], v[32:33], off slc dlc
	v_sub_nc_u32_e32 v23, v23, v129
	v_cmp_gt_i32_e64 s13, 16, v2
	v_add_co_ci_u32_e64 v19, s14, v19, v149, s14
	s_delay_alu instid0(VALU_DEP_2)
	s_or_b32 s40, s13, s40
	s_waitcnt vmcnt(0)
	global_store_b128 v[32:33], v[24:27], off glc slc dlc
	s_and_not1_b32 exec_lo, exec_lo, s40
	s_cbranch_execnz .LBB6_147
; %bb.148:                              ;   in Loop: Header=BB6_59 Depth=2
	s_or_b32 exec_lo, exec_lo, s40
.LBB6_149:                              ;   in Loop: Header=BB6_59 Depth=2
	s_delay_alu instid0(SALU_CYCLE_1) | instskip(SKIP_4) | instid1(VALU_DEP_2)
	s_or_b32 exec_lo, exec_lo, s39
	v_and_b32_e32 v12, 15, v9
	v_mov_b32_e32 v2, 0
	s_mov_b32 s14, 0
	s_mov_b32 s39, exec_lo
                                        ; implicit-def: $vgpr19
                                        ; implicit-def: $vgpr22
	v_cndmask_b32_e32 v18, v21, v12, vcc_lo
	s_delay_alu instid0(VALU_DEP_1)
	v_cmpx_ne_u32_e32 0, v18
; %bb.150:                              ;   in Loop: Header=BB6_59 Depth=2
	v_cmp_lt_i32_e64 s13, 0, v23
	v_sub_nc_u32_e32 v12, v21, v12
	s_mov_b32 s14, exec_lo
	s_delay_alu instid0(VALU_DEP_2) | instskip(NEXT) | instid1(VALU_DEP_1)
	v_cndmask_b32_e64 v2, 0, v129, s13
	v_sub_nc_u32_e32 v2, v2, v23
	s_delay_alu instid0(VALU_DEP_1) | instskip(NEXT) | instid1(VALU_DEP_1)
	v_lshl_add_u32 v19, v2, 5, v20
	v_ashrrev_i32_e32 v2, 31, v19
	s_delay_alu instid0(VALU_DEP_1) | instskip(NEXT) | instid1(VALU_DEP_1)
	v_lshrrev_b32_e32 v2, 27, v2
	v_dual_cndmask_b32 v12, 0, v12 :: v_dual_add_nc_u32 v13, v19, v2
	s_delay_alu instid0(VALU_DEP_1) | instskip(NEXT) | instid1(VALU_DEP_2)
	v_add3_u32 v2, v15, v14, v12
	v_ashrrev_i32_e32 v22, 5, v13
; %bb.151:                              ;   in Loop: Header=BB6_59 Depth=2
	s_or_b32 exec_lo, exec_lo, s39
	s_delay_alu instid0(SALU_CYCLE_1)
	s_and_b32 s13, s14, exec_lo
.LBB6_152:                              ;   in Loop: Header=BB6_59 Depth=2
	s_or_b32 exec_lo, exec_lo, s38
.LBB6_153:                              ;   in Loop: Header=BB6_59 Depth=2
	s_and_saveexec_b32 s14, s13
	s_cbranch_execz .LBB6_165
; %bb.154:                              ;   in Loop: Header=BB6_59 Depth=2
	s_delay_alu instid0(VALU_DEP_1) | instskip(SKIP_1) | instid1(VALU_DEP_1)
	v_ashrrev_i32_e32 v12, 31, v18
	s_mov_b32 s13, exec_lo
	v_lshrrev_b32_e32 v12, 22, v12
	s_delay_alu instid0(VALU_DEP_1) | instskip(NEXT) | instid1(VALU_DEP_1)
	v_add_nc_u32_e32 v12, v18, v12
	v_ashrrev_i32_e32 v21, 10, v12
	s_delay_alu instid0(VALU_DEP_1) | instskip(NEXT) | instid1(VALU_DEP_1)
	v_sub_nc_u32_e32 v20, v21, v22
	v_cmpx_lt_i32_e32 0, v20
	s_cbranch_execz .LBB6_159
; %bb.155:                              ;   in Loop: Header=BB6_59 Depth=2
	s_cbranch_execz .LBB6_156
; %bb.10135:
	s_getpc_b64 s[48:49]
.Lpost_getpc243:
	s_add_u32 s48, s48, (.LBB6_9675-.Lpost_getpc243)&4294967295
	s_addc_u32 s49, s49, (.LBB6_9675-.Lpost_getpc243)>>32
	s_setpc_b64 s[48:49]
.LBB6_156:                              ;   in Loop: Header=BB6_59 Depth=2
	v_ashrrev_i32_e32 v12, 31, v19
	s_mov_b32 s38, 0
	s_delay_alu instid0(VALU_DEP_1) | instskip(NEXT) | instid1(VALU_DEP_1)
	v_lshrrev_b32_e32 v12, 27, v12
	v_add_nc_u32_e32 v14, v19, v12
	ds_load_b64 v[12:13], v0
	v_lshlrev_b32_e32 v15, 10, v22
	v_and_b32_e32 v14, 0xffffffe0, v14
	s_delay_alu instid0(VALU_DEP_1) | instskip(NEXT) | instid1(VALU_DEP_1)
	v_sub_nc_u32_e32 v14, v19, v14
	v_add3_u32 v22, v2, v14, v15
	s_delay_alu instid0(VALU_DEP_1)
	v_ashrrev_i32_e32 v23, 31, v22
	s_waitcnt lgkmcnt(0)
	v_dual_mov_b32 v15, v13 :: v_dual_mov_b32 v14, v12
.LBB6_157:                              ;   Parent Loop BB6_51 Depth=1
                                        ;     Parent Loop BB6_59 Depth=2
                                        ; =>    This Inner Loop Header: Depth=3
	s_delay_alu instid0(VALU_DEP_1) | instskip(NEXT) | instid1(VALU_DEP_2)
	v_add_co_u32 v24, vcc_lo, v22, v14
	v_add_co_ci_u32_e32 v25, vcc_lo, v23, v15, vcc_lo
	v_sub_nc_u32_e32 v20, v20, v129
	s_clause 0x1f
	flat_load_u8 v26, v[24:25] slc dlc
	flat_load_u8 v27, v[24:25] offset:32 slc dlc
	flat_load_u8 v32, v[24:25] offset:64 slc dlc
	;; [unrolled: 1-line block ×31, first 2 shown]
	v_add_co_u32 v24, vcc_lo, v22, v12
	v_add_co_ci_u32_e32 v25, vcc_lo, v23, v13, vcc_lo
	v_add_co_u32 v14, vcc_lo, v14, v151
	v_add_co_ci_u32_e32 v15, vcc_lo, v15, v160, vcc_lo
	;; [unrolled: 2-line block ×3, first 2 shown]
	v_cmp_gt_i32_e32 vcc_lo, 1, v20
	s_waitcnt vmcnt(31) lgkmcnt(31)
	flat_store_b8 v[24:25], v26 glc slc dlc
	s_waitcnt vmcnt(30) lgkmcnt(31)
	flat_store_b8 v[24:25], v27 offset:32 glc slc dlc
	s_waitcnt vmcnt(29) lgkmcnt(31)
	flat_store_b8 v[24:25], v32 offset:64 glc slc dlc
	;; [unrolled: 2-line block ×31, first 2 shown]
	s_or_b32 s38, vcc_lo, s38
	s_delay_alu instid0(SALU_CYCLE_1)
	s_and_not1_b32 exec_lo, exec_lo, s38
	s_cbranch_execnz .LBB6_157
; %bb.158:                              ;   in Loop: Header=BB6_59 Depth=2
	s_or_b32 exec_lo, exec_lo, s38
.LBB6_159:                              ;   in Loop: Header=BB6_59 Depth=2
	s_delay_alu instid0(SALU_CYCLE_1) | instskip(SKIP_2) | instid1(VALU_DEP_1)
	s_or_b32 exec_lo, exec_lo, s13
	v_lshlrev_b32_e32 v12, 10, v21
	s_mov_b32 s38, exec_lo
	v_cmpx_ne_u32_e64 v18, v12
	s_cbranch_execz .LBB6_164
; %bb.160:                              ;   in Loop: Header=BB6_59 Depth=2
	v_ashrrev_i32_e32 v13, 31, v19
	v_lshlrev_b32_e32 v14, 5, v20
	s_delay_alu instid0(VALU_DEP_2) | instskip(NEXT) | instid1(VALU_DEP_1)
	v_lshrrev_b32_e32 v13, 27, v13
	v_add_nc_u32_e32 v13, v19, v13
	s_delay_alu instid0(VALU_DEP_1) | instskip(NEXT) | instid1(VALU_DEP_1)
	v_and_b32_e32 v13, 0xffffffe0, v13
	v_sub_nc_u32_e32 v13, v19, v13
	s_delay_alu instid0(VALU_DEP_1) | instskip(NEXT) | instid1(VALU_DEP_1)
	v_sub_nc_u32_e32 v13, v13, v14
	v_add_nc_u32_e32 v15, v12, v13
	s_delay_alu instid0(VALU_DEP_1) | instskip(NEXT) | instid1(VALU_DEP_1)
	v_sub_nc_u32_e32 v14, v18, v15
	v_cmp_lt_i32_e32 vcc_lo, 0, v14
	s_and_b32 exec_lo, exec_lo, vcc_lo
	s_cbranch_execz .LBB6_164
; %bb.161:                              ;   in Loop: Header=BB6_59 Depth=2
	s_cbranch_execz .LBB6_162
; %bb.10137:
	s_getpc_b64 s[48:49]
.Lpost_getpc244:
	s_add_u32 s48, s48, (.LBB6_9737-.Lpost_getpc244)&4294967295
	s_addc_u32 s49, s49, (.LBB6_9737-.Lpost_getpc244)>>32
	s_setpc_b64 s[48:49]
.LBB6_162:                              ;   in Loop: Header=BB6_59 Depth=2
	ds_load_b64 v[12:13], v0
	v_add_nc_u32_e32 v2, v15, v2
	s_mov_b32 s39, 0
	s_delay_alu instid0(VALU_DEP_1)
	v_ashrrev_i32_e32 v15, 31, v2
.LBB6_163:                              ;   Parent Loop BB6_51 Depth=1
                                        ;     Parent Loop BB6_59 Depth=2
                                        ; =>    This Inner Loop Header: Depth=3
	s_waitcnt lgkmcnt(0)
	v_add_co_u32 v18, vcc_lo, v12, v2
	s_delay_alu instid0(VALU_DEP_2)
	v_add_co_ci_u32_e32 v19, vcc_lo, v13, v15, vcc_lo
	v_sub_nc_u32_e32 v14, v14, v147
	v_add_co_u32 v2, s13, v2, v162
	flat_load_u8 v20, v[18:19] slc dlc
	v_add_co_ci_u32_e64 v15, s13, v15, v163, s13
	v_cmp_gt_i32_e32 vcc_lo, 1, v14
	s_or_b32 s39, vcc_lo, s39
	s_waitcnt vmcnt(0) lgkmcnt(0)
	flat_store_b8 v[18:19], v20 glc slc dlc
	s_and_not1_b32 exec_lo, exec_lo, s39
	s_cbranch_execnz .LBB6_163
.LBB6_164:                              ;   in Loop: Header=BB6_59 Depth=2
	s_or_b32 exec_lo, exec_lo, s38
.LBB6_165:                              ;   in Loop: Header=BB6_59 Depth=2
	s_delay_alu instid0(SALU_CYCLE_1)
	s_or_b32 exec_lo, exec_lo, s14
	s_mov_b32 s14, s37
.LBB6_166:                              ;   in Loop: Header=BB6_59 Depth=2
	s_and_saveexec_b32 s13, s3
	s_cbranch_execz .LBB6_188
; %bb.167:                              ;   in Loop: Header=BB6_59 Depth=2
	s_and_saveexec_b32 vcc_lo, s4
	s_delay_alu instid0(SALU_CYCLE_1)
	s_xor_b32 s37, exec_lo, vcc_lo
	s_cbranch_execz .LBB6_185
; %bb.168:                              ;   in Loop: Header=BB6_59 Depth=2
	s_and_saveexec_b32 s38, s1
	s_cbranch_execz .LBB6_184
; %bb.169:                              ;   in Loop: Header=BB6_59 Depth=2
	s_mov_b32 s40, exec_lo
	s_mov_b32 s39, exec_lo
	v_mbcnt_lo_u32_b32 v2, s40, 0
	s_waitcnt lgkmcnt(0)
	s_waitcnt_vscnt null, 0x0
	buffer_gl1_inv
	buffer_gl0_inv
	v_cmpx_eq_u32_e32 0, v2
	s_cbranch_execz .LBB6_171
; %bb.170:                              ;   in Loop: Header=BB6_59 Depth=2
	s_bcnt1_i32_b32 vcc_lo, s40
	s_delay_alu instid0(SALU_CYCLE_1)
	v_mov_b32_e32 v2, vcc_lo
	ds_add_u64 v0, v[2:3]
	s_cbranch_execz .LBB6_171
; %bb.10139:
	s_getpc_b64 s[48:49]
.Lpost_getpc245:
	s_add_u32 s48, s48, (.LBB6_9711-.Lpost_getpc245)&4294967295
	s_addc_u32 s49, s49, (.LBB6_9711-.Lpost_getpc245)>>32
	s_setpc_b64 s[48:49]
.LBB6_171:                              ;   in Loop: Header=BB6_59 Depth=2
	s_or_b32 exec_lo, exec_lo, s39
	s_cbranch_execz .LBB6_172
; %bb.10141:
	s_getpc_b64 s[48:49]
.Lpost_getpc246:
	s_add_u32 s48, s48, (.LBB6_9689-.Lpost_getpc246)&4294967295
	s_addc_u32 s49, s49, (.LBB6_9689-.Lpost_getpc246)>>32
	s_setpc_b64 s[48:49]
.LBB6_172:                              ;   in Loop: Header=BB6_59 Depth=2
	ds_load_b64 v[12:13], v0
	v_add_co_u32 v80, vcc_lo, v80, v129
	v_add_co_ci_u32_e32 v81, vcc_lo, 0, v81, vcc_lo
	s_mov_b32 s39, exec_lo
	s_waitcnt lgkmcnt(0)
	s_delay_alu instid0(VALU_DEP_1)
	v_cmpx_lt_u64_e64 v[12:13], v[80:81]
	s_cbranch_execz .LBB6_183
; %bb.173:                              ;   in Loop: Header=BB6_59 Depth=2
	s_mov_b32 s40, 0
	s_mov_b32 s43, 0
                                        ; implicit-def: $sgpr41
                                        ; implicit-def: $sgpr42
	s_branch .LBB6_175
.LBB6_174:                              ;   in Loop: Header=BB6_175 Depth=3
	s_or_b32 exec_lo, exec_lo, s45
	s_delay_alu instid0(SALU_CYCLE_1) | instskip(NEXT) | instid1(SALU_CYCLE_1)
	s_and_b32 vcc_lo, exec_lo, vcc_lo
	s_or_b32 s40, vcc_lo, s40
	s_and_not1_b32 vcc_lo, s41, exec_lo
	s_and_b32 s41, s42, exec_lo
	s_delay_alu instid0(SALU_CYCLE_1)
	s_or_b32 s41, vcc_lo, s41
	s_and_not1_b32 exec_lo, exec_lo, s40
	s_cbranch_execz .LBB6_181
.LBB6_175:                              ;   Parent Loop BB6_51 Depth=1
                                        ;     Parent Loop BB6_59 Depth=2
                                        ; =>    This Inner Loop Header: Depth=3
	s_add_i32 s43, s43, 1
                                        ; implicit-def: $sgpr45
	s_delay_alu instid0(SALU_CYCLE_1) | instskip(SKIP_1) | instid1(SALU_CYCLE_1)
	s_cmpk_lg_i32 s43, 0x2710
	s_cselect_b32 s44, -1, 0
	s_and_b32 vcc_lo, exec_lo, s44
	s_cbranch_vccz .LBB6_179
.LBB6_176:                              ;   in Loop: Header=BB6_175 Depth=3
	s_and_not1_b32 s42, s42, exec_lo
	s_and_b32 s45, s45, exec_lo
	s_mov_b32 vcc_lo, -1
	s_or_b32 s42, s42, s45
	s_and_saveexec_b32 s45, s44
	s_cbranch_execz .LBB6_174
; %bb.177:                              ;   in Loop: Header=BB6_175 Depth=3
	s_sleep 1
	s_cbranch_execz .LBB6_178
; %bb.10143:
	s_getpc_b64 s[48:49]
.Lpost_getpc247:
	s_add_u32 s48, s48, (.LBB6_9763-.Lpost_getpc247)&4294967295
	s_addc_u32 s49, s49, (.LBB6_9763-.Lpost_getpc247)>>32
	s_setpc_b64 s[48:49]
.LBB6_178:                              ;   in Loop: Header=BB6_175 Depth=3
	ds_load_b64 v[12:13], v0
	s_and_not1_b32 s42, s42, exec_lo
	s_waitcnt lgkmcnt(0)
	v_cmp_ge_u64_e32 vcc_lo, v[12:13], v[80:81]
	s_or_not1_b32 vcc_lo, vcc_lo, exec_lo
	s_branch .LBB6_174
.LBB6_179:                              ;   in Loop: Header=BB6_175 Depth=3
	s_cbranch_execz .LBB6_180
; %bb.10145:
	s_getpc_b64 s[48:49]
.Lpost_getpc248:
	s_add_u32 s48, s48, (.LBB6_9773-.Lpost_getpc248)&4294967295
	s_addc_u32 s49, s49, (.LBB6_9773-.Lpost_getpc248)>>32
	s_setpc_b64 s[48:49]
.LBB6_180:                              ;   in Loop: Header=BB6_175 Depth=3
	ds_load_b64 v[12:13], v0
	s_and_not1_b32 s44, s44, exec_lo
	s_mov_b32 s43, 0
	s_mov_b32 s45, -1
	s_waitcnt lgkmcnt(0)
	flat_load_b32 v2, v[12:13] glc
	s_waitcnt vmcnt(0) lgkmcnt(0)
	buffer_gl1_inv
	buffer_gl0_inv
	v_cmp_eq_u32_e32 vcc_lo, 0, v2
	s_and_b32 vcc_lo, vcc_lo, exec_lo
	s_delay_alu instid0(SALU_CYCLE_1)
	s_or_b32 s44, s44, vcc_lo
	s_branch .LBB6_176
.LBB6_181:                              ;   in Loop: Header=BB6_59 Depth=2
	s_or_b32 exec_lo, exec_lo, s40
	s_and_saveexec_b32 vcc_lo, s41
	s_delay_alu instid0(SALU_CYCLE_1)
	s_xor_b32 vcc_lo, exec_lo, vcc_lo
	s_cbranch_execz .LBB6_183
; %bb.182:                              ;   in Loop: Header=BB6_59 Depth=2
	ds_store_b32 v0, v176
	s_cbranch_execz .LBB6_183
; %bb.10147:
	s_getpc_b64 s[48:49]
.Lpost_getpc249:
	s_add_u32 s48, s48, (.LBB6_9987-.Lpost_getpc249)&4294967295
	s_addc_u32 s49, s49, (.LBB6_9987-.Lpost_getpc249)>>32
	s_setpc_b64 s[48:49]
.LBB6_183:                              ;   in Loop: Header=BB6_59 Depth=2
	s_or_b32 exec_lo, exec_lo, s39
	;;#ASMSTART
	s_wakeup
	;;#ASMEND
.LBB6_184:                              ;   in Loop: Header=BB6_59 Depth=2
	s_or_b32 exec_lo, exec_lo, s38
.LBB6_185:                              ;   in Loop: Header=BB6_59 Depth=2
	s_and_not1_saveexec_b32 vcc_lo, s37
	s_cbranch_execz .LBB6_187
; %bb.186:                              ;   in Loop: Header=BB6_59 Depth=2
	s_waitcnt lgkmcnt(0)
	s_waitcnt_vscnt null, 0x0
	buffer_gl1_inv
	buffer_gl0_inv
	s_barrier
.LBB6_187:                              ;   in Loop: Header=BB6_59 Depth=2
	s_or_b32 exec_lo, exec_lo, vcc_lo
.LBB6_188:                              ;   in Loop: Header=BB6_59 Depth=2
	s_delay_alu instid0(SALU_CYCLE_1) | instskip(SKIP_1) | instid1(SALU_CYCLE_1)
	s_or_b32 exec_lo, exec_lo, s13
                                        ; implicit-def: $vgpr2
	s_and_saveexec_b32 s13, s7
	s_xor_b32 s37, exec_lo, s13
	s_cbranch_execz .LBB6_192
; %bb.189:                              ;   in Loop: Header=BB6_59 Depth=2
	v_and_b32_e32 v2, 16, v30
	v_cmp_lt_i32_e32 vcc_lo, 0, v9
	s_delay_alu instid0(VALU_DEP_2) | instskip(SKIP_1) | instid1(VALU_DEP_2)
	v_cmp_ne_u32_e64 s13, 0, v2
	v_and_b32_e32 v2, 16, v30
	s_and_b32 vcc_lo, s13, vcc_lo
	s_delay_alu instid0(SALU_CYCLE_1)
	s_and_saveexec_b32 s13, vcc_lo
	s_cbranch_execz .LBB6_191
; %bb.190:                              ;   in Loop: Header=BB6_59 Depth=2
	v_mov_b32_e32 v2, 1
	s_waitcnt lgkmcnt(0)
	s_waitcnt_vscnt null, 0x0
	buffer_gl1_inv
	buffer_gl0_inv
.LBB6_191:                              ;   in Loop: Header=BB6_59 Depth=2
	s_or_b32 exec_lo, exec_lo, s13
.LBB6_192:                              ;   in Loop: Header=BB6_59 Depth=2
	s_and_not1_saveexec_b32 s13, s37
	s_cbranch_execz .LBB6_214
; %bb.193:                              ;   in Loop: Header=BB6_59 Depth=2
	s_and_saveexec_b32 vcc_lo, s4
	s_delay_alu instid0(SALU_CYCLE_1)
	s_xor_b32 s37, exec_lo, vcc_lo
	s_cbranch_execz .LBB6_211
; %bb.194:                              ;   in Loop: Header=BB6_59 Depth=2
	s_and_saveexec_b32 s38, s1
	s_cbranch_execz .LBB6_210
; %bb.195:                              ;   in Loop: Header=BB6_59 Depth=2
	s_mov_b32 s40, exec_lo
	s_mov_b32 s39, exec_lo
	v_mbcnt_lo_u32_b32 v2, s40, 0
	;;#ASMSTART
	s_waitcnt lgkmcnt(0) vmcnt(0)
	;;#ASMEND
	s_delay_alu instid0(VALU_DEP_1)
	v_cmpx_eq_u32_e32 0, v2
	s_cbranch_execz .LBB6_197
; %bb.196:                              ;   in Loop: Header=BB6_59 Depth=2
	s_bcnt1_i32_b32 vcc_lo, s40
	s_delay_alu instid0(SALU_CYCLE_1)
	v_mov_b32_e32 v2, vcc_lo
	ds_add_u64 v0, v[2:3]
	s_cbranch_execz .LBB6_197
; %bb.10149:
	s_getpc_b64 s[48:49]
.Lpost_getpc250:
	s_add_u32 s48, s48, (.LBB6_9719-.Lpost_getpc250)&4294967295
	s_addc_u32 s49, s49, (.LBB6_9719-.Lpost_getpc250)>>32
	s_setpc_b64 s[48:49]
.LBB6_197:                              ;   in Loop: Header=BB6_59 Depth=2
	s_or_b32 exec_lo, exec_lo, s39
	s_cbranch_execz .LBB6_198
; %bb.10151:
	s_getpc_b64 s[48:49]
.Lpost_getpc251:
	s_add_u32 s48, s48, (.LBB6_9695-.Lpost_getpc251)&4294967295
	s_addc_u32 s49, s49, (.LBB6_9695-.Lpost_getpc251)>>32
	s_setpc_b64 s[48:49]
.LBB6_198:                              ;   in Loop: Header=BB6_59 Depth=2
	ds_load_b64 v[12:13], v0
	v_add_co_u32 v80, vcc_lo, v80, v129
	v_add_co_ci_u32_e32 v81, vcc_lo, 0, v81, vcc_lo
	s_mov_b32 s39, exec_lo
	s_waitcnt lgkmcnt(0)
	s_delay_alu instid0(VALU_DEP_1)
	v_cmpx_lt_u64_e64 v[12:13], v[80:81]
	s_cbranch_execz .LBB6_209
; %bb.199:                              ;   in Loop: Header=BB6_59 Depth=2
	s_mov_b32 s40, 0
	s_mov_b32 s43, 0
                                        ; implicit-def: $sgpr41
                                        ; implicit-def: $sgpr42
	s_branch .LBB6_201
.LBB6_200:                              ;   in Loop: Header=BB6_201 Depth=3
	s_or_b32 exec_lo, exec_lo, s45
	s_delay_alu instid0(SALU_CYCLE_1) | instskip(NEXT) | instid1(SALU_CYCLE_1)
	s_and_b32 vcc_lo, exec_lo, vcc_lo
	s_or_b32 s40, vcc_lo, s40
	s_and_not1_b32 vcc_lo, s41, exec_lo
	s_and_b32 s41, s42, exec_lo
	s_delay_alu instid0(SALU_CYCLE_1)
	s_or_b32 s41, vcc_lo, s41
	s_and_not1_b32 exec_lo, exec_lo, s40
	s_cbranch_execz .LBB6_207
.LBB6_201:                              ;   Parent Loop BB6_51 Depth=1
                                        ;     Parent Loop BB6_59 Depth=2
                                        ; =>    This Inner Loop Header: Depth=3
	s_add_i32 s43, s43, 1
                                        ; implicit-def: $sgpr45
	s_delay_alu instid0(SALU_CYCLE_1) | instskip(SKIP_1) | instid1(SALU_CYCLE_1)
	s_cmpk_lg_i32 s43, 0x2710
	s_cselect_b32 s44, -1, 0
	s_and_b32 vcc_lo, exec_lo, s44
	s_cbranch_vccz .LBB6_205
.LBB6_202:                              ;   in Loop: Header=BB6_201 Depth=3
	s_and_not1_b32 s42, s42, exec_lo
	s_and_b32 s45, s45, exec_lo
	s_mov_b32 vcc_lo, -1
	s_or_b32 s42, s42, s45
	s_and_saveexec_b32 s45, s44
	s_cbranch_execz .LBB6_200
; %bb.203:                              ;   in Loop: Header=BB6_201 Depth=3
	s_sleep 1
	s_cbranch_execz .LBB6_204
; %bb.10153:
	s_getpc_b64 s[48:49]
.Lpost_getpc252:
	s_add_u32 s48, s48, (.LBB6_9767-.Lpost_getpc252)&4294967295
	s_addc_u32 s49, s49, (.LBB6_9767-.Lpost_getpc252)>>32
	s_setpc_b64 s[48:49]
.LBB6_204:                              ;   in Loop: Header=BB6_201 Depth=3
	ds_load_b64 v[12:13], v0
	s_and_not1_b32 s42, s42, exec_lo
	s_waitcnt lgkmcnt(0)
	v_cmp_ge_u64_e32 vcc_lo, v[12:13], v[80:81]
	s_or_not1_b32 vcc_lo, vcc_lo, exec_lo
	s_branch .LBB6_200
.LBB6_205:                              ;   in Loop: Header=BB6_201 Depth=3
	s_cbranch_execz .LBB6_206
; %bb.10155:
	s_getpc_b64 s[48:49]
.Lpost_getpc253:
	s_add_u32 s48, s48, (.LBB6_9787-.Lpost_getpc253)&4294967295
	s_addc_u32 s49, s49, (.LBB6_9787-.Lpost_getpc253)>>32
	s_setpc_b64 s[48:49]
.LBB6_206:                              ;   in Loop: Header=BB6_201 Depth=3
	ds_load_b64 v[12:13], v0
	s_and_not1_b32 s44, s44, exec_lo
	s_mov_b32 s43, 0
	s_mov_b32 s45, -1
	s_waitcnt lgkmcnt(0)
	s_waitcnt_vscnt null, 0x0
	flat_load_b32 v2, v[12:13] glc
	s_waitcnt vmcnt(0) lgkmcnt(0)
	buffer_gl1_inv
	buffer_gl0_inv
	v_cmp_eq_u32_e32 vcc_lo, 0, v2
	s_and_b32 vcc_lo, vcc_lo, exec_lo
	s_delay_alu instid0(SALU_CYCLE_1)
	s_or_b32 s44, s44, vcc_lo
	s_branch .LBB6_202
.LBB6_207:                              ;   in Loop: Header=BB6_59 Depth=2
	s_or_b32 exec_lo, exec_lo, s40
	s_and_saveexec_b32 vcc_lo, s41
	s_delay_alu instid0(SALU_CYCLE_1)
	s_xor_b32 vcc_lo, exec_lo, vcc_lo
	s_cbranch_execz .LBB6_209
; %bb.208:                              ;   in Loop: Header=BB6_59 Depth=2
	ds_store_b32 v0, v176
	s_cbranch_execz .LBB6_209
; %bb.10157:
	s_getpc_b64 s[48:49]
.Lpost_getpc254:
	s_add_u32 s48, s48, (.LBB6_9991-.Lpost_getpc254)&4294967295
	s_addc_u32 s49, s49, (.LBB6_9991-.Lpost_getpc254)>>32
	s_setpc_b64 s[48:49]
.LBB6_209:                              ;   in Loop: Header=BB6_59 Depth=2
	s_or_b32 exec_lo, exec_lo, s39
	;;#ASMSTART
	s_wakeup
	;;#ASMEND
.LBB6_210:                              ;   in Loop: Header=BB6_59 Depth=2
	s_or_b32 exec_lo, exec_lo, s38
.LBB6_211:                              ;   in Loop: Header=BB6_59 Depth=2
	s_and_not1_saveexec_b32 vcc_lo, s37
	s_cbranch_execz .LBB6_213
; %bb.212:                              ;   in Loop: Header=BB6_59 Depth=2
	;;#ASMSTART
	s_waitcnt lgkmcnt(0) vmcnt(0)
	;;#ASMEND
	s_waitcnt lgkmcnt(0)
	s_waitcnt_vscnt null, 0x0
	s_barrier
.LBB6_213:                              ;   in Loop: Header=BB6_59 Depth=2
	s_or_b32 exec_lo, exec_lo, vcc_lo
	v_and_b32_e32 v2, 16, v30
.LBB6_214:                              ;   in Loop: Header=BB6_59 Depth=2
	s_or_b32 exec_lo, exec_lo, s13
	s_delay_alu instid0(SALU_CYCLE_1) | instskip(NEXT) | instid1(VALU_DEP_1)
	s_mov_b32 s13, exec_lo
	v_cmpx_ne_u32_e32 0, v2
	s_cbranch_execz .LBB6_218
; %bb.215:                              ;   in Loop: Header=BB6_59 Depth=2
	s_and_saveexec_b32 vcc_lo, s11
	s_cbranch_execz .LBB6_217
; %bb.216:                              ;   in Loop: Header=BB6_59 Depth=2
	s_waitcnt lgkmcnt(0)
	s_waitcnt_vscnt null, 0x0
	flat_store_b32 v[70:71], v176
.LBB6_217:                              ;   in Loop: Header=BB6_59 Depth=2
	s_or_b32 exec_lo, exec_lo, vcc_lo
	v_add_co_u32 v66, vcc_lo, v66, 2
	v_add_co_ci_u32_e32 v67, vcc_lo, 0, v67, vcc_lo
	s_waitcnt lgkmcnt(0)
	s_waitcnt_vscnt null, 0x0
	flat_store_b64 v[64:65], v[66:67]
.LBB6_218:                              ;   in Loop: Header=BB6_59 Depth=2
	s_or_b32 exec_lo, exec_lo, s13
	v_dual_mov_b32 v2, s17 :: v_dual_add_nc_u32 v17, v8, v17
	s_xor_b32 s13, s16, -1
	s_mov_b32 s16, 0
	s_mov_b32 s17, 2
	s_delay_alu instid0(VALU_DEP_1) | instskip(SKIP_1) | instid1(SALU_CYCLE_1)
	v_cmp_ge_i32_e32 vcc_lo, v17, v16
	s_or_b32 s13, s13, vcc_lo
	s_and_b32 s13, exec_lo, s13
	s_delay_alu instid0(SALU_CYCLE_1) | instskip(NEXT) | instid1(SALU_CYCLE_1)
	s_or_b32 s15, s13, s15
	s_and_not1_b32 exec_lo, exec_lo, s15
	s_cbranch_execnz .LBB6_59
; %bb.219:                              ;   in Loop: Header=BB6_51 Depth=1
	s_or_b32 exec_lo, exec_lo, s15
.LBB6_220:                              ;   in Loop: Header=BB6_51 Depth=1
	s_delay_alu instid0(SALU_CYCLE_1) | instskip(NEXT) | instid1(SALU_CYCLE_1)
	s_or_b32 exec_lo, exec_lo, s12
	s_mov_b32 s12, exec_lo
	v_cmpx_gt_i32_e32 2, v2
	s_cbranch_execz .LBB6_301
; %bb.221:                              ;   in Loop: Header=BB6_51 Depth=1
	v_cmp_eq_u32_e64 s13, 0, v2
	s_mov_b32 s15, 0
.LBB6_222:                              ;   Parent Loop BB6_51 Depth=1
                                        ; =>  This Loop Header: Depth=2
                                        ;       Child Loop BB6_228 Depth 3
                                        ;       Child Loop BB6_255 Depth 3
	;; [unrolled: 1-line block ×3, first 2 shown]
	v_and_b32_e32 v2, 8, v30
	s_mov_b32 s17, -1
	s_mov_b32 s16, exec_lo
	s_delay_alu instid0(VALU_DEP_1)
	v_cmpx_ne_u32_e32 0, v2
	s_cbranch_execz .LBB6_236
; %bb.223:                              ;   in Loop: Header=BB6_222 Depth=2
	v_add_co_u32 v11, vcc_lo, v82, 8
	v_add_co_ci_u32_e32 v12, vcc_lo, 0, v83, vcc_lo
	v_add_co_u32 v9, vcc_lo, v66, 2
	v_add_co_ci_u32_e32 v10, vcc_lo, 0, v67, vcc_lo
	v_mov_b32_e32 v2, 1
	s_mov_b32 s17, exec_lo
	s_delay_alu instid0(VALU_DEP_2)
	v_cmpx_lt_u64_e64 v[11:12], v[9:10]
	s_cbranch_execz .LBB6_235
; %bb.224:                              ;   in Loop: Header=BB6_222 Depth=2
	v_mov_b32_e32 v2, 0
	s_mov_b32 s37, 0
                                        ; implicit-def: $sgpr38
	s_branch .LBB6_228
.LBB6_225:                              ;   in Loop: Header=BB6_228 Depth=3
	s_or_b32 exec_lo, exec_lo, s42
	v_mov_b32_e32 v11, 0
	s_or_not1_b32 s41, s41, exec_lo
.LBB6_226:                              ;   in Loop: Header=BB6_228 Depth=3
	s_or_b32 exec_lo, exec_lo, s40
	s_delay_alu instid0(VALU_DEP_1) | instskip(SKIP_2) | instid1(SALU_CYCLE_1)
	v_mov_b32_e32 v2, v11
	s_and_not1_b32 vcc_lo, s38, exec_lo
	s_and_b32 s38, s41, exec_lo
	s_or_b32 s38, vcc_lo, s38
.LBB6_227:                              ;   in Loop: Header=BB6_228 Depth=3
	s_or_b32 exec_lo, exec_lo, s39
	s_waitcnt vmcnt(0) lgkmcnt(0)
	v_add_co_u32 v11, vcc_lo, v82, 8
	v_add_co_ci_u32_e32 v12, vcc_lo, 0, v83, vcc_lo
	s_xor_b32 s39, s38, -1
	s_delay_alu instid0(VALU_DEP_1) | instskip(SKIP_1) | instid1(SALU_CYCLE_1)
	v_cmp_ge_u64_e32 vcc_lo, v[11:12], v[9:10]
	s_or_b32 vcc_lo, s39, vcc_lo
	s_and_b32 vcc_lo, exec_lo, vcc_lo
	s_delay_alu instid0(SALU_CYCLE_1) | instskip(NEXT) | instid1(SALU_CYCLE_1)
	s_or_b32 s37, vcc_lo, s37
	s_and_not1_b32 exec_lo, exec_lo, s37
	s_cbranch_execz .LBB6_234
.LBB6_228:                              ;   Parent Loop BB6_51 Depth=1
                                        ;     Parent Loop BB6_222 Depth=2
                                        ; =>    This Inner Loop Header: Depth=3
	s_sleep 1
	flat_load_b64 v[82:83], v[64:65] glc
	v_and_b32_e32 v11, 64, v30
	s_and_not1_b32 s38, s38, exec_lo
	s_mov_b32 s39, exec_lo
	s_delay_alu instid0(VALU_DEP_1)
	v_cmpx_eq_u32_e32 0, v11
	s_cbranch_execz .LBB6_227
; %bb.229:                              ;   in Loop: Header=BB6_228 Depth=3
	v_add_nc_u32_e32 v11, 1, v2
	s_mov_b32 s41, -1
	s_mov_b32 s40, exec_lo
	v_cmpx_lt_i32_e32 0x270e, v2
	s_cbranch_execz .LBB6_226
; %bb.230:                              ;   in Loop: Header=BB6_228 Depth=3
	s_cbranch_execz .LBB6_231
; %bb.10159:
	s_getpc_b64 s[48:49]
.Lpost_getpc255:
	s_add_u32 s48, s48, (.LBB6_9594-.Lpost_getpc255)&4294967295
	s_addc_u32 s49, s49, (.LBB6_9594-.Lpost_getpc255)>>32
	s_setpc_b64 s[48:49]
.LBB6_231:                              ;   in Loop: Header=BB6_228 Depth=3
	ds_load_b64 v[11:12], v0
	s_mov_b32 s42, exec_lo
	s_waitcnt vmcnt(0) lgkmcnt(0)
	s_waitcnt_vscnt null, 0x0
	flat_load_b32 v2, v[11:12] glc
	s_waitcnt vmcnt(0) lgkmcnt(0)
	buffer_gl1_inv
	buffer_gl0_inv
	v_cmpx_ne_u32_e32 0, v2
	s_cbranch_execz .LBB6_225
; %bb.232:                              ;   in Loop: Header=BB6_228 Depth=3
	ds_store_b32 v0, v2
	s_cbranch_execz .LBB6_233
; %bb.10161:
	s_getpc_b64 s[48:49]
.Lpost_getpc256:
	s_add_u32 s48, s48, (.LBB6_9606-.Lpost_getpc256)&4294967295
	s_addc_u32 s49, s49, (.LBB6_9606-.Lpost_getpc256)>>32
	s_setpc_b64 s[48:49]
.LBB6_233:                              ;   in Loop: Header=BB6_228 Depth=3
	v_or_b32_e32 v30, 64, v30
	s_xor_b32 s41, exec_lo, -1
	s_branch .LBB6_225
.LBB6_234:                              ;   in Loop: Header=BB6_222 Depth=2
	s_or_b32 exec_lo, exec_lo, s37
	v_and_b32_e32 v2, 8, v30
.LBB6_235:                              ;   in Loop: Header=BB6_222 Depth=2
	s_or_b32 exec_lo, exec_lo, s17
	s_delay_alu instid0(VALU_DEP_1)
	v_cmp_eq_u32_e32 vcc_lo, 0, v2
	;;#ASMSTART
	s_wakeup
	;;#ASMEND
	s_or_not1_b32 s17, vcc_lo, exec_lo
.LBB6_236:                              ;   in Loop: Header=BB6_222 Depth=2
	s_or_b32 exec_lo, exec_lo, s16
	v_sub_nc_u32_e32 v2, v16, v17
	s_xor_b32 s13, s13, -1
	s_delay_alu instid0(SALU_CYCLE_1) | instskip(NEXT) | instid1(SALU_CYCLE_1)
	s_and_b32 s13, exec_lo, s13
	s_or_b32 s15, s13, s15
	s_delay_alu instid0(VALU_DEP_1) | instskip(SKIP_1) | instid1(SALU_CYCLE_1)
	v_min_i32_e32 v8, v8, v2
	s_xor_b32 s13, s17, -1
	s_and_saveexec_b32 s16, s13
	s_cbranch_execz .LBB6_246
; %bb.237:                              ;   in Loop: Header=BB6_222 Depth=2
	v_and_b32_e32 v2, 0x100, v30
	s_mov_b32 s13, -1
                                        ; implicit-def: $vgpr9_vgpr10
	s_delay_alu instid0(VALU_DEP_1)
	v_cmp_ne_u32_e32 vcc_lo, 0, v2
	v_and_b32_e32 v2, 7, v66
	s_and_saveexec_b32 s17, vcc_lo
	s_cbranch_execz .LBB6_241
; %bb.238:                              ;   in Loop: Header=BB6_222 Depth=2
	s_delay_alu instid0(VALU_DEP_1)
	v_mad_u64_u32 v[11:12], null, v2, 24, v[6:7]
	v_ashrrev_i32_e32 v9, 31, v8
	flat_load_b32 v10, v[11:12]
	flat_store_b64 v[11:12], v[8:9] offset:8
	s_waitcnt vmcnt(0) lgkmcnt(1)
	v_cmp_ne_u32_e32 vcc_lo, 1, v10
	v_cmp_eq_u32_e64 s13, 1, v10
                                        ; implicit-def: $vgpr9_vgpr10
	s_delay_alu instid0(VALU_DEP_1)
	s_and_saveexec_b32 s37, s13
	s_cbranch_execz .LBB6_240
; %bb.239:                              ;   in Loop: Header=BB6_222 Depth=2
	flat_load_b32 v9, v[11:12] offset:4 glc
	s_waitcnt vmcnt(0) lgkmcnt(0)
	v_ashrrev_i32_e32 v10, 31, v9
.LBB6_240:                              ;   in Loop: Header=BB6_222 Depth=2
	s_or_b32 exec_lo, exec_lo, s37
	s_delay_alu instid0(SALU_CYCLE_1)
	s_or_not1_b32 s13, vcc_lo, exec_lo
.LBB6_241:                              ;   in Loop: Header=BB6_222 Depth=2
	s_or_b32 exec_lo, exec_lo, s17
	s_and_saveexec_b32 s17, s13
; %bb.242:                              ;   in Loop: Header=BB6_222 Depth=2
	v_mad_i64_i32 v[9:10], null, v2, v118, 0
; %bb.243:                              ;   in Loop: Header=BB6_222 Depth=2
	s_or_b32 exec_lo, exec_lo, s17
	s_delay_alu instid0(VALU_DEP_1) | instskip(SKIP_1) | instid1(VALU_DEP_3)
	v_add_co_u32 v9, vcc_lo, v68, v9
	v_and_b32_e32 v2, 0x2000, v30
	v_add_co_ci_u32_e32 v10, vcc_lo, v69, v10, vcc_lo
	s_mov_b32 s13, exec_lo
	ds_store_b64 v0, v[9:10] offset:784
	v_cmpx_ne_u32_e32 0, v2
	s_cbranch_execz .LBB6_245
; %bb.244:                              ;   in Loop: Header=BB6_222 Depth=2
	ds_load_b64 v[9:10], v0 offset:584
	s_waitcnt lgkmcnt(0)
	v_add_co_u32 v9, vcc_lo, v9, 1
	v_add_co_ci_u32_e32 v10, vcc_lo, 0, v10, vcc_lo
	ds_store_b64 v0, v[9:10] offset:584
.LBB6_245:                              ;   in Loop: Header=BB6_222 Depth=2
	s_or_b32 exec_lo, exec_lo, s13
	v_add_co_u32 v66, vcc_lo, v66, 2
	v_add_co_ci_u32_e32 v67, vcc_lo, 0, v67, vcc_lo
.LBB6_246:                              ;   in Loop: Header=BB6_222 Depth=2
	s_or_b32 exec_lo, exec_lo, s16
	s_and_saveexec_b32 s13, s3
	s_cbranch_execz .LBB6_268
; %bb.247:                              ;   in Loop: Header=BB6_222 Depth=2
	s_and_saveexec_b32 s16, s4
	s_delay_alu instid0(SALU_CYCLE_1)
	s_xor_b32 s16, exec_lo, s16
	s_cbranch_execz .LBB6_265
; %bb.248:                              ;   in Loop: Header=BB6_222 Depth=2
	s_and_saveexec_b32 s17, s1
	s_cbranch_execz .LBB6_264
; %bb.249:                              ;   in Loop: Header=BB6_222 Depth=2
	s_mov_b32 s38, exec_lo
	s_mov_b32 s37, exec_lo
	v_mbcnt_lo_u32_b32 v2, s38, 0
	s_waitcnt lgkmcnt(0)
	s_waitcnt_vscnt null, 0x0
	buffer_gl1_inv
	buffer_gl0_inv
	v_cmpx_eq_u32_e32 0, v2
	s_cbranch_execz .LBB6_251
; %bb.250:                              ;   in Loop: Header=BB6_222 Depth=2
	s_bcnt1_i32_b32 vcc_lo, s38
	s_delay_alu instid0(SALU_CYCLE_1)
	v_mov_b32_e32 v2, vcc_lo
	ds_add_u64 v0, v[2:3]
	s_cbranch_execz .LBB6_251
; %bb.10163:
	s_getpc_b64 s[48:49]
.Lpost_getpc257:
	s_add_u32 s48, s48, (.LBB6_9637-.Lpost_getpc257)&4294967295
	s_addc_u32 s49, s49, (.LBB6_9637-.Lpost_getpc257)>>32
	s_setpc_b64 s[48:49]
.LBB6_251:                              ;   in Loop: Header=BB6_222 Depth=2
	s_or_b32 exec_lo, exec_lo, s37
	s_cbranch_execz .LBB6_252
; %bb.10165:
	s_getpc_b64 s[48:49]
.Lpost_getpc258:
	s_add_u32 s48, s48, (.LBB6_9619-.Lpost_getpc258)&4294967295
	s_addc_u32 s49, s49, (.LBB6_9619-.Lpost_getpc258)>>32
	s_setpc_b64 s[48:49]
.LBB6_252:                              ;   in Loop: Header=BB6_222 Depth=2
	ds_load_b64 v[9:10], v0
	v_add_co_u32 v80, vcc_lo, v80, v129
	v_add_co_ci_u32_e32 v81, vcc_lo, 0, v81, vcc_lo
	s_mov_b32 s37, exec_lo
	s_waitcnt lgkmcnt(0)
	s_delay_alu instid0(VALU_DEP_1)
	v_cmpx_lt_u64_e64 v[9:10], v[80:81]
	s_cbranch_execz .LBB6_263
; %bb.253:                              ;   in Loop: Header=BB6_222 Depth=2
	s_mov_b32 s38, 0
	s_mov_b32 s41, 0
                                        ; implicit-def: $sgpr39
                                        ; implicit-def: $sgpr40
	s_branch .LBB6_255
.LBB6_254:                              ;   in Loop: Header=BB6_255 Depth=3
	s_or_b32 exec_lo, exec_lo, s43
	s_delay_alu instid0(SALU_CYCLE_1) | instskip(NEXT) | instid1(SALU_CYCLE_1)
	s_and_b32 vcc_lo, exec_lo, vcc_lo
	s_or_b32 s38, vcc_lo, s38
	s_and_not1_b32 vcc_lo, s39, exec_lo
	s_and_b32 s39, s40, exec_lo
	s_delay_alu instid0(SALU_CYCLE_1)
	s_or_b32 s39, vcc_lo, s39
	s_and_not1_b32 exec_lo, exec_lo, s38
	s_cbranch_execz .LBB6_261
.LBB6_255:                              ;   Parent Loop BB6_51 Depth=1
                                        ;     Parent Loop BB6_222 Depth=2
                                        ; =>    This Inner Loop Header: Depth=3
	s_add_i32 s41, s41, 1
                                        ; implicit-def: $sgpr43
	s_delay_alu instid0(SALU_CYCLE_1) | instskip(SKIP_1) | instid1(SALU_CYCLE_1)
	s_cmpk_lg_i32 s41, 0x2710
	s_cselect_b32 s42, -1, 0
	s_and_b32 vcc_lo, exec_lo, s42
	s_cbranch_vccz .LBB6_259
.LBB6_256:                              ;   in Loop: Header=BB6_255 Depth=3
	s_and_not1_b32 s40, s40, exec_lo
	s_and_b32 s43, s43, exec_lo
	s_mov_b32 vcc_lo, -1
	s_or_b32 s40, s40, s43
	s_and_saveexec_b32 s43, s42
	s_cbranch_execz .LBB6_254
; %bb.257:                              ;   in Loop: Header=BB6_255 Depth=3
	s_sleep 1
	s_cbranch_execz .LBB6_258
; %bb.10167:
	s_getpc_b64 s[48:49]
.Lpost_getpc259:
	s_add_u32 s48, s48, (.LBB6_9667-.Lpost_getpc259)&4294967295
	s_addc_u32 s49, s49, (.LBB6_9667-.Lpost_getpc259)>>32
	s_setpc_b64 s[48:49]
.LBB6_258:                              ;   in Loop: Header=BB6_255 Depth=3
	ds_load_b64 v[9:10], v0
	s_and_not1_b32 s40, s40, exec_lo
	s_waitcnt lgkmcnt(0)
	v_cmp_ge_u64_e32 vcc_lo, v[9:10], v[80:81]
	s_or_not1_b32 vcc_lo, vcc_lo, exec_lo
	s_branch .LBB6_254
.LBB6_259:                              ;   in Loop: Header=BB6_255 Depth=3
	s_cbranch_execz .LBB6_260
; %bb.10169:
	s_getpc_b64 s[48:49]
.Lpost_getpc260:
	s_add_u32 s48, s48, (.LBB6_9673-.Lpost_getpc260)&4294967295
	s_addc_u32 s49, s49, (.LBB6_9673-.Lpost_getpc260)>>32
	s_setpc_b64 s[48:49]
.LBB6_260:                              ;   in Loop: Header=BB6_255 Depth=3
	ds_load_b64 v[9:10], v0
	s_and_not1_b32 s42, s42, exec_lo
	s_mov_b32 s41, 0
	s_mov_b32 s43, -1
	s_waitcnt lgkmcnt(0)
	flat_load_b32 v2, v[9:10] glc
	s_waitcnt vmcnt(0) lgkmcnt(0)
	buffer_gl1_inv
	buffer_gl0_inv
	v_cmp_eq_u32_e32 vcc_lo, 0, v2
	s_and_b32 vcc_lo, vcc_lo, exec_lo
	s_delay_alu instid0(SALU_CYCLE_1)
	s_or_b32 s42, s42, vcc_lo
	s_branch .LBB6_256
.LBB6_261:                              ;   in Loop: Header=BB6_222 Depth=2
	s_or_b32 exec_lo, exec_lo, s38
	s_and_saveexec_b32 vcc_lo, s39
	s_delay_alu instid0(SALU_CYCLE_1)
	s_xor_b32 vcc_lo, exec_lo, vcc_lo
	s_cbranch_execz .LBB6_263
; %bb.262:                              ;   in Loop: Header=BB6_222 Depth=2
	ds_store_b32 v0, v176
	s_cbranch_execz .LBB6_263
; %bb.10171:
	s_getpc_b64 s[48:49]
.Lpost_getpc261:
	s_add_u32 s48, s48, (.LBB6_9883-.Lpost_getpc261)&4294967295
	s_addc_u32 s49, s49, (.LBB6_9883-.Lpost_getpc261)>>32
	s_setpc_b64 s[48:49]
.LBB6_263:                              ;   in Loop: Header=BB6_222 Depth=2
	s_or_b32 exec_lo, exec_lo, s37
	;;#ASMSTART
	s_wakeup
	;;#ASMEND
.LBB6_264:                              ;   in Loop: Header=BB6_222 Depth=2
	s_or_b32 exec_lo, exec_lo, s17
.LBB6_265:                              ;   in Loop: Header=BB6_222 Depth=2
	s_and_not1_saveexec_b32 s16, s16
	s_cbranch_execz .LBB6_267
; %bb.266:                              ;   in Loop: Header=BB6_222 Depth=2
	s_waitcnt lgkmcnt(0)
	s_waitcnt_vscnt null, 0x0
	buffer_gl1_inv
	buffer_gl0_inv
	s_barrier
.LBB6_267:                              ;   in Loop: Header=BB6_222 Depth=2
	s_or_b32 exec_lo, exec_lo, s16
.LBB6_268:                              ;   in Loop: Header=BB6_222 Depth=2
	s_delay_alu instid0(SALU_CYCLE_1) | instskip(SKIP_1) | instid1(SALU_CYCLE_1)
	s_or_b32 exec_lo, exec_lo, s13
                                        ; implicit-def: $vgpr2
	s_and_saveexec_b32 s13, s7
	s_xor_b32 s16, exec_lo, s13
	s_cbranch_execz .LBB6_273
; %bb.269:                              ;   in Loop: Header=BB6_222 Depth=2
	s_cbranch_execz .LBB6_270
; %bb.10173:
	s_getpc_b64 s[48:49]
.Lpost_getpc262:
	s_add_u32 s48, s48, (.LBB6_9592-.Lpost_getpc262)&4294967295
	s_addc_u32 s49, s49, (.LBB6_9592-.Lpost_getpc262)>>32
	s_setpc_b64 s[48:49]
.LBB6_270:                              ;   in Loop: Header=BB6_222 Depth=2
	ds_load_b32 v2, v0
	v_cmp_lt_i32_e32 vcc_lo, 0, v8
	s_waitcnt lgkmcnt(0)
	v_readfirstlane_b32 s13, v2
	v_and_b32_e32 v2, 16, v30
	s_delay_alu instid0(VALU_DEP_2) | instskip(NEXT) | instid1(VALU_DEP_1)
	s_cmp_eq_u32 s13, 0
	v_cmp_ne_u32_e64 s13, 0, v2
	s_cselect_b32 s17, -1, 0
	v_and_b32_e32 v2, 16, v30
	s_and_b32 s17, vcc_lo, s17
	s_delay_alu instid0(VALU_DEP_2) | instid1(SALU_CYCLE_1)
	s_and_b32 s17, s13, s17
	s_delay_alu instid0(SALU_CYCLE_1)
	s_and_saveexec_b32 s13, s17
	s_cbranch_execz .LBB6_272
; %bb.271:                              ;   in Loop: Header=BB6_222 Depth=2
	v_mov_b32_e32 v2, 1
	s_waitcnt_vscnt null, 0x0
	buffer_gl1_inv
	buffer_gl0_inv
.LBB6_272:                              ;   in Loop: Header=BB6_222 Depth=2
	s_or_b32 exec_lo, exec_lo, s13
.LBB6_273:                              ;   in Loop: Header=BB6_222 Depth=2
	s_and_not1_saveexec_b32 s13, s16
	s_cbranch_execz .LBB6_295
; %bb.274:                              ;   in Loop: Header=BB6_222 Depth=2
	s_and_saveexec_b32 s16, s4
	s_delay_alu instid0(SALU_CYCLE_1)
	s_xor_b32 s16, exec_lo, s16
	s_cbranch_execz .LBB6_292
; %bb.275:                              ;   in Loop: Header=BB6_222 Depth=2
	s_and_saveexec_b32 s17, s1
	s_cbranch_execz .LBB6_291
; %bb.276:                              ;   in Loop: Header=BB6_222 Depth=2
	s_mov_b32 s38, exec_lo
	s_mov_b32 s37, exec_lo
	v_mbcnt_lo_u32_b32 v2, s38, 0
	;;#ASMSTART
	s_waitcnt lgkmcnt(0) vmcnt(0)
	;;#ASMEND
	s_delay_alu instid0(VALU_DEP_1)
	v_cmpx_eq_u32_e32 0, v2
	s_cbranch_execz .LBB6_278
; %bb.277:                              ;   in Loop: Header=BB6_222 Depth=2
	s_bcnt1_i32_b32 vcc_lo, s38
	s_delay_alu instid0(SALU_CYCLE_1)
	v_mov_b32_e32 v2, vcc_lo
	ds_add_u64 v0, v[2:3]
	s_cbranch_execz .LBB6_278
; %bb.10175:
	s_getpc_b64 s[48:49]
.Lpost_getpc263:
	s_add_u32 s48, s48, (.LBB6_9655-.Lpost_getpc263)&4294967295
	s_addc_u32 s49, s49, (.LBB6_9655-.Lpost_getpc263)>>32
	s_setpc_b64 s[48:49]
.LBB6_278:                              ;   in Loop: Header=BB6_222 Depth=2
	s_or_b32 exec_lo, exec_lo, s37
	s_cbranch_execz .LBB6_279
; %bb.10177:
	s_getpc_b64 s[48:49]
.Lpost_getpc264:
	s_add_u32 s48, s48, (.LBB6_9635-.Lpost_getpc264)&4294967295
	s_addc_u32 s49, s49, (.LBB6_9635-.Lpost_getpc264)>>32
	s_setpc_b64 s[48:49]
.LBB6_279:                              ;   in Loop: Header=BB6_222 Depth=2
	ds_load_b64 v[9:10], v0
	v_add_co_u32 v80, vcc_lo, v80, v129
	v_add_co_ci_u32_e32 v81, vcc_lo, 0, v81, vcc_lo
	s_mov_b32 s37, exec_lo
	s_waitcnt lgkmcnt(0)
	s_delay_alu instid0(VALU_DEP_1)
	v_cmpx_lt_u64_e64 v[9:10], v[80:81]
	s_cbranch_execz .LBB6_290
; %bb.280:                              ;   in Loop: Header=BB6_222 Depth=2
	s_mov_b32 s38, 0
	s_mov_b32 s41, 0
                                        ; implicit-def: $sgpr39
                                        ; implicit-def: $sgpr40
	s_branch .LBB6_282
.LBB6_281:                              ;   in Loop: Header=BB6_282 Depth=3
	s_or_b32 exec_lo, exec_lo, s43
	s_delay_alu instid0(SALU_CYCLE_1) | instskip(NEXT) | instid1(SALU_CYCLE_1)
	s_and_b32 vcc_lo, exec_lo, vcc_lo
	s_or_b32 s38, vcc_lo, s38
	s_and_not1_b32 vcc_lo, s39, exec_lo
	s_and_b32 s39, s40, exec_lo
	s_delay_alu instid0(SALU_CYCLE_1)
	s_or_b32 s39, vcc_lo, s39
	s_and_not1_b32 exec_lo, exec_lo, s38
	s_cbranch_execz .LBB6_288
.LBB6_282:                              ;   Parent Loop BB6_51 Depth=1
                                        ;     Parent Loop BB6_222 Depth=2
                                        ; =>    This Inner Loop Header: Depth=3
	s_add_i32 s41, s41, 1
                                        ; implicit-def: $sgpr43
	s_delay_alu instid0(SALU_CYCLE_1) | instskip(SKIP_1) | instid1(SALU_CYCLE_1)
	s_cmpk_lg_i32 s41, 0x2710
	s_cselect_b32 s42, -1, 0
	s_and_b32 vcc_lo, exec_lo, s42
	s_cbranch_vccz .LBB6_286
.LBB6_283:                              ;   in Loop: Header=BB6_282 Depth=3
	s_and_not1_b32 s40, s40, exec_lo
	s_and_b32 s43, s43, exec_lo
	s_mov_b32 vcc_lo, -1
	s_or_b32 s40, s40, s43
	s_and_saveexec_b32 s43, s42
	s_cbranch_execz .LBB6_281
; %bb.284:                              ;   in Loop: Header=BB6_282 Depth=3
	s_sleep 1
	s_cbranch_execz .LBB6_285
; %bb.10179:
	s_getpc_b64 s[48:49]
.Lpost_getpc265:
	s_add_u32 s48, s48, (.LBB6_9679-.Lpost_getpc265)&4294967295
	s_addc_u32 s49, s49, (.LBB6_9679-.Lpost_getpc265)>>32
	s_setpc_b64 s[48:49]
.LBB6_285:                              ;   in Loop: Header=BB6_282 Depth=3
	ds_load_b64 v[9:10], v0
	s_and_not1_b32 s40, s40, exec_lo
	s_waitcnt lgkmcnt(0)
	v_cmp_ge_u64_e32 vcc_lo, v[9:10], v[80:81]
	s_or_not1_b32 vcc_lo, vcc_lo, exec_lo
	s_branch .LBB6_281
.LBB6_286:                              ;   in Loop: Header=BB6_282 Depth=3
	s_cbranch_execz .LBB6_287
; %bb.10181:
	s_getpc_b64 s[48:49]
.Lpost_getpc266:
	s_add_u32 s48, s48, (.LBB6_9691-.Lpost_getpc266)&4294967295
	s_addc_u32 s49, s49, (.LBB6_9691-.Lpost_getpc266)>>32
	s_setpc_b64 s[48:49]
.LBB6_287:                              ;   in Loop: Header=BB6_282 Depth=3
	ds_load_b64 v[9:10], v0
	s_and_not1_b32 s42, s42, exec_lo
	s_mov_b32 s41, 0
	s_mov_b32 s43, -1
	s_waitcnt lgkmcnt(0)
	s_waitcnt_vscnt null, 0x0
	flat_load_b32 v2, v[9:10] glc
	s_waitcnt vmcnt(0) lgkmcnt(0)
	buffer_gl1_inv
	buffer_gl0_inv
	v_cmp_eq_u32_e32 vcc_lo, 0, v2
	s_and_b32 vcc_lo, vcc_lo, exec_lo
	s_delay_alu instid0(SALU_CYCLE_1)
	s_or_b32 s42, s42, vcc_lo
	s_branch .LBB6_283
.LBB6_288:                              ;   in Loop: Header=BB6_222 Depth=2
	s_or_b32 exec_lo, exec_lo, s38
	s_and_saveexec_b32 vcc_lo, s39
	s_delay_alu instid0(SALU_CYCLE_1)
	s_xor_b32 vcc_lo, exec_lo, vcc_lo
	s_cbranch_execz .LBB6_290
; %bb.289:                              ;   in Loop: Header=BB6_222 Depth=2
	ds_store_b32 v0, v176
	s_cbranch_execz .LBB6_290
; %bb.10183:
	s_getpc_b64 s[48:49]
.Lpost_getpc267:
	s_add_u32 s48, s48, (.LBB6_9903-.Lpost_getpc267)&4294967295
	s_addc_u32 s49, s49, (.LBB6_9903-.Lpost_getpc267)>>32
	s_setpc_b64 s[48:49]
.LBB6_290:                              ;   in Loop: Header=BB6_222 Depth=2
	s_or_b32 exec_lo, exec_lo, s37
	;;#ASMSTART
	s_wakeup
	;;#ASMEND
.LBB6_291:                              ;   in Loop: Header=BB6_222 Depth=2
	s_or_b32 exec_lo, exec_lo, s17
.LBB6_292:                              ;   in Loop: Header=BB6_222 Depth=2
	s_and_not1_saveexec_b32 s16, s16
	s_cbranch_execz .LBB6_294
; %bb.293:                              ;   in Loop: Header=BB6_222 Depth=2
	;;#ASMSTART
	s_waitcnt lgkmcnt(0) vmcnt(0)
	;;#ASMEND
	s_waitcnt lgkmcnt(0)
	s_waitcnt_vscnt null, 0x0
	s_barrier
.LBB6_294:                              ;   in Loop: Header=BB6_222 Depth=2
	s_or_b32 exec_lo, exec_lo, s16
	v_and_b32_e32 v2, 16, v30
.LBB6_295:                              ;   in Loop: Header=BB6_222 Depth=2
	s_or_b32 exec_lo, exec_lo, s13
	s_delay_alu instid0(SALU_CYCLE_1) | instskip(NEXT) | instid1(VALU_DEP_1)
	s_mov_b32 s13, exec_lo
	v_cmpx_ne_u32_e32 0, v2
	s_cbranch_execz .LBB6_299
; %bb.296:                              ;   in Loop: Header=BB6_222 Depth=2
	s_and_saveexec_b32 s16, s11
	s_cbranch_execz .LBB6_298
; %bb.297:                              ;   in Loop: Header=BB6_222 Depth=2
	s_waitcnt lgkmcnt(0)
	s_waitcnt_vscnt null, 0x0
	flat_store_b32 v[70:71], v176
.LBB6_298:                              ;   in Loop: Header=BB6_222 Depth=2
	s_or_b32 exec_lo, exec_lo, s16
	v_add_co_u32 v66, vcc_lo, v66, 2
	v_add_co_ci_u32_e32 v67, vcc_lo, 0, v67, vcc_lo
	s_waitcnt lgkmcnt(0)
	s_waitcnt_vscnt null, 0x0
	flat_store_b64 v[64:65], v[66:67]
.LBB6_299:                              ;   in Loop: Header=BB6_222 Depth=2
	s_or_b32 exec_lo, exec_lo, s13
	v_add_nc_u32_e32 v17, v8, v17
	s_mov_b32 s13, 0
	s_and_not1_b32 exec_lo, exec_lo, s15
	s_cbranch_execnz .LBB6_222
; %bb.300:                              ;   in Loop: Header=BB6_51 Depth=1
	s_or_b32 exec_lo, exec_lo, s15
.LBB6_301:                              ;   in Loop: Header=BB6_51 Depth=1
	s_delay_alu instid0(SALU_CYCLE_1) | instskip(NEXT) | instid1(SALU_CYCLE_1)
	s_or_b32 exec_lo, exec_lo, s12
	s_and_not1_b32 vcc_lo, exec_lo, s29
                                        ; implicit-def: $vgpr122 : SGPR spill to VGPR lane
	s_cbranch_vccnz .LBB6_3269
; %bb.302:                              ;   in Loop: Header=BB6_51 Depth=1
	s_mov_b32 s12, s36
	s_mov_b32 s15, 2
.LBB6_303:                              ;   Parent Loop BB6_51 Depth=1
                                        ; =>  This Loop Header: Depth=2
                                        ;       Child Loop BB6_305 Depth 3
                                        ;         Child Loop BB6_314 Depth 4
                                        ;         Child Loop BB6_344 Depth 4
	;; [unrolled: 1-line block ×9, first 2 shown]
                                        ;       Child Loop BB6_3183 Depth 3
                                        ;         Child Loop BB6_3189 Depth 4
                                        ;         Child Loop BB6_3221 Depth 4
	;; [unrolled: 1-line block ×3, first 2 shown]
	s_delay_alu instid0(SALU_CYCLE_1) | instskip(SKIP_4) | instid1(SALU_CYCLE_1)
	s_sub_i32 s13, s25, s15
	v_mov_b32_e32 v180, 0
	s_cmp_le_i32 s19, s13
	s_mov_b32 s17, 0
	s_cselect_b32 s16, s19, 0
	s_sub_i32 s13, s13, s16
	s_delay_alu instid0(SALU_CYCLE_1) | instskip(SKIP_3) | instid1(VALU_DEP_1)
	s_ashr_i32 s16, s13, 31
	v_mul_lo_u32 v2, v97, s13
	v_mad_u64_u32 v[102:103], null, v96, s13, 0
	v_mul_lo_u32 v8, v96, s16
	v_add3_u32 v103, v103, v8, v2
	s_delay_alu instid0(VALU_DEP_3) | instskip(NEXT) | instid1(VALU_DEP_2)
	v_sub_co_u32 v8, vcc_lo, v98, v102
	v_sub_co_ci_u32_e32 v9, vcc_lo, v99, v103, vcc_lo
	s_delay_alu instid0(VALU_DEP_1) | instskip(SKIP_1) | instid1(VALU_DEP_1)
	v_cmp_lt_i64_e32 vcc_lo, v[96:97], v[8:9]
	v_cndmask_b32_e32 v8, v8, v96, vcc_lo
	v_max_i32_e32 v179, 0, v8
	s_delay_alu instid0(VALU_DEP_1) | instskip(NEXT) | instid1(VALU_DEP_1)
	v_add_nc_u32_e32 v2, 31, v179
	v_lshrrev_b32_e32 v2, 1, v2
	s_delay_alu instid0(VALU_DEP_1) | instskip(SKIP_2) | instid1(VALU_DEP_3)
	v_and_b32_e32 v9, 0x3ffffff0, v2
	v_cmp_lt_i32_e32 vcc_lo, 0, v8
	v_mov_b32_e32 v2, 0
	v_max_i32_e32 v100, s28, v9
	s_and_b32 s13, s30, vcc_lo
	s_delay_alu instid0(SALU_CYCLE_1)
	s_and_saveexec_b32 s16, s13
	s_cbranch_execz .LBB6_3181
; %bb.304:                              ;   in Loop: Header=BB6_303 Depth=2
	v_mov_b32_e32 v180, 0
	s_mov_b32 s37, 1
	s_mov_b32 s36, -1
.LBB6_305:                              ;   Parent Loop BB6_51 Depth=1
                                        ;     Parent Loop BB6_303 Depth=2
                                        ; =>    This Loop Header: Depth=3
                                        ;         Child Loop BB6_314 Depth 4
                                        ;         Child Loop BB6_344 Depth 4
	;; [unrolled: 1-line block ×9, first 2 shown]
	s_and_saveexec_b32 s13, s0
	s_cbranch_execz .LBB6_308
; %bb.306:                              ;   in Loop: Header=BB6_305 Depth=3
	s_cbranch_execz .LBB6_307
; %bb.10185:
	s_getpc_b64 s[48:49]
.Lpost_getpc268:
	s_add_u32 s48, s48, (.LBB6_9602-.Lpost_getpc268)&4294967295
	s_addc_u32 s49, s49, (.LBB6_9602-.Lpost_getpc268)>>32
	s_setpc_b64 s[48:49]
.LBB6_307:                              ;   in Loop: Header=BB6_305 Depth=3
	ds_load_b64 v[8:9], v0
	s_waitcnt lgkmcnt(0)
	v_add_co_u32 v2, vcc_lo, v8, v177
	v_add_co_ci_u32_e32 v8, vcc_lo, v9, v178, vcc_lo
	v_ashrrev_i32_e32 v9, 31, v180
	s_delay_alu instid0(VALU_DEP_3) | instskip(NEXT) | instid1(VALU_DEP_3)
	v_add_co_u32 v2, vcc_lo, v2, v102
	v_add_co_ci_u32_e32 v10, vcc_lo, v8, v103, vcc_lo
	s_delay_alu instid0(VALU_DEP_2) | instskip(NEXT) | instid1(VALU_DEP_2)
	v_add_co_u32 v8, vcc_lo, v2, v180
	v_add_co_ci_u32_e32 v9, vcc_lo, v10, v9, vcc_lo
	v_mov_b32_e32 v2, v3
	ds_store_b64 v0, v[8:9]
	ds_store_b64 v0, v[2:3]
.LBB6_308:                              ;   in Loop: Header=BB6_305 Depth=3
	s_or_b32 exec_lo, exec_lo, s13
	v_and_b32_e32 v2, 12, v30
	s_mov_b32 s38, -1
	s_mov_b32 s13, exec_lo
	s_delay_alu instid0(VALU_DEP_1)
	v_cmpx_ne_u32_e32 0, v2
	v_writelane_b32 v122, s36, 10
	v_writelane_b32 v122, s37, 11
	s_cbranch_execz .LBB6_322
; %bb.309:                              ;   in Loop: Header=BB6_305 Depth=3
	v_and_b32_e32 v2, 8, v30
	s_delay_alu instid0(VALU_DEP_1) | instskip(SKIP_3) | instid1(VALU_DEP_1)
	v_add_co_u32 v10, vcc_lo, v82, v2
	v_add_co_ci_u32_e32 v11, vcc_lo, 0, v83, vcc_lo
	v_add_co_u32 v8, vcc_lo, v66, 2
	v_add_co_ci_u32_e32 v9, vcc_lo, 0, v67, vcc_lo
	v_cmp_lt_u64_e32 vcc_lo, v[10:11], v[8:9]
	v_mov_b32_e32 v10, 1
	s_and_saveexec_b32 s36, vcc_lo
	s_cbranch_execz .LBB6_321
; %bb.310:                              ;   in Loop: Header=BB6_305 Depth=3
	v_mov_b32_e32 v10, 0
	s_mov_b32 s37, 0
                                        ; implicit-def: $sgpr38
	s_branch .LBB6_314
.LBB6_311:                              ;   in Loop: Header=BB6_314 Depth=4
	s_or_b32 exec_lo, exec_lo, s42
	v_mov_b32_e32 v11, 0
	s_or_not1_b32 s41, s41, exec_lo
.LBB6_312:                              ;   in Loop: Header=BB6_314 Depth=4
	s_or_b32 exec_lo, exec_lo, s40
	s_delay_alu instid0(VALU_DEP_1) | instskip(SKIP_2) | instid1(SALU_CYCLE_1)
	v_mov_b32_e32 v10, v11
	s_and_not1_b32 vcc_lo, s38, exec_lo
	s_and_b32 s38, s41, exec_lo
	s_or_b32 s38, vcc_lo, s38
.LBB6_313:                              ;   in Loop: Header=BB6_314 Depth=4
	s_or_b32 exec_lo, exec_lo, s39
	s_waitcnt vmcnt(0) lgkmcnt(0)
	v_add_co_u32 v11, vcc_lo, v82, v2
	v_add_co_ci_u32_e32 v12, vcc_lo, 0, v83, vcc_lo
	s_xor_b32 s39, s38, -1
	s_delay_alu instid0(VALU_DEP_1) | instskip(SKIP_1) | instid1(SALU_CYCLE_1)
	v_cmp_ge_u64_e32 vcc_lo, v[11:12], v[8:9]
	s_or_b32 vcc_lo, s39, vcc_lo
	s_and_b32 vcc_lo, exec_lo, vcc_lo
	s_delay_alu instid0(SALU_CYCLE_1) | instskip(NEXT) | instid1(SALU_CYCLE_1)
	s_or_b32 s37, vcc_lo, s37
	s_and_not1_b32 exec_lo, exec_lo, s37
	s_cbranch_execz .LBB6_320
.LBB6_314:                              ;   Parent Loop BB6_51 Depth=1
                                        ;     Parent Loop BB6_303 Depth=2
                                        ;       Parent Loop BB6_305 Depth=3
                                        ; =>      This Inner Loop Header: Depth=4
	s_sleep 1
	flat_load_b64 v[82:83], v[64:65] glc
	v_and_b32_e32 v11, 64, v30
	s_and_not1_b32 s38, s38, exec_lo
	s_mov_b32 s39, exec_lo
	s_delay_alu instid0(VALU_DEP_1)
	v_cmpx_eq_u32_e32 0, v11
	s_cbranch_execz .LBB6_313
; %bb.315:                              ;   in Loop: Header=BB6_314 Depth=4
	v_add_nc_u32_e32 v11, 1, v10
	s_mov_b32 s41, -1
	s_mov_b32 s40, exec_lo
	v_cmpx_lt_i32_e32 0x270e, v10
	s_cbranch_execz .LBB6_312
; %bb.316:                              ;   in Loop: Header=BB6_314 Depth=4
	s_cbranch_execz .LBB6_317
; %bb.10187:
	s_getpc_b64 s[48:49]
.Lpost_getpc269:
	s_add_u32 s48, s48, (.LBB6_9633-.Lpost_getpc269)&4294967295
	s_addc_u32 s49, s49, (.LBB6_9633-.Lpost_getpc269)>>32
	s_setpc_b64 s[48:49]
.LBB6_317:                              ;   in Loop: Header=BB6_314 Depth=4
	ds_load_b64 v[10:11], v0
	s_mov_b32 s42, exec_lo
	s_waitcnt vmcnt(0) lgkmcnt(0)
	s_waitcnt_vscnt null, 0x0
	flat_load_b32 v10, v[10:11] glc
	s_waitcnt vmcnt(0) lgkmcnt(0)
	buffer_gl1_inv
	buffer_gl0_inv
	v_cmpx_ne_u32_e32 0, v10
	s_cbranch_execz .LBB6_311
; %bb.318:                              ;   in Loop: Header=BB6_314 Depth=4
	ds_store_b32 v0, v10
	s_cbranch_execz .LBB6_319
; %bb.10189:
	s_getpc_b64 s[48:49]
.Lpost_getpc270:
	s_add_u32 s48, s48, (.LBB6_9683-.Lpost_getpc270)&4294967295
	s_addc_u32 s49, s49, (.LBB6_9683-.Lpost_getpc270)>>32
	s_setpc_b64 s[48:49]
.LBB6_319:                              ;   in Loop: Header=BB6_314 Depth=4
	v_or_b32_e32 v30, 64, v30
	s_xor_b32 s41, exec_lo, -1
	s_branch .LBB6_311
.LBB6_320:                              ;   in Loop: Header=BB6_305 Depth=3
	s_or_b32 exec_lo, exec_lo, s37
	v_and_b32_e32 v10, 12, v30
.LBB6_321:                              ;   in Loop: Header=BB6_305 Depth=3
	s_or_b32 exec_lo, exec_lo, s36
	s_delay_alu instid0(VALU_DEP_1)
	v_cmp_eq_u32_e32 vcc_lo, 0, v10
	;;#ASMSTART
	s_wakeup
	;;#ASMEND
	s_or_not1_b32 s38, vcc_lo, exec_lo
.LBB6_322:                              ;   in Loop: Header=BB6_305 Depth=3
	s_or_b32 exec_lo, exec_lo, s13
	v_sub_nc_u32_e32 v2, v179, v180
	s_xor_b32 s13, s38, -1
	s_delay_alu instid0(VALU_DEP_1)
	v_min_i32_e32 v100, v100, v2
	s_and_saveexec_b32 s36, s13
	s_cbranch_execz .LBB6_335
; %bb.323:                              ;   in Loop: Header=BB6_305 Depth=3
	v_and_b32_e32 v2, 0x108, v30
	s_delay_alu instid0(VALU_DEP_1) | instskip(SKIP_2) | instid1(SALU_CYCLE_1)
	v_cmp_ne_u32_e32 vcc_lo, 0x108, v2
	v_and_b32_e32 v2, 7, v66
	s_and_saveexec_b32 s13, vcc_lo
	s_xor_b32 s13, exec_lo, s13
	s_delay_alu instid0(SALU_CYCLE_1)
	s_and_not1_saveexec_b32 s13, s13
	s_cbranch_execz .LBB6_325
; %bb.324:                              ;   in Loop: Header=BB6_305 Depth=3
	v_mad_u64_u32 v[8:9], null, v2, 24, v[6:7]
	v_ashrrev_i32_e32 v101, 31, v100
	flat_store_b64 v[8:9], v[100:101] offset:8
.LBB6_325:                              ;   in Loop: Header=BB6_305 Depth=3
	s_or_b32 exec_lo, exec_lo, s13
	v_and_b32_e32 v8, 0x100, v30
	s_mov_b32 s13, -1
	s_delay_alu instid0(VALU_DEP_1)
	v_cmp_ne_u32_e32 vcc_lo, 0, v8
                                        ; implicit-def: $vgpr8_vgpr9
	s_and_saveexec_b32 s37, vcc_lo
	s_cbranch_execnz .LBB6_328
; %bb.326:                              ;   in Loop: Header=BB6_305 Depth=3
	s_or_b32 exec_lo, exec_lo, s37
	s_and_saveexec_b32 vcc_lo, s13
	s_cbranch_execnz .LBB6_331
.LBB6_327:                              ;   in Loop: Header=BB6_305 Depth=3
	s_or_b32 exec_lo, exec_lo, vcc_lo
	s_cbranch_execz .LBB6_332
; %bb.10191:
	s_getpc_b64 s[48:49]
.Lpost_getpc271:
	s_add_u32 s48, s48, (.LBB6_9629-.Lpost_getpc271)&4294967295
	s_addc_u32 s49, s49, (.LBB6_9629-.Lpost_getpc271)>>32
	s_setpc_b64 s[48:49]
.LBB6_328:                              ;   in Loop: Header=BB6_305 Depth=3
	v_mad_u64_u32 v[10:11], null, v2, 24, v[6:7]
	s_delay_alu instid0(VALU_DEP_1) | instskip(NEXT) | instid1(VALU_DEP_1)
	v_mov_b32_e32 v8, v11
	v_mad_u64_u32 v[11:12], null, v3, 24, v[8:9]
	flat_load_b32 v8, v[10:11]
	s_waitcnt vmcnt(0) lgkmcnt(0)
	v_cmp_ne_u32_e32 vcc_lo, 1, v8
	v_cmp_eq_u32_e64 s13, 1, v8
                                        ; implicit-def: $vgpr8_vgpr9
	s_delay_alu instid0(VALU_DEP_1)
	s_and_saveexec_b32 s38, s13
	s_cbranch_execz .LBB6_330
; %bb.329:                              ;   in Loop: Header=BB6_305 Depth=3
	flat_load_b32 v8, v[10:11] offset:4 glc
	s_waitcnt vmcnt(0) lgkmcnt(0)
	v_ashrrev_i32_e32 v9, 31, v8
.LBB6_330:                              ;   in Loop: Header=BB6_305 Depth=3
	s_or_b32 exec_lo, exec_lo, s38
	s_delay_alu instid0(SALU_CYCLE_1)
	s_or_not1_b32 s13, vcc_lo, exec_lo
	s_or_b32 exec_lo, exec_lo, s37
	s_and_saveexec_b32 vcc_lo, s13
	s_cbranch_execz .LBB6_327
.LBB6_331:                              ;   in Loop: Header=BB6_305 Depth=3
	v_mul_lo_u32 v10, v3, v118
	v_mul_lo_u32 v11, v2, v128
	v_mad_u64_u32 v[8:9], null, v2, v118, 0
	s_delay_alu instid0(VALU_DEP_1)
	v_add3_u32 v9, v9, v11, v10
	s_or_b32 exec_lo, exec_lo, vcc_lo
	s_cbranch_execz .LBB6_332
; %bb.10193:
	s_getpc_b64 s[48:49]
.Lpost_getpc272:
	s_add_u32 s48, s48, (.LBB6_9629-.Lpost_getpc272)&4294967295
	s_addc_u32 s49, s49, (.LBB6_9629-.Lpost_getpc272)>>32
	s_setpc_b64 s[48:49]
.LBB6_332:                              ;   in Loop: Header=BB6_305 Depth=3
	s_delay_alu instid0(VALU_DEP_2)
	v_add_co_u32 v8, vcc_lo, v68, v8
	v_and_b32_e32 v2, 0x2000, v30
	v_add_co_ci_u32_e32 v9, vcc_lo, v69, v9, vcc_lo
	s_mov_b32 s13, exec_lo
	ds_store_b64 v0, v[8:9]
	v_cmpx_ne_u32_e32 0, v2
	s_cbranch_execz .LBB6_334
; %bb.333:                              ;   in Loop: Header=BB6_305 Depth=3
	ds_load_b64 v[8:9], v0 offset:584
	s_waitcnt lgkmcnt(0)
	v_add_co_u32 v8, vcc_lo, v8, 1
	v_add_co_ci_u32_e32 v9, vcc_lo, 0, v9, vcc_lo
	ds_store_b64 v0, v[8:9] offset:584
.LBB6_334:                              ;   in Loop: Header=BB6_305 Depth=3
	s_or_b32 exec_lo, exec_lo, s13
	v_add_co_u32 v66, vcc_lo, v66, 2
	v_add_co_ci_u32_e32 v67, vcc_lo, 0, v67, vcc_lo
.LBB6_335:                              ;   in Loop: Header=BB6_305 Depth=3
	s_or_b32 exec_lo, exec_lo, s36
	s_and_saveexec_b32 s13, s3
	s_cbranch_execz .LBB6_357
; %bb.336:                              ;   in Loop: Header=BB6_305 Depth=3
	s_and_saveexec_b32 vcc_lo, s4
	s_delay_alu instid0(SALU_CYCLE_1)
	s_xor_b32 s36, exec_lo, vcc_lo
	s_cbranch_execz .LBB6_354
; %bb.337:                              ;   in Loop: Header=BB6_305 Depth=3
	s_and_saveexec_b32 s37, s1
	s_cbranch_execz .LBB6_353
; %bb.338:                              ;   in Loop: Header=BB6_305 Depth=3
	s_mov_b32 s39, exec_lo
	s_mov_b32 s38, exec_lo
	v_mbcnt_lo_u32_b32 v2, s39, 0
	s_waitcnt lgkmcnt(0)
	s_waitcnt_vscnt null, 0x0
	buffer_gl1_inv
	buffer_gl0_inv
	v_cmpx_eq_u32_e32 0, v2
	s_cbranch_execz .LBB6_340
; %bb.339:                              ;   in Loop: Header=BB6_305 Depth=3
	s_bcnt1_i32_b32 vcc_lo, s39
	s_delay_alu instid0(SALU_CYCLE_1)
	v_mov_b32_e32 v2, vcc_lo
	ds_add_u64 v0, v[2:3]
	s_cbranch_execz .LBB6_340
; %bb.10195:
	s_getpc_b64 s[48:49]
.Lpost_getpc273:
	s_add_u32 s48, s48, (.LBB6_9739-.Lpost_getpc273)&4294967295
	s_addc_u32 s49, s49, (.LBB6_9739-.Lpost_getpc273)>>32
	s_setpc_b64 s[48:49]
.LBB6_340:                              ;   in Loop: Header=BB6_305 Depth=3
	s_or_b32 exec_lo, exec_lo, s38
	s_cbranch_execz .LBB6_341
; %bb.10197:
	s_getpc_b64 s[48:49]
.Lpost_getpc274:
	s_add_u32 s48, s48, (.LBB6_9705-.Lpost_getpc274)&4294967295
	s_addc_u32 s49, s49, (.LBB6_9705-.Lpost_getpc274)>>32
	s_setpc_b64 s[48:49]
.LBB6_341:                              ;   in Loop: Header=BB6_305 Depth=3
	ds_load_b64 v[8:9], v0
	v_add_co_u32 v80, vcc_lo, v80, v129
	v_add_co_ci_u32_e32 v81, vcc_lo, 0, v81, vcc_lo
	s_mov_b32 s38, exec_lo
	s_waitcnt lgkmcnt(0)
	s_delay_alu instid0(VALU_DEP_1)
	v_cmpx_lt_u64_e64 v[8:9], v[80:81]
	s_cbranch_execz .LBB6_352
; %bb.342:                              ;   in Loop: Header=BB6_305 Depth=3
	s_mov_b32 s39, 0
	s_mov_b32 s42, 0
                                        ; implicit-def: $sgpr40
                                        ; implicit-def: $sgpr41
	s_branch .LBB6_344
.LBB6_343:                              ;   in Loop: Header=BB6_344 Depth=4
	s_or_b32 exec_lo, exec_lo, s44
	s_delay_alu instid0(SALU_CYCLE_1) | instskip(NEXT) | instid1(SALU_CYCLE_1)
	s_and_b32 vcc_lo, exec_lo, vcc_lo
	s_or_b32 s39, vcc_lo, s39
	s_and_not1_b32 vcc_lo, s40, exec_lo
	s_and_b32 s40, s41, exec_lo
	s_delay_alu instid0(SALU_CYCLE_1)
	s_or_b32 s40, vcc_lo, s40
	s_and_not1_b32 exec_lo, exec_lo, s39
	s_cbranch_execz .LBB6_350
.LBB6_344:                              ;   Parent Loop BB6_51 Depth=1
                                        ;     Parent Loop BB6_303 Depth=2
                                        ;       Parent Loop BB6_305 Depth=3
                                        ; =>      This Inner Loop Header: Depth=4
	s_add_i32 s42, s42, 1
                                        ; implicit-def: $sgpr44
	s_delay_alu instid0(SALU_CYCLE_1) | instskip(SKIP_1) | instid1(SALU_CYCLE_1)
	s_cmpk_lg_i32 s42, 0x2710
	s_cselect_b32 s43, -1, 0
	s_and_b32 vcc_lo, exec_lo, s43
	s_cbranch_vccz .LBB6_348
.LBB6_345:                              ;   in Loop: Header=BB6_344 Depth=4
	s_and_not1_b32 s41, s41, exec_lo
	s_and_b32 s44, s44, exec_lo
	s_mov_b32 vcc_lo, -1
	s_or_b32 s41, s41, s44
	s_and_saveexec_b32 s44, s43
	s_cbranch_execz .LBB6_343
; %bb.346:                              ;   in Loop: Header=BB6_344 Depth=4
	s_sleep 1
	s_cbranch_execz .LBB6_347
; %bb.10199:
	s_getpc_b64 s[48:49]
.Lpost_getpc275:
	s_add_u32 s48, s48, (.LBB6_9785-.Lpost_getpc275)&4294967295
	s_addc_u32 s49, s49, (.LBB6_9785-.Lpost_getpc275)>>32
	s_setpc_b64 s[48:49]
.LBB6_347:                              ;   in Loop: Header=BB6_344 Depth=4
	ds_load_b64 v[8:9], v0
	s_and_not1_b32 s41, s41, exec_lo
	s_waitcnt lgkmcnt(0)
	v_cmp_ge_u64_e32 vcc_lo, v[8:9], v[80:81]
	s_or_not1_b32 vcc_lo, vcc_lo, exec_lo
	s_branch .LBB6_343
.LBB6_348:                              ;   in Loop: Header=BB6_344 Depth=4
	s_cbranch_execz .LBB6_349
; %bb.10201:
	s_getpc_b64 s[48:49]
.Lpost_getpc276:
	s_add_u32 s48, s48, (.LBB6_9797-.Lpost_getpc276)&4294967295
	s_addc_u32 s49, s49, (.LBB6_9797-.Lpost_getpc276)>>32
	s_setpc_b64 s[48:49]
.LBB6_349:                              ;   in Loop: Header=BB6_344 Depth=4
	ds_load_b64 v[8:9], v0
	s_and_not1_b32 s43, s43, exec_lo
	s_mov_b32 s42, 0
	s_mov_b32 s44, -1
	s_waitcnt lgkmcnt(0)
	flat_load_b32 v2, v[8:9] glc
	s_waitcnt vmcnt(0) lgkmcnt(0)
	buffer_gl1_inv
	buffer_gl0_inv
	v_cmp_eq_u32_e32 vcc_lo, 0, v2
	s_and_b32 vcc_lo, vcc_lo, exec_lo
	s_delay_alu instid0(SALU_CYCLE_1)
	s_or_b32 s43, s43, vcc_lo
	s_branch .LBB6_345
.LBB6_350:                              ;   in Loop: Header=BB6_305 Depth=3
	s_or_b32 exec_lo, exec_lo, s39
	s_and_saveexec_b32 vcc_lo, s40
	s_delay_alu instid0(SALU_CYCLE_1)
	s_xor_b32 vcc_lo, exec_lo, vcc_lo
	s_cbranch_execz .LBB6_352
; %bb.351:                              ;   in Loop: Header=BB6_305 Depth=3
	ds_store_b32 v0, v176
	s_cbranch_execz .LBB6_352
; %bb.10203:
	s_getpc_b64 s[48:49]
.Lpost_getpc277:
	s_add_u32 s48, s48, (.LBB6_9993-.Lpost_getpc277)&4294967295
	s_addc_u32 s49, s49, (.LBB6_9993-.Lpost_getpc277)>>32
	s_setpc_b64 s[48:49]
.LBB6_352:                              ;   in Loop: Header=BB6_305 Depth=3
	s_or_b32 exec_lo, exec_lo, s38
	;;#ASMSTART
	s_wakeup
	;;#ASMEND
.LBB6_353:                              ;   in Loop: Header=BB6_305 Depth=3
	s_or_b32 exec_lo, exec_lo, s37
.LBB6_354:                              ;   in Loop: Header=BB6_305 Depth=3
	s_and_not1_saveexec_b32 vcc_lo, s36
	s_cbranch_execz .LBB6_356
; %bb.355:                              ;   in Loop: Header=BB6_305 Depth=3
	s_waitcnt lgkmcnt(0)
	s_waitcnt_vscnt null, 0x0
	buffer_gl1_inv
	buffer_gl0_inv
	s_barrier
.LBB6_356:                              ;   in Loop: Header=BB6_305 Depth=3
	s_or_b32 exec_lo, exec_lo, vcc_lo
.LBB6_357:                              ;   in Loop: Header=BB6_305 Depth=3
	v_writelane_b32 v122, s14, 4
	v_writelane_b32 v122, s35, 7
	;; [unrolled: 1-line block ×5, first 2 shown]
	s_or_b32 exec_lo, exec_lo, s13
	s_cbranch_execz .LBB6_358
; %bb.10205:
	s_getpc_b64 s[48:49]
.Lpost_getpc278:
	s_add_u32 s48, s48, (.LBB6_9608-.Lpost_getpc278)&4294967295
	s_addc_u32 s49, s49, (.LBB6_9608-.Lpost_getpc278)>>32
	s_setpc_b64 s[48:49]
.LBB6_358:                              ;   in Loop: Header=BB6_305 Depth=3
	ds_load_b32 v8, v0
	v_and_b32_e32 v2, 0x4000, v30
	s_xor_b32 s13, s2, -1
	s_delay_alu instid0(VALU_DEP_1) | instskip(SKIP_1) | instid1(SALU_CYCLE_1)
	v_cmp_ne_u32_e32 vcc_lo, 0, v2
	s_and_b32 s14, s13, vcc_lo
	s_and_saveexec_b32 s13, s14
	s_cbranch_execz .LBB6_380
; %bb.359:                              ;   in Loop: Header=BB6_305 Depth=3
	s_and_saveexec_b32 s14, s4
	s_delay_alu instid0(SALU_CYCLE_1)
	s_xor_b32 s14, exec_lo, s14
	s_cbranch_execz .LBB6_377
; %bb.360:                              ;   in Loop: Header=BB6_305 Depth=3
	s_and_saveexec_b32 s30, s1
	s_cbranch_execz .LBB6_376
; %bb.361:                              ;   in Loop: Header=BB6_305 Depth=3
	s_mov_b32 s34, exec_lo
	s_mov_b32 s31, exec_lo
	v_mbcnt_lo_u32_b32 v2, s34, 0
	s_waitcnt lgkmcnt(0)
	s_waitcnt_vscnt null, 0x0
	buffer_gl1_inv
	buffer_gl0_inv
	v_cmpx_eq_u32_e32 0, v2
	s_cbranch_execz .LBB6_363
; %bb.362:                              ;   in Loop: Header=BB6_305 Depth=3
	s_bcnt1_i32_b32 vcc_lo, s34
	s_delay_alu instid0(SALU_CYCLE_1)
	v_mov_b32_e32 v2, vcc_lo
	ds_add_u64 v0, v[2:3]
	s_cbranch_execz .LBB6_363
; %bb.10207:
	s_getpc_b64 s[48:49]
.Lpost_getpc279:
	s_add_u32 s48, s48, (.LBB6_9771-.Lpost_getpc279)&4294967295
	s_addc_u32 s49, s49, (.LBB6_9771-.Lpost_getpc279)>>32
	s_setpc_b64 s[48:49]
.LBB6_363:                              ;   in Loop: Header=BB6_305 Depth=3
	s_or_b32 exec_lo, exec_lo, s31
	s_cbranch_execz .LBB6_364
; %bb.10209:
	s_getpc_b64 s[48:49]
.Lpost_getpc280:
	s_add_u32 s48, s48, (.LBB6_9761-.Lpost_getpc280)&4294967295
	s_addc_u32 s49, s49, (.LBB6_9761-.Lpost_getpc280)>>32
	s_setpc_b64 s[48:49]
.LBB6_364:                              ;   in Loop: Header=BB6_305 Depth=3
	ds_load_b64 v[9:10], v0
	v_add_co_u32 v80, vcc_lo, v80, v129
	v_add_co_ci_u32_e32 v81, vcc_lo, 0, v81, vcc_lo
	s_mov_b32 s31, exec_lo
	s_waitcnt lgkmcnt(0)
	s_delay_alu instid0(VALU_DEP_1)
	v_cmpx_lt_u64_e64 v[9:10], v[80:81]
	s_cbranch_execz .LBB6_375
; %bb.365:                              ;   in Loop: Header=BB6_305 Depth=3
	s_mov_b32 s34, 0
	s_mov_b32 s37, 0
                                        ; implicit-def: $sgpr35
                                        ; implicit-def: $sgpr36
	s_branch .LBB6_367
.LBB6_366:                              ;   in Loop: Header=BB6_367 Depth=4
	s_or_b32 exec_lo, exec_lo, s39
	s_delay_alu instid0(SALU_CYCLE_1) | instskip(NEXT) | instid1(SALU_CYCLE_1)
	s_and_b32 vcc_lo, exec_lo, vcc_lo
	s_or_b32 s34, vcc_lo, s34
	s_and_not1_b32 vcc_lo, s35, exec_lo
	s_and_b32 s35, s36, exec_lo
	s_delay_alu instid0(SALU_CYCLE_1)
	s_or_b32 s35, vcc_lo, s35
	s_and_not1_b32 exec_lo, exec_lo, s34
	s_cbranch_execz .LBB6_373
.LBB6_367:                              ;   Parent Loop BB6_51 Depth=1
                                        ;     Parent Loop BB6_303 Depth=2
                                        ;       Parent Loop BB6_305 Depth=3
                                        ; =>      This Inner Loop Header: Depth=4
	s_add_i32 s37, s37, 1
                                        ; implicit-def: $sgpr39
	s_delay_alu instid0(SALU_CYCLE_1) | instskip(SKIP_1) | instid1(SALU_CYCLE_1)
	s_cmpk_lg_i32 s37, 0x2710
	s_cselect_b32 s38, -1, 0
	s_and_b32 vcc_lo, exec_lo, s38
	s_cbranch_vccz .LBB6_371
.LBB6_368:                              ;   in Loop: Header=BB6_367 Depth=4
	s_and_not1_b32 s36, s36, exec_lo
	s_and_b32 s39, s39, exec_lo
	s_mov_b32 vcc_lo, -1
	s_or_b32 s36, s36, s39
	s_and_saveexec_b32 s39, s38
	s_cbranch_execz .LBB6_366
; %bb.369:                              ;   in Loop: Header=BB6_367 Depth=4
	s_sleep 1
	s_cbranch_execz .LBB6_370
; %bb.10211:
	s_getpc_b64 s[48:49]
.Lpost_getpc281:
	s_add_u32 s48, s48, (.LBB6_9837-.Lpost_getpc281)&4294967295
	s_addc_u32 s49, s49, (.LBB6_9837-.Lpost_getpc281)>>32
	s_setpc_b64 s[48:49]
.LBB6_370:                              ;   in Loop: Header=BB6_367 Depth=4
	ds_load_b64 v[9:10], v0
	s_and_not1_b32 s36, s36, exec_lo
	s_waitcnt lgkmcnt(0)
	v_cmp_ge_u64_e32 vcc_lo, v[9:10], v[80:81]
	s_or_not1_b32 vcc_lo, vcc_lo, exec_lo
	s_branch .LBB6_366
.LBB6_371:                              ;   in Loop: Header=BB6_367 Depth=4
	s_cbranch_execz .LBB6_372
; %bb.10213:
	s_getpc_b64 s[48:49]
.Lpost_getpc282:
	s_add_u32 s48, s48, (.LBB6_9851-.Lpost_getpc282)&4294967295
	s_addc_u32 s49, s49, (.LBB6_9851-.Lpost_getpc282)>>32
	s_setpc_b64 s[48:49]
.LBB6_372:                              ;   in Loop: Header=BB6_367 Depth=4
	ds_load_b64 v[9:10], v0
	s_and_not1_b32 s38, s38, exec_lo
	s_mov_b32 s37, 0
	s_mov_b32 s39, -1
	s_waitcnt lgkmcnt(0)
	flat_load_b32 v2, v[9:10] glc
	s_waitcnt vmcnt(0) lgkmcnt(0)
	buffer_gl1_inv
	buffer_gl0_inv
	v_cmp_eq_u32_e32 vcc_lo, 0, v2
	s_and_b32 vcc_lo, vcc_lo, exec_lo
	s_delay_alu instid0(SALU_CYCLE_1)
	s_or_b32 s38, s38, vcc_lo
	s_branch .LBB6_368
.LBB6_373:                              ;   in Loop: Header=BB6_305 Depth=3
	s_or_b32 exec_lo, exec_lo, s34
	s_and_saveexec_b32 vcc_lo, s35
	s_delay_alu instid0(SALU_CYCLE_1)
	s_xor_b32 vcc_lo, exec_lo, vcc_lo
	s_cbranch_execz .LBB6_375
; %bb.374:                              ;   in Loop: Header=BB6_305 Depth=3
	ds_store_b32 v0, v176
	s_cbranch_execz .LBB6_375
; %bb.10215:
	s_getpc_b64 s[48:49]
.Lpost_getpc283:
	s_add_u32 s48, s48, (.LBB6_10029-.Lpost_getpc283)&4294967295
	s_addc_u32 s49, s49, (.LBB6_10029-.Lpost_getpc283)>>32
	s_setpc_b64 s[48:49]
.LBB6_375:                              ;   in Loop: Header=BB6_305 Depth=3
	s_or_b32 exec_lo, exec_lo, s31
	;;#ASMSTART
	s_wakeup
	;;#ASMEND
.LBB6_376:                              ;   in Loop: Header=BB6_305 Depth=3
	s_or_b32 exec_lo, exec_lo, s30
.LBB6_377:                              ;   in Loop: Header=BB6_305 Depth=3
	s_and_not1_saveexec_b32 s14, s14
	s_cbranch_execz .LBB6_379
; %bb.378:                              ;   in Loop: Header=BB6_305 Depth=3
	s_waitcnt lgkmcnt(0)
	s_waitcnt_vscnt null, 0x0
	buffer_gl1_inv
	buffer_gl0_inv
	s_barrier
.LBB6_379:                              ;   in Loop: Header=BB6_305 Depth=3
	s_or_b32 exec_lo, exec_lo, s14
.LBB6_380:                              ;   in Loop: Header=BB6_305 Depth=3
	s_delay_alu instid0(SALU_CYCLE_1)
	s_or_b32 exec_lo, exec_lo, s13
	s_cbranch_execz .LBB6_381
; %bb.10217:
	s_getpc_b64 s[48:49]
.Lpost_getpc284:
	s_add_u32 s48, s48, (.LBB6_9651-.Lpost_getpc284)&4294967295
	s_addc_u32 s49, s49, (.LBB6_9651-.Lpost_getpc284)>>32
	s_setpc_b64 s[48:49]
.LBB6_381:                              ;   in Loop: Header=BB6_305 Depth=3
	ds_load_b64 v[9:10], v0
	v_mov_b32_e32 v101, 0
	s_waitcnt lgkmcnt(0)
	v_cmp_eq_u64_e32 vcc_lo, 0, v[9:10]
	s_or_b32 s13, vcc_lo, vcc_lo
	s_delay_alu instid0(SALU_CYCLE_1)
	s_and_b32 vcc_lo, exec_lo, s13
	s_cbranch_vccnz .LBB6_3127
; %bb.382:                              ;   in Loop: Header=BB6_305 Depth=3
	s_mov_b32 s13, -1
	s_and_saveexec_b32 s14, s12
	s_cbranch_execz .LBB6_384
; %bb.383:                              ;   in Loop: Header=BB6_305 Depth=3
	ds_load_b32 v2, v0 offset:720
	s_waitcnt lgkmcnt(0)
	v_and_b32_e32 v2, 15, v2
	s_delay_alu instid0(VALU_DEP_1)
	v_cmp_eq_u32_e32 vcc_lo, 0, v2
	s_or_not1_b32 s13, vcc_lo, exec_lo
.LBB6_384:                              ;   in Loop: Header=BB6_305 Depth=3
	s_or_b32 exec_lo, exec_lo, s14
	s_and_saveexec_b32 s14, s6
	s_cbranch_execz .LBB6_386
; %bb.385:                              ;   in Loop: Header=BB6_305 Depth=3
	ds_load_b32 v2, v0 offset:784
	s_waitcnt lgkmcnt(0)
	v_and_b32_e32 v2, 15, v2
	s_delay_alu instid0(VALU_DEP_1) | instskip(SKIP_3) | instid1(SALU_CYCLE_1)
	v_cmp_eq_u32_e32 vcc_lo, 0, v2
	s_and_b32 vcc_lo, s13, vcc_lo
	s_and_not1_b32 s13, s13, exec_lo
	s_and_b32 vcc_lo, vcc_lo, exec_lo
	s_or_b32 s13, s13, vcc_lo
.LBB6_386:                              ;   in Loop: Header=BB6_305 Depth=3
	s_or_b32 exec_lo, exec_lo, s14
	v_cmp_eq_u32_e32 vcc_lo, 0, v8
	s_xor_b32 s13, s13, -1
	v_mov_b32_e32 v8, v130
	v_cndmask_b32_e64 v2, 0, 1, s13
	;;#ASMSTART
	;;#ASMEND
	v_dual_cndmask_b32 v101, 0, v100 :: v_dual_mov_b32 v14, 0
	s_delay_alu instid0(VALU_DEP_2) | instskip(SKIP_1) | instid1(VALU_DEP_2)
	v_cmp_ne_u32_e32 vcc_lo, 0, v2
	s_mov_b32 s13, -1
	v_dual_mov_b32 v16, v0 :: v_dual_mov_b32 v15, v101
	s_cbranch_vccnz .LBB6_2322
; %bb.387:                              ;   in Loop: Header=BB6_305 Depth=3
	v_ashrrev_i32_e32 v2, 31, v101
	s_mov_b32 s14, exec_lo
	s_delay_alu instid0(VALU_DEP_1) | instskip(NEXT) | instid1(VALU_DEP_1)
	v_lshrrev_b32_e32 v2, 21, v2
	v_add_nc_u32_e32 v2, v101, v2
	s_delay_alu instid0(VALU_DEP_1) | instskip(NEXT) | instid1(VALU_DEP_1)
	v_ashrrev_i32_e32 v181, 11, v2
	v_sub_nc_u32_e32 v2, v181, v130
	s_delay_alu instid0(VALU_DEP_1)
	v_cmpx_lt_i32_e32 0, v2
	s_cbranch_execz .LBB6_1928
; %bb.388:                              ;   in Loop: Header=BB6_305 Depth=3
	s_cbranch_execz .LBB6_389
; %bb.10219:
	s_getpc_b64 s[48:49]
.Lpost_getpc285:
	s_add_u32 s48, s48, (.LBB6_9801-.Lpost_getpc285)&4294967295
	s_addc_u32 s49, s49, (.LBB6_9801-.Lpost_getpc285)>>32
	s_setpc_b64 s[48:49]
.LBB6_389:                              ;   in Loop: Header=BB6_305 Depth=3
	ds_load_b128 v[8:11], v0
	ds_load_b64 v[12:13], v0
	s_mov_b32 s30, 0
	s_waitcnt lgkmcnt(1)
	v_add_co_u32 v112, vcc_lo, v8, v164
	v_add_co_ci_u32_e32 v113, vcc_lo, v9, v165, vcc_lo
	v_add_co_u32 v114, vcc_lo, v10, v164
	v_add_co_ci_u32_e32 v115, vcc_lo, v11, v165, vcc_lo
	s_waitcnt lgkmcnt(0)
	v_add_co_u32 v116, vcc_lo, v12, v164
	v_add_co_ci_u32_e32 v117, vcc_lo, v13, v165, vcc_lo
	s_branch .LBB6_393
.LBB6_390:                              ;   in Loop: Header=BB6_393 Depth=4
	s_or_b32 exec_lo, exec_lo, s13
	s_delay_alu instid0(VALU_DEP_1) | instskip(NEXT) | instid1(VALU_DEP_2)
	v_lshrrev_b32_e32 v95, 20, v95
	v_cmp_gt_i32_e32 vcc_lo, 16, v11
	v_min_i32_e32 v104, 15, v11
	v_lshrrev_b32_e32 v15, 24, v15
	s_delay_alu instid0(VALU_DEP_2) | instskip(NEXT) | instid1(VALU_DEP_2)
	v_dual_cndmask_b32 v95, 7, v95 :: v_dual_lshlrev_b32 v104, 3, v104
	v_and_b32_e32 v15, 0x80, v15
	s_delay_alu instid0(VALU_DEP_2) | instskip(SKIP_1) | instid1(VALU_DEP_2)
	v_or_b32_e32 v11, v11, v95
	v_and_b32_e32 v105, 7, v95
	v_cmp_ne_u32_e32 vcc_lo, 0, v11
	v_and_b32_e32 v104, 0xf8, v104
	s_delay_alu instid0(VALU_DEP_1) | instskip(NEXT) | instid1(VALU_DEP_1)
	v_or3_b32 v15, v15, v104, v105
	v_lshlrev_b32_e32 v15, 8, v15
	s_delay_alu instid0(VALU_DEP_1)
	v_cndmask_b32_e32 v11, 0, v15, vcc_lo
.LBB6_391:                              ;   in Loop: Header=BB6_393 Depth=4
	s_or_b32 exec_lo, exec_lo, s34
.LBB6_392:                              ;   in Loop: Header=BB6_393 Depth=4
	s_delay_alu instid0(SALU_CYCLE_1)
	s_or_b32 exec_lo, exec_lo, s31
	v_or_b32_e32 v15, v17, v74
	v_and_b32_e32 v17, 0xff, v72
	v_lshlrev_b32_e32 v72, 24, v16
	v_lshlrev_b32_e32 v16, 8, v63
	v_and_b32_e32 v63, 0xff, v76
	v_lshlrev_b32_e32 v74, 8, v75
	v_and_b32_e32 v20, 0xff, v20
	v_lshlrev_b32_e32 v15, 16, v15
	v_perm_b32 v35, v16, v35, 0xc0c0500
	v_or_b32_e32 v16, v19, v78
	v_lshlrev_b32_e32 v17, 16, v17
	v_lshlrev_b32_e32 v18, 24, v18
	;; [unrolled: 1-line block ×3, first 2 shown]
	v_perm_b32 v21, v74, v21, 0xc0c0500
	v_and_b32_e32 v22, 0xff, v22
	v_lshlrev_b32_e32 v63, 16, v16
	v_or3_b32 v16, v73, v20, v15
	v_or_b32_e32 v20, v25, v58
	v_or3_b32 v15, v72, v17, v35
	v_or3_b32 v17, v18, v19, v21
	;; [unrolled: 1-line block ×3, first 2 shown]
	v_and_b32_e32 v21, 0xff, v56
	v_lshlrev_b32_e32 v22, 8, v47
	v_and_b32_e32 v19, 0xff, v32
	v_lshlrev_b32_e32 v20, 16, v20
	v_lshlrev_b32_e32 v24, 24, v24
	v_and_b32_e32 v25, 0xff, v60
	v_lshlrev_b32_e32 v32, 8, v59
	v_lshlrev_b32_e32 v21, 16, v21
	v_perm_b32 v22, v22, v51, 0xc0c0500
	v_lshlrev_b32_e32 v26, 24, v26
	v_lshlrev_b32_e32 v25, 16, v25
	v_perm_b32 v32, v32, v33, 0xc0c0500
	v_or3_b32 v20, v57, v19, v20
	v_or_b32_e32 v27, v27, v62
	v_or3_b32 v19, v24, v21, v22
	v_or_b32_e32 v22, v37, v42
	v_or3_b32 v21, v26, v25, v32
	v_and_b32_e32 v24, 0xff, v34
	v_lshlrev_b32_e32 v25, 16, v27
	v_lshlrev_b32_e32 v32, 8, v183
	;; [unrolled: 1-line block ×3, first 2 shown]
	v_and_b32_e32 v22, 0xff, v40
	v_and_b32_e32 v34, 0xff, v44
	v_lshlrev_b32_e32 v35, 8, v43
	v_and_b32_e32 v26, 0xff, v48
	v_lshlrev_b32_e32 v33, 24, v36
	v_lshlrev_b32_e32 v36, 16, v22
	v_perm_b32 v32, v32, v182, 0xc0c0500
	v_lshlrev_b32_e32 v37, 24, v38
	v_lshlrev_b32_e32 v34, 16, v34
	v_perm_b32 v35, v35, v49, 0xc0c0500
	v_or3_b32 v22, v61, v24, v25
	v_or3_b32 v25, v41, v26, v27
	v_or_b32_e32 v27, v39, v46
	v_or3_b32 v24, v33, v36, v32
	v_or3_b32 v26, v37, v34, v35
	v_or_b32_e32 v9, v9, v90
	v_and_b32_e32 v33, 0xff, v88
	v_lshlrev_b32_e32 v34, 8, v79
	v_and_b32_e32 v35, 0xff, v92
	v_lshlrev_b32_e32 v36, 8, v91
	v_or_b32_e32 v11, v11, v94
	v_and_b32_e32 v32, 0xff, v50
	v_lshlrev_b32_e32 v27, 16, v27
	v_and_b32_e32 v12, 0xff, v12
	v_lshlrev_b32_e32 v9, 16, v9
	v_lshlrev_b32_e32 v8, 24, v8
	;; [unrolled: 1-line block ×3, first 2 shown]
	v_perm_b32 v23, v34, v23, 0xc0c0500
	v_lshlrev_b32_e32 v10, 24, v10
	v_lshlrev_b32_e32 v34, 16, v35
	v_perm_b32 v13, v36, v13, 0xc0c0500
	v_and_b32_e32 v14, 0xff, v14
	v_lshlrev_b32_e32 v11, 16, v11
	v_add_co_u32 v112, vcc_lo, v112, v166
	v_or3_b32 v27, v45, v32, v27
	v_sub_nc_u32_e32 v2, v2, v129
	v_add_co_ci_u32_e32 v113, vcc_lo, v113, v167, vcc_lo
	v_add_co_u32 v114, vcc_lo, v114, v166
	v_or3_b32 v9, v89, v12, v9
	v_or3_b32 v8, v8, v33, v23
	;; [unrolled: 1-line block ×4, first 2 shown]
	v_add_co_ci_u32_e32 v115, vcc_lo, v115, v167, vcc_lo
	s_clause 0x3
	global_store_b128 v[116:117], v[24:27], off glc slc dlc
	global_store_b128 v[116:117], v[19:22], off offset:512 glc slc dlc
	global_store_b128 v[116:117], v[15:18], off offset:1024 glc slc dlc
	;; [unrolled: 1-line block ×3, first 2 shown]
	v_cmp_gt_i32_e32 vcc_lo, 1, v2
	v_add_co_u32 v116, s13, v116, v166
	s_delay_alu instid0(VALU_DEP_1) | instskip(SKIP_1) | instid1(SALU_CYCLE_1)
	v_add_co_ci_u32_e64 v117, s13, v117, v167, s13
	s_or_b32 s30, vcc_lo, s30
	s_and_not1_b32 exec_lo, exec_lo, s30
	s_cbranch_execz .LBB6_1927
.LBB6_393:                              ;   Parent Loop BB6_51 Depth=1
                                        ;     Parent Loop BB6_303 Depth=2
                                        ;       Parent Loop BB6_305 Depth=3
                                        ; =>      This Inner Loop Header: Depth=4
	s_clause 0x3
	global_load_b128 v[48:51], v[112:113], off slc dlc
	global_load_b128 v[32:35], v[112:113], off offset:512 slc dlc
	global_load_b128 v[20:23], v[112:113], off offset:1024 slc dlc
	;; [unrolled: 1-line block ×3, first 2 shown]
	s_clause 0x3
	global_load_b128 v[36:39], v[114:115], off slc dlc
	global_load_b128 v[24:27], v[114:115], off offset:512 slc dlc
	global_load_b128 v[16:19], v[114:115], off offset:1024 slc dlc
	;; [unrolled: 1-line block ×3, first 2 shown]
	s_mov_b32 s13, 0
	s_mov_b32 s34, exec_lo
                                        ; implicit-def: $sgpr31
	s_waitcnt vmcnt(7)
	v_and_b32_e32 v183, 0xff, v48
	s_delay_alu instid0(VALU_DEP_1)
	v_cmpx_lt_i16_e64 0x7f, v183
	s_xor_b32 s34, exec_lo, s34
	s_cbranch_execnz .LBB6_1415
; %bb.394:                              ;   in Loop: Header=BB6_393 Depth=4
	s_or_saveexec_b32 s34, s34
	v_mov_b32_e32 v182, s31
	s_xor_b32 exec_lo, exec_lo, s34
	s_cbranch_execnz .LBB6_1418
.LBB6_395:                              ;   in Loop: Header=BB6_393 Depth=4
	s_or_b32 exec_lo, exec_lo, s34
	s_and_saveexec_b32 s31, s13
	s_cbranch_execz .LBB6_397
.LBB6_396:                              ;   in Loop: Header=BB6_393 Depth=4
	v_bfe_u32 v41, v48, 3, 4
	v_lshlrev_b32_e32 v42, 24, v48
	s_delay_alu instid0(VALU_DEP_2) | instskip(SKIP_1) | instid1(VALU_DEP_1)
	v_cmp_eq_u32_e32 vcc_lo, 0, v41
	v_and_b32_e32 v182, 7, v48
	v_clz_i32_u32_e32 v183, v182
	s_delay_alu instid0(VALU_DEP_1) | instskip(NEXT) | instid1(VALU_DEP_1)
	v_min_u32_e32 v183, 32, v183
	v_subrev_nc_u32_e32 v40, 28, v183
	v_sub_nc_u32_e32 v183, 29, v183
	s_delay_alu instid0(VALU_DEP_1) | instskip(NEXT) | instid1(VALU_DEP_1)
	v_dual_cndmask_b32 v183, v41, v183 :: v_dual_lshlrev_b32 v40, v40, v48
	v_and_b32_e32 v40, 7, v40
	s_delay_alu instid0(VALU_DEP_2) | instskip(NEXT) | instid1(VALU_DEP_2)
	v_lshl_add_u32 v183, v183, 23, 0x3b800000
	v_cndmask_b32_e32 v182, v182, v40, vcc_lo
	v_and_b32_e32 v40, 0x80000000, v42
	s_delay_alu instid0(VALU_DEP_2) | instskip(NEXT) | instid1(VALU_DEP_1)
	v_lshlrev_b32_e32 v182, 20, v182
	v_or3_b32 v182, v40, v183, v182
.LBB6_397:                              ;   in Loop: Header=BB6_393 Depth=4
	s_or_b32 exec_lo, exec_lo, s31
	s_waitcnt vmcnt(3)
	v_and_b32_e32 v40, 0xff, v36
	s_mov_b32 s13, 0
	s_mov_b32 s34, exec_lo
                                        ; implicit-def: $sgpr31
	s_delay_alu instid0(VALU_DEP_1)
	v_cmpx_lt_i16_e32 0x7f, v40
	s_xor_b32 s34, exec_lo, s34
	s_cbranch_execnz .LBB6_1419
; %bb.398:                              ;   in Loop: Header=BB6_393 Depth=4
	s_or_saveexec_b32 s34, s34
	v_mov_b32_e32 v183, s31
	s_xor_b32 exec_lo, exec_lo, s34
	s_cbranch_execnz .LBB6_1422
.LBB6_399:                              ;   in Loop: Header=BB6_393 Depth=4
	s_or_b32 exec_lo, exec_lo, s34
	s_and_saveexec_b32 s31, s13
	s_cbranch_execz .LBB6_401
.LBB6_400:                              ;   in Loop: Header=BB6_393 Depth=4
	v_and_b32_e32 v183, 7, v36
	v_bfe_u32 v42, v36, 3, 4
	v_lshlrev_b32_e32 v43, 24, v36
	s_delay_alu instid0(VALU_DEP_3) | instskip(NEXT) | instid1(VALU_DEP_3)
	v_clz_i32_u32_e32 v40, v183
	v_cmp_eq_u32_e32 vcc_lo, 0, v42
	s_delay_alu instid0(VALU_DEP_2) | instskip(NEXT) | instid1(VALU_DEP_1)
	v_min_u32_e32 v40, 32, v40
	v_subrev_nc_u32_e32 v41, 28, v40
	v_sub_nc_u32_e32 v40, 29, v40
	s_delay_alu instid0(VALU_DEP_2) | instskip(NEXT) | instid1(VALU_DEP_1)
	v_lshlrev_b32_e32 v41, v41, v36
	v_dual_cndmask_b32 v40, v42, v40 :: v_dual_and_b32 v41, 7, v41
	s_delay_alu instid0(VALU_DEP_1) | instskip(NEXT) | instid1(VALU_DEP_2)
	v_lshl_add_u32 v40, v40, 23, 0x3b800000
	v_cndmask_b32_e32 v183, v183, v41, vcc_lo
	v_and_b32_e32 v41, 0x80000000, v43
	s_delay_alu instid0(VALU_DEP_2) | instskip(NEXT) | instid1(VALU_DEP_1)
	v_lshlrev_b32_e32 v183, 20, v183
	v_or3_b32 v183, v41, v40, v183
.LBB6_401:                              ;   in Loop: Header=BB6_393 Depth=4
	s_or_b32 exec_lo, exec_lo, s31
	s_delay_alu instid0(VALU_DEP_1) | instskip(NEXT) | instid1(VALU_DEP_1)
	v_add_f32_e32 v183, v182, v183
	v_and_b32_e32 v182, 0x7f800000, v183
	s_delay_alu instid0(VALU_DEP_1)
	v_cmp_ne_u32_e32 vcc_lo, 0x7f800000, v182
	v_mov_b32_e32 v182, 0x80
	s_and_saveexec_b32 s31, vcc_lo
	s_cbranch_execz .LBB6_409
; %bb.402:                              ;   in Loop: Header=BB6_393 Depth=4
	v_mov_b32_e32 v182, 0
	s_mov_b32 s34, exec_lo
	v_cmpx_ne_u32_e32 0, v183
	s_cbranch_execz .LBB6_408
; %bb.403:                              ;   in Loop: Header=BB6_393 Depth=4
	v_bfe_u32 v182, v183, 23, 8
	s_delay_alu instid0(VALU_DEP_1) | instskip(SKIP_1) | instid1(VALU_DEP_2)
	v_sub_nc_u32_e32 v41, 0x78, v182
	v_cmp_gt_u32_e32 vcc_lo, 0x79, v182
	v_dual_cndmask_b32 v41, 0, v41 :: v_dual_and_b32 v40, 0x7fffff, v183
	s_delay_alu instid0(VALU_DEP_1) | instskip(SKIP_2) | instid1(VALU_DEP_4)
	v_or_b32_e32 v42, 0x800000, v40
	v_cmp_eq_u32_e32 vcc_lo, 0, v182
	v_add_nc_u32_e32 v182, 0xffffff89, v182
	v_cndmask_b32_e64 v41, v41, 0x77, vcc_lo
	s_delay_alu instid0(VALU_DEP_2) | instskip(SKIP_1) | instid1(VALU_DEP_3)
	v_cndmask_b32_e64 v182, v182, 0xffffff8a, vcc_lo
	v_cndmask_b32_e32 v40, v42, v40, vcc_lo
	v_lshl_add_u32 v42, 0x100000, v41, -1
	v_lshlrev_b32_e64 v45, v41, 0x80000
	s_delay_alu instid0(VALU_DEP_3) | instskip(SKIP_1) | instid1(VALU_DEP_4)
	v_lshrrev_b32_e32 v43, v41, v40
	v_add_nc_u32_e32 v41, v41, v182
	v_and_b32_e32 v40, v42, v40
	s_delay_alu instid0(VALU_DEP_3) | instskip(NEXT) | instid1(VALU_DEP_2)
	v_bfe_u32 v44, v43, 20, 1
	v_cmp_eq_u32_e64 s13, v40, v45
	s_delay_alu instid0(VALU_DEP_2) | instskip(NEXT) | instid1(VALU_DEP_1)
	v_add_nc_u32_e32 v42, -1, v44
	v_cndmask_b32_e64 v40, 0, v42, s13
	v_lshrrev_b32_e32 v42, 23, v43
	s_mov_b32 s13, exec_lo
	s_delay_alu instid0(VALU_DEP_2) | instskip(NEXT) | instid1(VALU_DEP_2)
	v_add_nc_u32_e32 v40, v40, v43
	v_xor_b32_e32 v42, 1, v42
	s_delay_alu instid0(VALU_DEP_2) | instskip(NEXT) | instid1(VALU_DEP_1)
	v_and_b32_e32 v182, 0xfffff, v40
	v_add_nc_u32_e32 v40, v182, v43
                                        ; implicit-def: $vgpr182
	s_delay_alu instid0(VALU_DEP_3)
	v_cmpx_ne_u32_e64 v41, v42
	s_xor_b32 s13, exec_lo, s13
; %bb.404:                              ;   in Loop: Header=BB6_393 Depth=4
	s_delay_alu instid0(VALU_DEP_2) | instskip(SKIP_2) | instid1(VALU_DEP_2)
	v_cmp_lt_u32_e32 vcc_lo, 0xffffff, v40
	v_sub_nc_u32_e32 v182, v41, v42
	v_cndmask_b32_e64 v41, 0, 1, vcc_lo
	v_add_co_ci_u32_e32 v182, vcc_lo, 0, v182, vcc_lo
	s_delay_alu instid0(VALU_DEP_2)
	v_lshrrev_b32_e32 v40, v41, v40
; %bb.405:                              ;   in Loop: Header=BB6_393 Depth=4
	s_and_not1_saveexec_b32 s13, s13
; %bb.406:                              ;   in Loop: Header=BB6_393 Depth=4
	s_delay_alu instid0(VALU_DEP_1)
	v_bfe_u32 v182, v40, 23, 1
; %bb.407:                              ;   in Loop: Header=BB6_393 Depth=4
	s_or_b32 exec_lo, exec_lo, s13
	v_lshrrev_b32_e32 v40, 20, v40
	s_delay_alu instid0(VALU_DEP_2) | instskip(SKIP_2) | instid1(VALU_DEP_2)
	v_cmp_gt_i32_e32 vcc_lo, 16, v182
	v_lshrrev_b32_e32 v183, 24, v183
	v_min_i32_e32 v41, 15, v182
	v_dual_cndmask_b32 v40, 7, v40 :: v_dual_and_b32 v183, 0x80, v183
	s_delay_alu instid0(VALU_DEP_1) | instskip(SKIP_1) | instid1(VALU_DEP_2)
	v_or_b32_e32 v182, v182, v40
	v_and_b32_e32 v42, 7, v40
	v_cmp_ne_u32_e32 vcc_lo, 0, v182
	v_lshlrev_b32_e32 v41, 3, v41
	s_delay_alu instid0(VALU_DEP_1) | instskip(NEXT) | instid1(VALU_DEP_1)
	v_or3_b32 v183, v41, v183, v42
	v_cndmask_b32_e32 v182, 0, v183, vcc_lo
.LBB6_408:                              ;   in Loop: Header=BB6_393 Depth=4
	s_or_b32 exec_lo, exec_lo, s34
.LBB6_409:                              ;   in Loop: Header=BB6_393 Depth=4
	s_delay_alu instid0(SALU_CYCLE_1) | instskip(SKIP_3) | instid1(VALU_DEP_1)
	s_or_b32 exec_lo, exec_lo, s31
	v_lshrrev_b16 v40, 8, v48
	s_mov_b32 s13, 0
	s_mov_b32 s34, exec_lo
                                        ; implicit-def: $sgpr31
	v_cmpx_lt_i16_e32 0x7f, v40
	s_xor_b32 s34, exec_lo, s34
	s_cbranch_execnz .LBB6_1423
; %bb.410:                              ;   in Loop: Header=BB6_393 Depth=4
	s_or_saveexec_b32 s34, s34
	v_mov_b32_e32 v183, s31
	s_xor_b32 exec_lo, exec_lo, s34
	s_cbranch_execnz .LBB6_1426
.LBB6_411:                              ;   in Loop: Header=BB6_393 Depth=4
	s_or_b32 exec_lo, exec_lo, s34
	s_and_saveexec_b32 s31, s13
	s_cbranch_execz .LBB6_413
.LBB6_412:                              ;   in Loop: Header=BB6_393 Depth=4
	v_and_b32_e32 v183, 0xffff, v40
	s_delay_alu instid0(VALU_DEP_1) | instskip(NEXT) | instid1(VALU_DEP_1)
	v_and_b32_e32 v41, 7, v183
	v_clz_i32_u32_e32 v42, v41
	s_delay_alu instid0(VALU_DEP_1) | instskip(NEXT) | instid1(VALU_DEP_1)
	v_min_u32_e32 v42, 32, v42
	v_subrev_nc_u32_e32 v43, 28, v42
	v_sub_nc_u32_e32 v42, 29, v42
	s_delay_alu instid0(VALU_DEP_2) | instskip(SKIP_1) | instid1(VALU_DEP_2)
	v_lshlrev_b32_e32 v43, v43, v183
	v_bfe_u32 v183, v183, 3, 4
	v_and_b32_e32 v43, 7, v43
	s_delay_alu instid0(VALU_DEP_2) | instskip(SKIP_1) | instid1(VALU_DEP_1)
	v_cmp_eq_u32_e32 vcc_lo, 0, v183
	v_dual_cndmask_b32 v183, v183, v42 :: v_dual_lshlrev_b32 v40, 24, v40
	v_dual_cndmask_b32 v41, v41, v43 :: v_dual_and_b32 v40, 0x80000000, v40
	s_delay_alu instid0(VALU_DEP_2) | instskip(NEXT) | instid1(VALU_DEP_2)
	v_lshl_add_u32 v183, v183, 23, 0x3b800000
	v_lshlrev_b32_e32 v41, 20, v41
	s_delay_alu instid0(VALU_DEP_1)
	v_or3_b32 v183, v40, v183, v41
.LBB6_413:                              ;   in Loop: Header=BB6_393 Depth=4
	s_or_b32 exec_lo, exec_lo, s31
	v_lshrrev_b16 v40, 8, v36
	s_mov_b32 s13, 0
	s_mov_b32 s34, exec_lo
                                        ; implicit-def: $sgpr31
	s_delay_alu instid0(VALU_DEP_1)
	v_cmpx_lt_i16_e32 0x7f, v40
	s_xor_b32 s34, exec_lo, s34
	s_cbranch_execnz .LBB6_1427
; %bb.414:                              ;   in Loop: Header=BB6_393 Depth=4
	s_or_saveexec_b32 s34, s34
	v_mov_b32_e32 v41, s31
	s_xor_b32 exec_lo, exec_lo, s34
	s_cbranch_execnz .LBB6_1430
.LBB6_415:                              ;   in Loop: Header=BB6_393 Depth=4
	s_or_b32 exec_lo, exec_lo, s34
	s_and_saveexec_b32 s31, s13
	s_cbranch_execz .LBB6_417
.LBB6_416:                              ;   in Loop: Header=BB6_393 Depth=4
	v_and_b32_e32 v41, 0xffff, v40
	v_lshlrev_b32_e32 v40, 24, v40
	s_delay_alu instid0(VALU_DEP_2) | instskip(NEXT) | instid1(VALU_DEP_2)
	v_and_b32_e32 v42, 7, v41
	v_and_b32_e32 v40, 0x80000000, v40
	s_delay_alu instid0(VALU_DEP_2) | instskip(NEXT) | instid1(VALU_DEP_1)
	v_clz_i32_u32_e32 v43, v42
	v_min_u32_e32 v43, 32, v43
	s_delay_alu instid0(VALU_DEP_1) | instskip(SKIP_1) | instid1(VALU_DEP_2)
	v_subrev_nc_u32_e32 v44, 28, v43
	v_sub_nc_u32_e32 v43, 29, v43
	v_lshlrev_b32_e32 v44, v44, v41
	v_bfe_u32 v41, v41, 3, 4
	s_delay_alu instid0(VALU_DEP_2) | instskip(NEXT) | instid1(VALU_DEP_2)
	v_and_b32_e32 v44, 7, v44
	v_cmp_eq_u32_e32 vcc_lo, 0, v41
	s_delay_alu instid0(VALU_DEP_2) | instskip(NEXT) | instid1(VALU_DEP_1)
	v_dual_cndmask_b32 v41, v41, v43 :: v_dual_cndmask_b32 v42, v42, v44
	v_lshl_add_u32 v41, v41, 23, 0x3b800000
	s_delay_alu instid0(VALU_DEP_2) | instskip(NEXT) | instid1(VALU_DEP_1)
	v_lshlrev_b32_e32 v42, 20, v42
	v_or3_b32 v41, v40, v41, v42
.LBB6_417:                              ;   in Loop: Header=BB6_393 Depth=4
	s_or_b32 exec_lo, exec_lo, s31
	s_delay_alu instid0(VALU_DEP_1) | instskip(NEXT) | instid1(VALU_DEP_1)
	v_add_f32_e32 v40, v183, v41
	v_and_b32_e32 v183, 0x7f800000, v40
	s_delay_alu instid0(VALU_DEP_1)
	v_cmp_ne_u32_e32 vcc_lo, 0x7f800000, v183
	v_mov_b32_e32 v183, 0x80
	s_and_saveexec_b32 s31, vcc_lo
	s_cbranch_execz .LBB6_425
; %bb.418:                              ;   in Loop: Header=BB6_393 Depth=4
	v_mov_b32_e32 v183, 0
	s_mov_b32 s34, exec_lo
	v_cmpx_ne_u32_e32 0, v40
	s_cbranch_execz .LBB6_424
; %bb.419:                              ;   in Loop: Header=BB6_393 Depth=4
	v_bfe_u32 v183, v40, 23, 8
	s_delay_alu instid0(VALU_DEP_1) | instskip(SKIP_1) | instid1(VALU_DEP_2)
	v_sub_nc_u32_e32 v42, 0x78, v183
	v_cmp_gt_u32_e32 vcc_lo, 0x79, v183
	v_dual_cndmask_b32 v42, 0, v42 :: v_dual_and_b32 v41, 0x7fffff, v40
	s_delay_alu instid0(VALU_DEP_1) | instskip(SKIP_2) | instid1(VALU_DEP_4)
	v_or_b32_e32 v43, 0x800000, v41
	v_cmp_eq_u32_e32 vcc_lo, 0, v183
	v_add_nc_u32_e32 v183, 0xffffff89, v183
	v_cndmask_b32_e64 v42, v42, 0x77, vcc_lo
	s_delay_alu instid0(VALU_DEP_2) | instskip(SKIP_1) | instid1(VALU_DEP_3)
	v_cndmask_b32_e64 v183, v183, 0xffffff8a, vcc_lo
	v_cndmask_b32_e32 v41, v43, v41, vcc_lo
	v_lshl_add_u32 v43, 0x100000, v42, -1
	v_lshlrev_b32_e64 v46, v42, 0x80000
	s_delay_alu instid0(VALU_DEP_3) | instskip(SKIP_1) | instid1(VALU_DEP_4)
	v_lshrrev_b32_e32 v44, v42, v41
	v_add_nc_u32_e32 v42, v42, v183
	v_and_b32_e32 v41, v43, v41
	s_delay_alu instid0(VALU_DEP_3) | instskip(NEXT) | instid1(VALU_DEP_2)
	v_bfe_u32 v45, v44, 20, 1
	v_cmp_eq_u32_e64 s13, v41, v46
	s_delay_alu instid0(VALU_DEP_2) | instskip(NEXT) | instid1(VALU_DEP_1)
	v_add_nc_u32_e32 v43, -1, v45
	v_cndmask_b32_e64 v41, 0, v43, s13
	v_lshrrev_b32_e32 v43, 23, v44
	s_mov_b32 s13, exec_lo
	s_delay_alu instid0(VALU_DEP_2) | instskip(NEXT) | instid1(VALU_DEP_2)
	v_add_nc_u32_e32 v41, v41, v44
	v_xor_b32_e32 v43, 1, v43
	s_delay_alu instid0(VALU_DEP_2) | instskip(NEXT) | instid1(VALU_DEP_1)
	v_and_b32_e32 v183, 0xfffff, v41
	v_add_nc_u32_e32 v41, v183, v44
                                        ; implicit-def: $vgpr183
	s_delay_alu instid0(VALU_DEP_3)
	v_cmpx_ne_u32_e64 v42, v43
	s_xor_b32 s13, exec_lo, s13
; %bb.420:                              ;   in Loop: Header=BB6_393 Depth=4
	s_delay_alu instid0(VALU_DEP_2) | instskip(SKIP_2) | instid1(VALU_DEP_2)
	v_cmp_lt_u32_e32 vcc_lo, 0xffffff, v41
	v_sub_nc_u32_e32 v183, v42, v43
	v_cndmask_b32_e64 v42, 0, 1, vcc_lo
	v_add_co_ci_u32_e32 v183, vcc_lo, 0, v183, vcc_lo
	s_delay_alu instid0(VALU_DEP_2)
	v_lshrrev_b32_e32 v41, v42, v41
; %bb.421:                              ;   in Loop: Header=BB6_393 Depth=4
	s_and_not1_saveexec_b32 s13, s13
; %bb.422:                              ;   in Loop: Header=BB6_393 Depth=4
	s_delay_alu instid0(VALU_DEP_1)
	v_bfe_u32 v183, v41, 23, 1
; %bb.423:                              ;   in Loop: Header=BB6_393 Depth=4
	s_or_b32 exec_lo, exec_lo, s13
	v_lshrrev_b32_e32 v41, 20, v41
	s_delay_alu instid0(VALU_DEP_2) | instskip(SKIP_2) | instid1(VALU_DEP_2)
	v_cmp_gt_i32_e32 vcc_lo, 16, v183
	v_lshrrev_b32_e32 v40, 24, v40
	v_min_i32_e32 v42, 15, v183
	v_dual_cndmask_b32 v41, 7, v41 :: v_dual_and_b32 v40, 0x80, v40
	s_delay_alu instid0(VALU_DEP_1) | instskip(SKIP_1) | instid1(VALU_DEP_2)
	v_or_b32_e32 v183, v183, v41
	v_and_b32_e32 v43, 7, v41
	v_cmp_ne_u32_e32 vcc_lo, 0, v183
	v_lshlrev_b32_e32 v42, 3, v42
	s_delay_alu instid0(VALU_DEP_1) | instskip(NEXT) | instid1(VALU_DEP_1)
	v_or3_b32 v40, v42, v40, v43
	v_cndmask_b32_e32 v183, 0, v40, vcc_lo
.LBB6_424:                              ;   in Loop: Header=BB6_393 Depth=4
	s_or_b32 exec_lo, exec_lo, s34
.LBB6_425:                              ;   in Loop: Header=BB6_393 Depth=4
	s_delay_alu instid0(SALU_CYCLE_1) | instskip(SKIP_3) | instid1(VALU_DEP_1)
	s_or_b32 exec_lo, exec_lo, s31
	v_lshrrev_b32_e32 v41, 16, v48
	s_mov_b32 s13, 0
	s_mov_b32 s34, exec_lo
                                        ; implicit-def: $sgpr31
	v_and_b32_e32 v42, 0xff, v41
	s_delay_alu instid0(VALU_DEP_1)
	v_cmpx_lt_i16_e32 0x7f, v42
	s_xor_b32 s34, exec_lo, s34
	s_cbranch_execnz .LBB6_1431
; %bb.426:                              ;   in Loop: Header=BB6_393 Depth=4
	s_or_saveexec_b32 s34, s34
	v_mov_b32_e32 v40, s31
	s_xor_b32 exec_lo, exec_lo, s34
	s_cbranch_execnz .LBB6_1434
.LBB6_427:                              ;   in Loop: Header=BB6_393 Depth=4
	s_or_b32 exec_lo, exec_lo, s34
	s_and_saveexec_b32 s31, s13
	s_cbranch_execz .LBB6_429
.LBB6_428:                              ;   in Loop: Header=BB6_393 Depth=4
	v_bfe_u32 v40, v48, 16, 3
	v_lshlrev_b32_e32 v44, 8, v48
	s_delay_alu instid0(VALU_DEP_2) | instskip(NEXT) | instid1(VALU_DEP_1)
	v_clz_i32_u32_e32 v42, v40
	v_min_u32_e32 v42, 32, v42
	s_delay_alu instid0(VALU_DEP_1) | instskip(SKIP_1) | instid1(VALU_DEP_2)
	v_subrev_nc_u32_e32 v43, 28, v42
	v_sub_nc_u32_e32 v42, 29, v42
	v_lshlrev_b32_e32 v41, v43, v41
	v_bfe_u32 v43, v48, 19, 4
	s_delay_alu instid0(VALU_DEP_1) | instskip(NEXT) | instid1(VALU_DEP_3)
	v_cmp_eq_u32_e32 vcc_lo, 0, v43
	v_dual_cndmask_b32 v42, v43, v42 :: v_dual_and_b32 v41, 7, v41
	s_delay_alu instid0(VALU_DEP_1) | instskip(NEXT) | instid1(VALU_DEP_2)
	v_dual_cndmask_b32 v40, v40, v41 :: v_dual_and_b32 v41, 0x80000000, v44
	v_lshl_add_u32 v42, v42, 23, 0x3b800000
	s_delay_alu instid0(VALU_DEP_2) | instskip(NEXT) | instid1(VALU_DEP_1)
	v_lshlrev_b32_e32 v40, 20, v40
	v_or3_b32 v40, v41, v42, v40
.LBB6_429:                              ;   in Loop: Header=BB6_393 Depth=4
	s_or_b32 exec_lo, exec_lo, s31
	v_lshrrev_b32_e32 v41, 16, v36
	s_mov_b32 s13, 0
	s_mov_b32 s34, exec_lo
                                        ; implicit-def: $sgpr31
	s_delay_alu instid0(VALU_DEP_1) | instskip(NEXT) | instid1(VALU_DEP_1)
	v_and_b32_e32 v43, 0xff, v41
	v_cmpx_lt_i16_e32 0x7f, v43
	s_xor_b32 s34, exec_lo, s34
	s_cbranch_execnz .LBB6_1435
; %bb.430:                              ;   in Loop: Header=BB6_393 Depth=4
	s_or_saveexec_b32 s34, s34
	v_mov_b32_e32 v42, s31
	s_xor_b32 exec_lo, exec_lo, s34
	s_cbranch_execnz .LBB6_1438
.LBB6_431:                              ;   in Loop: Header=BB6_393 Depth=4
	s_or_b32 exec_lo, exec_lo, s34
	s_and_saveexec_b32 s31, s13
	s_cbranch_execz .LBB6_433
.LBB6_432:                              ;   in Loop: Header=BB6_393 Depth=4
	v_bfe_u32 v42, v36, 16, 3
	v_lshlrev_b32_e32 v45, 8, v36
	s_delay_alu instid0(VALU_DEP_2) | instskip(NEXT) | instid1(VALU_DEP_1)
	v_clz_i32_u32_e32 v43, v42
	v_min_u32_e32 v43, 32, v43
	s_delay_alu instid0(VALU_DEP_1) | instskip(SKIP_1) | instid1(VALU_DEP_2)
	v_subrev_nc_u32_e32 v44, 28, v43
	v_sub_nc_u32_e32 v43, 29, v43
	v_lshlrev_b32_e32 v41, v44, v41
	v_bfe_u32 v44, v36, 19, 4
	s_delay_alu instid0(VALU_DEP_2) | instskip(NEXT) | instid1(VALU_DEP_2)
	v_and_b32_e32 v41, 7, v41
	v_cmp_eq_u32_e32 vcc_lo, 0, v44
	v_cndmask_b32_e32 v43, v44, v43, vcc_lo
	s_delay_alu instid0(VALU_DEP_3) | instskip(SKIP_1) | instid1(VALU_DEP_3)
	v_cndmask_b32_e32 v41, v42, v41, vcc_lo
	v_and_b32_e32 v42, 0x80000000, v45
	v_lshl_add_u32 v43, v43, 23, 0x3b800000
	s_delay_alu instid0(VALU_DEP_3) | instskip(NEXT) | instid1(VALU_DEP_1)
	v_lshlrev_b32_e32 v41, 20, v41
	v_or3_b32 v42, v42, v43, v41
.LBB6_433:                              ;   in Loop: Header=BB6_393 Depth=4
	s_or_b32 exec_lo, exec_lo, s31
	s_delay_alu instid0(VALU_DEP_1) | instskip(NEXT) | instid1(VALU_DEP_1)
	v_add_f32_e32 v41, v40, v42
	v_and_b32_e32 v40, 0x7f800000, v41
	s_delay_alu instid0(VALU_DEP_1)
	v_cmp_ne_u32_e32 vcc_lo, 0x7f800000, v40
	v_mov_b32_e32 v40, 0x80
	s_and_saveexec_b32 s31, vcc_lo
	s_cbranch_execz .LBB6_441
; %bb.434:                              ;   in Loop: Header=BB6_393 Depth=4
	v_mov_b32_e32 v40, 0
	s_mov_b32 s34, exec_lo
	v_cmpx_ne_u32_e32 0, v41
	s_cbranch_execz .LBB6_440
; %bb.435:                              ;   in Loop: Header=BB6_393 Depth=4
	v_bfe_u32 v40, v41, 23, 8
	s_delay_alu instid0(VALU_DEP_1) | instskip(SKIP_1) | instid1(VALU_DEP_2)
	v_sub_nc_u32_e32 v43, 0x78, v40
	v_cmp_gt_u32_e32 vcc_lo, 0x79, v40
	v_dual_cndmask_b32 v43, 0, v43 :: v_dual_and_b32 v42, 0x7fffff, v41
	s_delay_alu instid0(VALU_DEP_1) | instskip(SKIP_2) | instid1(VALU_DEP_4)
	v_or_b32_e32 v44, 0x800000, v42
	v_cmp_eq_u32_e32 vcc_lo, 0, v40
	v_add_nc_u32_e32 v40, 0xffffff89, v40
	v_cndmask_b32_e64 v43, v43, 0x77, vcc_lo
	s_delay_alu instid0(VALU_DEP_2) | instskip(SKIP_1) | instid1(VALU_DEP_3)
	v_cndmask_b32_e64 v40, v40, 0xffffff8a, vcc_lo
	v_cndmask_b32_e32 v42, v44, v42, vcc_lo
	v_lshl_add_u32 v44, 0x100000, v43, -1
	v_lshlrev_b32_e64 v47, v43, 0x80000
	s_delay_alu instid0(VALU_DEP_3) | instskip(SKIP_1) | instid1(VALU_DEP_4)
	v_lshrrev_b32_e32 v45, v43, v42
	v_add_nc_u32_e32 v43, v43, v40
	v_and_b32_e32 v42, v44, v42
	s_delay_alu instid0(VALU_DEP_3) | instskip(NEXT) | instid1(VALU_DEP_2)
	v_bfe_u32 v46, v45, 20, 1
	v_cmp_eq_u32_e64 s13, v42, v47
	s_delay_alu instid0(VALU_DEP_2) | instskip(NEXT) | instid1(VALU_DEP_1)
	v_add_nc_u32_e32 v44, -1, v46
	v_cndmask_b32_e64 v42, 0, v44, s13
	v_lshrrev_b32_e32 v44, 23, v45
	s_mov_b32 s13, exec_lo
	s_delay_alu instid0(VALU_DEP_2) | instskip(NEXT) | instid1(VALU_DEP_2)
	v_add_nc_u32_e32 v42, v42, v45
	v_xor_b32_e32 v44, 1, v44
	s_delay_alu instid0(VALU_DEP_2) | instskip(NEXT) | instid1(VALU_DEP_1)
	v_and_b32_e32 v40, 0xfffff, v42
	v_add_nc_u32_e32 v42, v40, v45
                                        ; implicit-def: $vgpr40
	s_delay_alu instid0(VALU_DEP_3)
	v_cmpx_ne_u32_e64 v43, v44
	s_xor_b32 s13, exec_lo, s13
; %bb.436:                              ;   in Loop: Header=BB6_393 Depth=4
	s_delay_alu instid0(VALU_DEP_2) | instskip(SKIP_2) | instid1(VALU_DEP_2)
	v_cmp_lt_u32_e32 vcc_lo, 0xffffff, v42
	v_sub_nc_u32_e32 v40, v43, v44
	v_cndmask_b32_e64 v43, 0, 1, vcc_lo
	v_add_co_ci_u32_e32 v40, vcc_lo, 0, v40, vcc_lo
	s_delay_alu instid0(VALU_DEP_2)
	v_lshrrev_b32_e32 v42, v43, v42
; %bb.437:                              ;   in Loop: Header=BB6_393 Depth=4
	s_and_not1_saveexec_b32 s13, s13
; %bb.438:                              ;   in Loop: Header=BB6_393 Depth=4
	s_delay_alu instid0(VALU_DEP_1)
	v_bfe_u32 v40, v42, 23, 1
; %bb.439:                              ;   in Loop: Header=BB6_393 Depth=4
	s_or_b32 exec_lo, exec_lo, s13
	v_lshrrev_b32_e32 v42, 20, v42
	s_delay_alu instid0(VALU_DEP_2) | instskip(SKIP_2) | instid1(VALU_DEP_2)
	v_cmp_gt_i32_e32 vcc_lo, 16, v40
	v_lshrrev_b32_e32 v41, 24, v41
	v_min_i32_e32 v43, 15, v40
	v_dual_cndmask_b32 v42, 7, v42 :: v_dual_and_b32 v41, 0x80, v41
	s_delay_alu instid0(VALU_DEP_1) | instskip(SKIP_1) | instid1(VALU_DEP_2)
	v_or_b32_e32 v40, v40, v42
	v_and_b32_e32 v44, 7, v42
	v_cmp_ne_u32_e32 vcc_lo, 0, v40
	v_lshlrev_b32_e32 v43, 3, v43
	s_delay_alu instid0(VALU_DEP_1) | instskip(NEXT) | instid1(VALU_DEP_1)
	v_or3_b32 v41, v43, v41, v44
	v_cndmask_b32_e32 v40, 0, v41, vcc_lo
.LBB6_440:                              ;   in Loop: Header=BB6_393 Depth=4
	s_or_b32 exec_lo, exec_lo, s34
.LBB6_441:                              ;   in Loop: Header=BB6_393 Depth=4
	s_delay_alu instid0(SALU_CYCLE_1) | instskip(SKIP_3) | instid1(VALU_DEP_1)
	s_or_b32 exec_lo, exec_lo, s31
	v_lshrrev_b32_e32 v42, 24, v48
	s_mov_b32 s13, 0
	s_mov_b32 s34, exec_lo
                                        ; implicit-def: $sgpr31
	v_cmpx_lt_i16_e32 0x7f, v42
	s_xor_b32 s34, exec_lo, s34
	s_cbranch_execnz .LBB6_1439
; %bb.442:                              ;   in Loop: Header=BB6_393 Depth=4
	s_or_saveexec_b32 s34, s34
	v_mov_b32_e32 v41, s31
	s_xor_b32 exec_lo, exec_lo, s34
	s_cbranch_execnz .LBB6_1442
.LBB6_443:                              ;   in Loop: Header=BB6_393 Depth=4
	s_or_b32 exec_lo, exec_lo, s34
	s_and_saveexec_b32 s31, s13
	s_cbranch_execz .LBB6_445
.LBB6_444:                              ;   in Loop: Header=BB6_393 Depth=4
	v_bfe_u32 v41, v48, 24, 3
	s_delay_alu instid0(VALU_DEP_1) | instskip(NEXT) | instid1(VALU_DEP_1)
	v_clz_i32_u32_e32 v43, v41
	v_min_u32_e32 v43, 32, v43
	s_delay_alu instid0(VALU_DEP_1) | instskip(SKIP_1) | instid1(VALU_DEP_2)
	v_subrev_nc_u32_e32 v44, 28, v43
	v_sub_nc_u32_e32 v43, 29, v43
	v_lshlrev_b32_e32 v42, v44, v42
	v_bfe_u32 v44, v48, 27, 4
	v_and_b32_e32 v48, 0x80000000, v48
	s_delay_alu instid0(VALU_DEP_2) | instskip(NEXT) | instid1(VALU_DEP_4)
	v_cmp_eq_u32_e32 vcc_lo, 0, v44
	v_dual_cndmask_b32 v43, v44, v43 :: v_dual_and_b32 v42, 7, v42
	s_delay_alu instid0(VALU_DEP_1) | instskip(NEXT) | instid1(VALU_DEP_2)
	v_cndmask_b32_e32 v41, v41, v42, vcc_lo
	v_lshl_add_u32 v42, v43, 23, 0x3b800000
	s_delay_alu instid0(VALU_DEP_2) | instskip(NEXT) | instid1(VALU_DEP_1)
	v_lshlrev_b32_e32 v41, 20, v41
	v_or3_b32 v41, v48, v42, v41
.LBB6_445:                              ;   in Loop: Header=BB6_393 Depth=4
	s_or_b32 exec_lo, exec_lo, s31
	v_lshrrev_b32_e32 v48, 24, v36
	s_mov_b32 s13, 0
	s_mov_b32 s34, exec_lo
                                        ; implicit-def: $sgpr31
	s_delay_alu instid0(VALU_DEP_1)
	v_cmpx_lt_i16_e32 0x7f, v48
	s_xor_b32 s34, exec_lo, s34
	s_cbranch_execnz .LBB6_1443
; %bb.446:                              ;   in Loop: Header=BB6_393 Depth=4
	s_or_saveexec_b32 s34, s34
	v_mov_b32_e32 v42, s31
	s_xor_b32 exec_lo, exec_lo, s34
	s_cbranch_execnz .LBB6_1446
.LBB6_447:                              ;   in Loop: Header=BB6_393 Depth=4
	s_or_b32 exec_lo, exec_lo, s34
	s_and_saveexec_b32 s31, s13
	s_cbranch_execz .LBB6_449
.LBB6_448:                              ;   in Loop: Header=BB6_393 Depth=4
	v_bfe_u32 v42, v36, 24, 3
	s_delay_alu instid0(VALU_DEP_1) | instskip(NEXT) | instid1(VALU_DEP_1)
	v_clz_i32_u32_e32 v43, v42
	v_min_u32_e32 v43, 32, v43
	s_delay_alu instid0(VALU_DEP_1) | instskip(SKIP_1) | instid1(VALU_DEP_2)
	v_subrev_nc_u32_e32 v44, 28, v43
	v_sub_nc_u32_e32 v43, 29, v43
	v_lshlrev_b32_e32 v48, v44, v48
	v_bfe_u32 v44, v36, 27, 4
	v_and_b32_e32 v36, 0x80000000, v36
	s_delay_alu instid0(VALU_DEP_2) | instskip(NEXT) | instid1(VALU_DEP_4)
	v_cmp_eq_u32_e32 vcc_lo, 0, v44
	v_dual_cndmask_b32 v43, v44, v43 :: v_dual_and_b32 v48, 7, v48
	s_delay_alu instid0(VALU_DEP_1) | instskip(NEXT) | instid1(VALU_DEP_2)
	v_cndmask_b32_e32 v48, v42, v48, vcc_lo
	v_lshl_add_u32 v42, v43, 23, 0x3b800000
	s_delay_alu instid0(VALU_DEP_2) | instskip(NEXT) | instid1(VALU_DEP_1)
	v_lshlrev_b32_e32 v48, 20, v48
	v_or3_b32 v42, v36, v42, v48
.LBB6_449:                              ;   in Loop: Header=BB6_393 Depth=4
	s_or_b32 exec_lo, exec_lo, s31
	s_delay_alu instid0(VALU_DEP_1) | instskip(NEXT) | instid1(VALU_DEP_1)
	v_add_f32_e32 v48, v41, v42
	v_and_b32_e32 v36, 0x7f800000, v48
	s_delay_alu instid0(VALU_DEP_1)
	v_cmp_ne_u32_e32 vcc_lo, 0x7f800000, v36
	v_mov_b32_e32 v36, 0x80
	s_and_saveexec_b32 s31, vcc_lo
	s_cbranch_execz .LBB6_457
; %bb.450:                              ;   in Loop: Header=BB6_393 Depth=4
	v_mov_b32_e32 v36, 0
	s_mov_b32 s34, exec_lo
	v_cmpx_ne_u32_e32 0, v48
	s_cbranch_execz .LBB6_456
; %bb.451:                              ;   in Loop: Header=BB6_393 Depth=4
	v_bfe_u32 v36, v48, 23, 8
	s_delay_alu instid0(VALU_DEP_1) | instskip(SKIP_1) | instid1(VALU_DEP_2)
	v_sub_nc_u32_e32 v42, 0x78, v36
	v_cmp_gt_u32_e32 vcc_lo, 0x79, v36
	v_dual_cndmask_b32 v42, 0, v42 :: v_dual_and_b32 v41, 0x7fffff, v48
	s_delay_alu instid0(VALU_DEP_1) | instskip(SKIP_2) | instid1(VALU_DEP_4)
	v_or_b32_e32 v43, 0x800000, v41
	v_cmp_eq_u32_e32 vcc_lo, 0, v36
	v_add_nc_u32_e32 v36, 0xffffff89, v36
	v_cndmask_b32_e64 v42, v42, 0x77, vcc_lo
	s_delay_alu instid0(VALU_DEP_4) | instskip(NEXT) | instid1(VALU_DEP_3)
	v_cndmask_b32_e32 v41, v43, v41, vcc_lo
	v_cndmask_b32_e64 v36, v36, 0xffffff8a, vcc_lo
	s_delay_alu instid0(VALU_DEP_3) | instskip(NEXT) | instid1(VALU_DEP_3)
	v_lshl_add_u32 v43, 0x100000, v42, -1
	v_lshrrev_b32_e32 v44, v42, v41
	v_lshlrev_b32_e64 v46, v42, 0x80000
	s_delay_alu instid0(VALU_DEP_4) | instskip(NEXT) | instid1(VALU_DEP_4)
	v_add_nc_u32_e32 v42, v42, v36
	v_and_b32_e32 v41, v43, v41
	s_delay_alu instid0(VALU_DEP_4) | instskip(NEXT) | instid1(VALU_DEP_2)
	v_bfe_u32 v45, v44, 20, 1
	v_cmp_eq_u32_e64 s13, v41, v46
	s_delay_alu instid0(VALU_DEP_2) | instskip(NEXT) | instid1(VALU_DEP_1)
	v_add_nc_u32_e32 v43, -1, v45
	v_cndmask_b32_e64 v41, 0, v43, s13
	v_lshrrev_b32_e32 v43, 23, v44
	s_mov_b32 s13, exec_lo
	s_delay_alu instid0(VALU_DEP_2) | instskip(NEXT) | instid1(VALU_DEP_2)
	v_add_nc_u32_e32 v41, v41, v44
	v_xor_b32_e32 v43, 1, v43
	s_delay_alu instid0(VALU_DEP_2) | instskip(NEXT) | instid1(VALU_DEP_1)
	v_and_b32_e32 v36, 0xfffff, v41
	v_add_nc_u32_e32 v41, v36, v44
                                        ; implicit-def: $vgpr36
	s_delay_alu instid0(VALU_DEP_3)
	v_cmpx_ne_u32_e64 v42, v43
	s_xor_b32 s13, exec_lo, s13
; %bb.452:                              ;   in Loop: Header=BB6_393 Depth=4
	s_delay_alu instid0(VALU_DEP_2) | instskip(SKIP_2) | instid1(VALU_DEP_2)
	v_cmp_lt_u32_e32 vcc_lo, 0xffffff, v41
	v_sub_nc_u32_e32 v36, v42, v43
	v_cndmask_b32_e64 v42, 0, 1, vcc_lo
	v_add_co_ci_u32_e32 v36, vcc_lo, 0, v36, vcc_lo
	s_delay_alu instid0(VALU_DEP_2)
	v_lshrrev_b32_e32 v41, v42, v41
; %bb.453:                              ;   in Loop: Header=BB6_393 Depth=4
	s_and_not1_saveexec_b32 s13, s13
; %bb.454:                              ;   in Loop: Header=BB6_393 Depth=4
	s_delay_alu instid0(VALU_DEP_1)
	v_bfe_u32 v36, v41, 23, 1
; %bb.455:                              ;   in Loop: Header=BB6_393 Depth=4
	s_or_b32 exec_lo, exec_lo, s13
	v_lshrrev_b32_e32 v41, 20, v41
	s_delay_alu instid0(VALU_DEP_2) | instskip(SKIP_2) | instid1(VALU_DEP_2)
	v_cmp_gt_i32_e32 vcc_lo, 16, v36
	v_lshrrev_b32_e32 v48, 24, v48
	v_min_i32_e32 v42, 15, v36
	v_dual_cndmask_b32 v41, 7, v41 :: v_dual_and_b32 v48, 0x80, v48
	s_delay_alu instid0(VALU_DEP_2) | instskip(NEXT) | instid1(VALU_DEP_2)
	v_lshlrev_b32_e32 v42, 3, v42
	v_or_b32_e32 v36, v36, v41
	s_delay_alu instid0(VALU_DEP_1) | instskip(SKIP_1) | instid1(VALU_DEP_1)
	v_cmp_ne_u32_e32 vcc_lo, 0, v36
	v_and_b32_e32 v43, 7, v41
	v_or3_b32 v48, v42, v48, v43
	s_delay_alu instid0(VALU_DEP_1)
	v_cndmask_b32_e32 v36, 0, v48, vcc_lo
.LBB6_456:                              ;   in Loop: Header=BB6_393 Depth=4
	s_or_b32 exec_lo, exec_lo, s34
.LBB6_457:                              ;   in Loop: Header=BB6_393 Depth=4
	s_delay_alu instid0(SALU_CYCLE_1) | instskip(SKIP_3) | instid1(VALU_DEP_1)
	s_or_b32 exec_lo, exec_lo, s31
	v_and_b32_e32 v41, 0xff, v49
	s_mov_b32 s13, 0
	s_mov_b32 s34, exec_lo
                                        ; implicit-def: $sgpr31
	v_cmpx_lt_i16_e32 0x7f, v41
	s_xor_b32 s34, exec_lo, s34
	s_cbranch_execnz .LBB6_1447
; %bb.458:                              ;   in Loop: Header=BB6_393 Depth=4
	s_or_saveexec_b32 s34, s34
	v_mov_b32_e32 v48, s31
	s_xor_b32 exec_lo, exec_lo, s34
	s_cbranch_execnz .LBB6_1450
.LBB6_459:                              ;   in Loop: Header=BB6_393 Depth=4
	s_or_b32 exec_lo, exec_lo, s34
	s_and_saveexec_b32 s31, s13
	s_cbranch_execz .LBB6_461
.LBB6_460:                              ;   in Loop: Header=BB6_393 Depth=4
	v_and_b32_e32 v48, 7, v49
	v_bfe_u32 v43, v49, 3, 4
	v_lshlrev_b32_e32 v44, 24, v49
	s_delay_alu instid0(VALU_DEP_3) | instskip(NEXT) | instid1(VALU_DEP_3)
	v_clz_i32_u32_e32 v41, v48
	v_cmp_eq_u32_e32 vcc_lo, 0, v43
	s_delay_alu instid0(VALU_DEP_2) | instskip(NEXT) | instid1(VALU_DEP_1)
	v_min_u32_e32 v41, 32, v41
	v_subrev_nc_u32_e32 v42, 28, v41
	v_sub_nc_u32_e32 v41, 29, v41
	s_delay_alu instid0(VALU_DEP_2) | instskip(NEXT) | instid1(VALU_DEP_1)
	v_lshlrev_b32_e32 v42, v42, v49
	v_dual_cndmask_b32 v41, v43, v41 :: v_dual_and_b32 v42, 7, v42
	s_delay_alu instid0(VALU_DEP_1) | instskip(NEXT) | instid1(VALU_DEP_2)
	v_lshl_add_u32 v41, v41, 23, 0x3b800000
	v_cndmask_b32_e32 v48, v48, v42, vcc_lo
	v_and_b32_e32 v42, 0x80000000, v44
	s_delay_alu instid0(VALU_DEP_2) | instskip(NEXT) | instid1(VALU_DEP_1)
	v_lshlrev_b32_e32 v48, 20, v48
	v_or3_b32 v48, v42, v41, v48
.LBB6_461:                              ;   in Loop: Header=BB6_393 Depth=4
	s_or_b32 exec_lo, exec_lo, s31
	v_and_b32_e32 v42, 0xff, v37
	s_mov_b32 s13, 0
	s_mov_b32 s34, exec_lo
                                        ; implicit-def: $sgpr31
	s_delay_alu instid0(VALU_DEP_1)
	v_cmpx_lt_i16_e32 0x7f, v42
	s_xor_b32 s34, exec_lo, s34
	s_cbranch_execnz .LBB6_1451
; %bb.462:                              ;   in Loop: Header=BB6_393 Depth=4
	s_or_saveexec_b32 s34, s34
	v_mov_b32_e32 v41, s31
	s_xor_b32 exec_lo, exec_lo, s34
	s_cbranch_execnz .LBB6_1454
.LBB6_463:                              ;   in Loop: Header=BB6_393 Depth=4
	s_or_b32 exec_lo, exec_lo, s34
	s_and_saveexec_b32 s31, s13
	s_cbranch_execz .LBB6_465
.LBB6_464:                              ;   in Loop: Header=BB6_393 Depth=4
	v_bfe_u32 v44, v37, 3, 4
	v_lshlrev_b32_e32 v45, 24, v37
	s_delay_alu instid0(VALU_DEP_2) | instskip(SKIP_1) | instid1(VALU_DEP_1)
	v_cmp_eq_u32_e32 vcc_lo, 0, v44
	v_and_b32_e32 v41, 7, v37
	v_clz_i32_u32_e32 v42, v41
	s_delay_alu instid0(VALU_DEP_1) | instskip(NEXT) | instid1(VALU_DEP_1)
	v_min_u32_e32 v42, 32, v42
	v_subrev_nc_u32_e32 v43, 28, v42
	v_sub_nc_u32_e32 v42, 29, v42
	s_delay_alu instid0(VALU_DEP_1) | instskip(NEXT) | instid1(VALU_DEP_1)
	v_dual_cndmask_b32 v42, v44, v42 :: v_dual_lshlrev_b32 v43, v43, v37
	v_and_b32_e32 v43, 7, v43
	s_delay_alu instid0(VALU_DEP_2) | instskip(NEXT) | instid1(VALU_DEP_2)
	v_lshl_add_u32 v42, v42, 23, 0x3b800000
	v_cndmask_b32_e32 v41, v41, v43, vcc_lo
	v_and_b32_e32 v43, 0x80000000, v45
	s_delay_alu instid0(VALU_DEP_2) | instskip(NEXT) | instid1(VALU_DEP_1)
	v_lshlrev_b32_e32 v41, 20, v41
	v_or3_b32 v41, v43, v42, v41
.LBB6_465:                              ;   in Loop: Header=BB6_393 Depth=4
	s_or_b32 exec_lo, exec_lo, s31
	s_delay_alu instid0(VALU_DEP_1) | instskip(NEXT) | instid1(VALU_DEP_1)
	v_add_f32_e32 v41, v48, v41
	v_and_b32_e32 v48, 0x7f800000, v41
	s_delay_alu instid0(VALU_DEP_1)
	v_cmp_ne_u32_e32 vcc_lo, 0x7f800000, v48
	v_mov_b32_e32 v48, 0x80
	s_and_saveexec_b32 s31, vcc_lo
	s_cbranch_execz .LBB6_473
; %bb.466:                              ;   in Loop: Header=BB6_393 Depth=4
	v_mov_b32_e32 v48, 0
	s_mov_b32 s34, exec_lo
	v_cmpx_ne_u32_e32 0, v41
	s_cbranch_execz .LBB6_472
; %bb.467:                              ;   in Loop: Header=BB6_393 Depth=4
	v_bfe_u32 v48, v41, 23, 8
	s_delay_alu instid0(VALU_DEP_1) | instskip(SKIP_1) | instid1(VALU_DEP_2)
	v_sub_nc_u32_e32 v43, 0x78, v48
	v_cmp_gt_u32_e32 vcc_lo, 0x79, v48
	v_dual_cndmask_b32 v43, 0, v43 :: v_dual_and_b32 v42, 0x7fffff, v41
	s_delay_alu instid0(VALU_DEP_1) | instskip(SKIP_2) | instid1(VALU_DEP_4)
	v_or_b32_e32 v44, 0x800000, v42
	v_cmp_eq_u32_e32 vcc_lo, 0, v48
	v_add_nc_u32_e32 v48, 0xffffff89, v48
	v_cndmask_b32_e64 v43, v43, 0x77, vcc_lo
	s_delay_alu instid0(VALU_DEP_2) | instskip(SKIP_1) | instid1(VALU_DEP_3)
	v_cndmask_b32_e64 v48, v48, 0xffffff8a, vcc_lo
	v_cndmask_b32_e32 v42, v44, v42, vcc_lo
	v_lshl_add_u32 v44, 0x100000, v43, -1
	v_lshlrev_b32_e64 v47, v43, 0x80000
	s_delay_alu instid0(VALU_DEP_3) | instskip(SKIP_1) | instid1(VALU_DEP_4)
	v_lshrrev_b32_e32 v45, v43, v42
	v_add_nc_u32_e32 v43, v43, v48
	v_and_b32_e32 v42, v44, v42
	s_delay_alu instid0(VALU_DEP_3) | instskip(NEXT) | instid1(VALU_DEP_2)
	v_bfe_u32 v46, v45, 20, 1
	v_cmp_eq_u32_e64 s13, v42, v47
	s_delay_alu instid0(VALU_DEP_2) | instskip(NEXT) | instid1(VALU_DEP_1)
	v_add_nc_u32_e32 v44, -1, v46
	v_cndmask_b32_e64 v42, 0, v44, s13
	v_lshrrev_b32_e32 v44, 23, v45
	s_mov_b32 s13, exec_lo
	s_delay_alu instid0(VALU_DEP_2) | instskip(NEXT) | instid1(VALU_DEP_2)
	v_add_nc_u32_e32 v42, v42, v45
	v_xor_b32_e32 v44, 1, v44
	s_delay_alu instid0(VALU_DEP_2) | instskip(NEXT) | instid1(VALU_DEP_1)
	v_and_b32_e32 v48, 0xfffff, v42
	v_add_nc_u32_e32 v42, v48, v45
                                        ; implicit-def: $vgpr48
	s_delay_alu instid0(VALU_DEP_3)
	v_cmpx_ne_u32_e64 v43, v44
	s_xor_b32 s13, exec_lo, s13
; %bb.468:                              ;   in Loop: Header=BB6_393 Depth=4
	s_delay_alu instid0(VALU_DEP_2) | instskip(SKIP_2) | instid1(VALU_DEP_2)
	v_cmp_lt_u32_e32 vcc_lo, 0xffffff, v42
	v_sub_nc_u32_e32 v48, v43, v44
	v_cndmask_b32_e64 v43, 0, 1, vcc_lo
	v_add_co_ci_u32_e32 v48, vcc_lo, 0, v48, vcc_lo
	s_delay_alu instid0(VALU_DEP_2)
	v_lshrrev_b32_e32 v42, v43, v42
; %bb.469:                              ;   in Loop: Header=BB6_393 Depth=4
	s_and_not1_saveexec_b32 s13, s13
; %bb.470:                              ;   in Loop: Header=BB6_393 Depth=4
	s_delay_alu instid0(VALU_DEP_1)
	v_bfe_u32 v48, v42, 23, 1
; %bb.471:                              ;   in Loop: Header=BB6_393 Depth=4
	s_or_b32 exec_lo, exec_lo, s13
	v_lshrrev_b32_e32 v42, 20, v42
	s_delay_alu instid0(VALU_DEP_2) | instskip(SKIP_2) | instid1(VALU_DEP_2)
	v_cmp_gt_i32_e32 vcc_lo, 16, v48
	v_lshrrev_b32_e32 v41, 24, v41
	v_min_i32_e32 v43, 15, v48
	v_dual_cndmask_b32 v42, 7, v42 :: v_dual_and_b32 v41, 0x80, v41
	s_delay_alu instid0(VALU_DEP_1) | instskip(SKIP_1) | instid1(VALU_DEP_2)
	v_or_b32_e32 v48, v48, v42
	v_and_b32_e32 v44, 7, v42
	v_cmp_ne_u32_e32 vcc_lo, 0, v48
	v_lshlrev_b32_e32 v43, 3, v43
	s_delay_alu instid0(VALU_DEP_1) | instskip(NEXT) | instid1(VALU_DEP_1)
	v_or3_b32 v41, v43, v41, v44
	v_cndmask_b32_e32 v48, 0, v41, vcc_lo
.LBB6_472:                              ;   in Loop: Header=BB6_393 Depth=4
	s_or_b32 exec_lo, exec_lo, s34
.LBB6_473:                              ;   in Loop: Header=BB6_393 Depth=4
	s_delay_alu instid0(SALU_CYCLE_1) | instskip(SKIP_3) | instid1(VALU_DEP_1)
	s_or_b32 exec_lo, exec_lo, s31
	v_lshrrev_b16 v42, 8, v49
	s_mov_b32 s13, 0
	s_mov_b32 s34, exec_lo
                                        ; implicit-def: $sgpr31
	v_cmpx_lt_i16_e32 0x7f, v42
	s_xor_b32 s34, exec_lo, s34
	s_cbranch_execnz .LBB6_1455
; %bb.474:                              ;   in Loop: Header=BB6_393 Depth=4
	s_or_saveexec_b32 s34, s34
	v_mov_b32_e32 v41, s31
	s_xor_b32 exec_lo, exec_lo, s34
	s_cbranch_execnz .LBB6_1458
.LBB6_475:                              ;   in Loop: Header=BB6_393 Depth=4
	s_or_b32 exec_lo, exec_lo, s34
	s_and_saveexec_b32 s31, s13
	s_cbranch_execz .LBB6_477
.LBB6_476:                              ;   in Loop: Header=BB6_393 Depth=4
	v_and_b32_e32 v41, 0xffff, v42
	s_delay_alu instid0(VALU_DEP_1) | instskip(NEXT) | instid1(VALU_DEP_1)
	v_and_b32_e32 v43, 7, v41
	v_clz_i32_u32_e32 v44, v43
	s_delay_alu instid0(VALU_DEP_1) | instskip(NEXT) | instid1(VALU_DEP_1)
	v_min_u32_e32 v44, 32, v44
	v_subrev_nc_u32_e32 v45, 28, v44
	v_sub_nc_u32_e32 v44, 29, v44
	s_delay_alu instid0(VALU_DEP_2) | instskip(SKIP_1) | instid1(VALU_DEP_2)
	v_lshlrev_b32_e32 v45, v45, v41
	v_bfe_u32 v41, v41, 3, 4
	v_and_b32_e32 v45, 7, v45
	s_delay_alu instid0(VALU_DEP_2) | instskip(SKIP_1) | instid1(VALU_DEP_1)
	v_cmp_eq_u32_e32 vcc_lo, 0, v41
	v_dual_cndmask_b32 v41, v41, v44 :: v_dual_lshlrev_b32 v42, 24, v42
	v_dual_cndmask_b32 v43, v43, v45 :: v_dual_and_b32 v42, 0x80000000, v42
	s_delay_alu instid0(VALU_DEP_2) | instskip(NEXT) | instid1(VALU_DEP_2)
	v_lshl_add_u32 v41, v41, 23, 0x3b800000
	v_lshlrev_b32_e32 v43, 20, v43
	s_delay_alu instid0(VALU_DEP_1)
	v_or3_b32 v41, v42, v41, v43
.LBB6_477:                              ;   in Loop: Header=BB6_393 Depth=4
	s_or_b32 exec_lo, exec_lo, s31
	v_lshrrev_b16 v42, 8, v37
	s_mov_b32 s13, 0
	s_mov_b32 s34, exec_lo
                                        ; implicit-def: $sgpr31
	s_delay_alu instid0(VALU_DEP_1)
	v_cmpx_lt_i16_e32 0x7f, v42
	s_xor_b32 s34, exec_lo, s34
	s_cbranch_execnz .LBB6_1459
; %bb.478:                              ;   in Loop: Header=BB6_393 Depth=4
	s_or_saveexec_b32 s34, s34
	v_mov_b32_e32 v43, s31
	s_xor_b32 exec_lo, exec_lo, s34
	s_cbranch_execnz .LBB6_1462
.LBB6_479:                              ;   in Loop: Header=BB6_393 Depth=4
	s_or_b32 exec_lo, exec_lo, s34
	s_and_saveexec_b32 s31, s13
	s_cbranch_execz .LBB6_481
.LBB6_480:                              ;   in Loop: Header=BB6_393 Depth=4
	v_and_b32_e32 v43, 0xffff, v42
	v_lshlrev_b32_e32 v42, 24, v42
	s_delay_alu instid0(VALU_DEP_2) | instskip(NEXT) | instid1(VALU_DEP_2)
	v_and_b32_e32 v44, 7, v43
	v_and_b32_e32 v42, 0x80000000, v42
	s_delay_alu instid0(VALU_DEP_2) | instskip(NEXT) | instid1(VALU_DEP_1)
	v_clz_i32_u32_e32 v45, v44
	v_min_u32_e32 v45, 32, v45
	s_delay_alu instid0(VALU_DEP_1) | instskip(SKIP_1) | instid1(VALU_DEP_2)
	v_subrev_nc_u32_e32 v46, 28, v45
	v_sub_nc_u32_e32 v45, 29, v45
	v_lshlrev_b32_e32 v46, v46, v43
	v_bfe_u32 v43, v43, 3, 4
	s_delay_alu instid0(VALU_DEP_2) | instskip(NEXT) | instid1(VALU_DEP_2)
	v_and_b32_e32 v46, 7, v46
	v_cmp_eq_u32_e32 vcc_lo, 0, v43
	s_delay_alu instid0(VALU_DEP_2) | instskip(NEXT) | instid1(VALU_DEP_1)
	v_dual_cndmask_b32 v43, v43, v45 :: v_dual_cndmask_b32 v44, v44, v46
	v_lshl_add_u32 v43, v43, 23, 0x3b800000
	s_delay_alu instid0(VALU_DEP_2) | instskip(NEXT) | instid1(VALU_DEP_1)
	v_lshlrev_b32_e32 v44, 20, v44
	v_or3_b32 v43, v42, v43, v44
.LBB6_481:                              ;   in Loop: Header=BB6_393 Depth=4
	s_or_b32 exec_lo, exec_lo, s31
	s_delay_alu instid0(VALU_DEP_1) | instskip(NEXT) | instid1(VALU_DEP_1)
	v_add_f32_e32 v42, v41, v43
	v_and_b32_e32 v41, 0x7f800000, v42
	s_delay_alu instid0(VALU_DEP_1)
	v_cmp_ne_u32_e32 vcc_lo, 0x7f800000, v41
	v_mov_b32_e32 v41, 0x8000
	s_and_saveexec_b32 s31, vcc_lo
	s_cbranch_execz .LBB6_489
; %bb.482:                              ;   in Loop: Header=BB6_393 Depth=4
	v_mov_b32_e32 v41, 0
	s_mov_b32 s34, exec_lo
	v_cmpx_ne_u32_e32 0, v42
	s_cbranch_execz .LBB6_488
; %bb.483:                              ;   in Loop: Header=BB6_393 Depth=4
	v_bfe_u32 v41, v42, 23, 8
	s_delay_alu instid0(VALU_DEP_1) | instskip(SKIP_1) | instid1(VALU_DEP_2)
	v_sub_nc_u32_e32 v44, 0x78, v41
	v_cmp_gt_u32_e32 vcc_lo, 0x79, v41
	v_dual_cndmask_b32 v44, 0, v44 :: v_dual_and_b32 v43, 0x7fffff, v42
	s_delay_alu instid0(VALU_DEP_1) | instskip(SKIP_2) | instid1(VALU_DEP_4)
	v_or_b32_e32 v45, 0x800000, v43
	v_cmp_eq_u32_e32 vcc_lo, 0, v41
	v_add_nc_u32_e32 v41, 0xffffff89, v41
	v_cndmask_b32_e64 v44, v44, 0x77, vcc_lo
	s_delay_alu instid0(VALU_DEP_2) | instskip(SKIP_1) | instid1(VALU_DEP_3)
	v_cndmask_b32_e64 v41, v41, 0xffffff8a, vcc_lo
	v_cndmask_b32_e32 v43, v45, v43, vcc_lo
	v_lshl_add_u32 v45, 0x100000, v44, -1
	v_lshlrev_b32_e64 v56, v44, 0x80000
	s_delay_alu instid0(VALU_DEP_3) | instskip(SKIP_1) | instid1(VALU_DEP_4)
	v_lshrrev_b32_e32 v46, v44, v43
	v_add_nc_u32_e32 v44, v44, v41
	v_and_b32_e32 v43, v45, v43
	s_delay_alu instid0(VALU_DEP_3) | instskip(NEXT) | instid1(VALU_DEP_2)
	v_bfe_u32 v47, v46, 20, 1
	v_cmp_eq_u32_e64 s13, v43, v56
	s_delay_alu instid0(VALU_DEP_2) | instskip(NEXT) | instid1(VALU_DEP_1)
	v_add_nc_u32_e32 v45, -1, v47
	v_cndmask_b32_e64 v43, 0, v45, s13
	v_lshrrev_b32_e32 v45, 23, v46
	s_mov_b32 s13, exec_lo
	s_delay_alu instid0(VALU_DEP_2) | instskip(NEXT) | instid1(VALU_DEP_2)
	v_add_nc_u32_e32 v43, v43, v46
	v_xor_b32_e32 v45, 1, v45
	s_delay_alu instid0(VALU_DEP_2) | instskip(NEXT) | instid1(VALU_DEP_1)
	v_and_b32_e32 v41, 0xfffff, v43
	v_add_nc_u32_e32 v43, v41, v46
                                        ; implicit-def: $vgpr41
	s_delay_alu instid0(VALU_DEP_3)
	v_cmpx_ne_u32_e64 v44, v45
	s_xor_b32 s13, exec_lo, s13
; %bb.484:                              ;   in Loop: Header=BB6_393 Depth=4
	s_delay_alu instid0(VALU_DEP_2) | instskip(SKIP_2) | instid1(VALU_DEP_2)
	v_cmp_lt_u32_e32 vcc_lo, 0xffffff, v43
	v_sub_nc_u32_e32 v41, v44, v45
	v_cndmask_b32_e64 v44, 0, 1, vcc_lo
	v_add_co_ci_u32_e32 v41, vcc_lo, 0, v41, vcc_lo
	s_delay_alu instid0(VALU_DEP_2)
	v_lshrrev_b32_e32 v43, v44, v43
; %bb.485:                              ;   in Loop: Header=BB6_393 Depth=4
	s_and_not1_saveexec_b32 s13, s13
; %bb.486:                              ;   in Loop: Header=BB6_393 Depth=4
	s_delay_alu instid0(VALU_DEP_1)
	v_bfe_u32 v41, v43, 23, 1
; %bb.487:                              ;   in Loop: Header=BB6_393 Depth=4
	s_or_b32 exec_lo, exec_lo, s13
	v_lshrrev_b32_e32 v43, 20, v43
	s_delay_alu instid0(VALU_DEP_2) | instskip(SKIP_2) | instid1(VALU_DEP_2)
	v_cmp_gt_i32_e32 vcc_lo, 16, v41
	v_min_i32_e32 v44, 15, v41
	v_lshrrev_b32_e32 v42, 24, v42
	v_dual_cndmask_b32 v43, 7, v43 :: v_dual_lshlrev_b32 v44, 3, v44
	s_delay_alu instid0(VALU_DEP_2) | instskip(NEXT) | instid1(VALU_DEP_2)
	v_and_b32_e32 v42, 0x80, v42
	v_or_b32_e32 v41, v41, v43
	v_and_b32_e32 v45, 7, v43
	s_delay_alu instid0(VALU_DEP_2) | instskip(SKIP_1) | instid1(VALU_DEP_1)
	v_cmp_ne_u32_e32 vcc_lo, 0, v41
	v_and_b32_e32 v44, 0xf8, v44
	v_or3_b32 v42, v42, v44, v45
	s_delay_alu instid0(VALU_DEP_1) | instskip(NEXT) | instid1(VALU_DEP_1)
	v_lshlrev_b32_e32 v42, 8, v42
	v_cndmask_b32_e32 v41, 0, v42, vcc_lo
.LBB6_488:                              ;   in Loop: Header=BB6_393 Depth=4
	s_or_b32 exec_lo, exec_lo, s34
.LBB6_489:                              ;   in Loop: Header=BB6_393 Depth=4
	s_delay_alu instid0(SALU_CYCLE_1) | instskip(SKIP_3) | instid1(VALU_DEP_1)
	s_or_b32 exec_lo, exec_lo, s31
	v_lshrrev_b32_e32 v43, 16, v49
	s_mov_b32 s13, 0
	s_mov_b32 s34, exec_lo
                                        ; implicit-def: $sgpr31
	v_and_b32_e32 v44, 0xff, v43
	s_delay_alu instid0(VALU_DEP_1)
	v_cmpx_lt_i16_e32 0x7f, v44
	s_xor_b32 s34, exec_lo, s34
	s_cbranch_execnz .LBB6_1463
; %bb.490:                              ;   in Loop: Header=BB6_393 Depth=4
	s_or_saveexec_b32 s34, s34
	v_mov_b32_e32 v42, s31
	s_xor_b32 exec_lo, exec_lo, s34
	s_cbranch_execnz .LBB6_1466
.LBB6_491:                              ;   in Loop: Header=BB6_393 Depth=4
	s_or_b32 exec_lo, exec_lo, s34
	s_and_saveexec_b32 s31, s13
	s_cbranch_execz .LBB6_493
.LBB6_492:                              ;   in Loop: Header=BB6_393 Depth=4
	v_bfe_u32 v42, v49, 16, 3
	v_lshlrev_b32_e32 v46, 8, v49
	s_delay_alu instid0(VALU_DEP_2) | instskip(NEXT) | instid1(VALU_DEP_1)
	v_clz_i32_u32_e32 v44, v42
	v_min_u32_e32 v44, 32, v44
	s_delay_alu instid0(VALU_DEP_1) | instskip(SKIP_1) | instid1(VALU_DEP_2)
	v_subrev_nc_u32_e32 v45, 28, v44
	v_sub_nc_u32_e32 v44, 29, v44
	v_lshlrev_b32_e32 v43, v45, v43
	v_bfe_u32 v45, v49, 19, 4
	s_delay_alu instid0(VALU_DEP_1) | instskip(NEXT) | instid1(VALU_DEP_3)
	v_cmp_eq_u32_e32 vcc_lo, 0, v45
	v_dual_cndmask_b32 v44, v45, v44 :: v_dual_and_b32 v43, 7, v43
	s_delay_alu instid0(VALU_DEP_1) | instskip(NEXT) | instid1(VALU_DEP_2)
	v_dual_cndmask_b32 v42, v42, v43 :: v_dual_and_b32 v43, 0x80000000, v46
	v_lshl_add_u32 v44, v44, 23, 0x3b800000
	s_delay_alu instid0(VALU_DEP_2) | instskip(NEXT) | instid1(VALU_DEP_1)
	v_lshlrev_b32_e32 v42, 20, v42
	v_or3_b32 v42, v43, v44, v42
.LBB6_493:                              ;   in Loop: Header=BB6_393 Depth=4
	s_or_b32 exec_lo, exec_lo, s31
	v_lshrrev_b32_e32 v43, 16, v37
	s_mov_b32 s13, 0
	s_mov_b32 s34, exec_lo
                                        ; implicit-def: $sgpr31
	s_delay_alu instid0(VALU_DEP_1) | instskip(NEXT) | instid1(VALU_DEP_1)
	v_and_b32_e32 v45, 0xff, v43
	v_cmpx_lt_i16_e32 0x7f, v45
	s_xor_b32 s34, exec_lo, s34
	s_cbranch_execnz .LBB6_1467
; %bb.494:                              ;   in Loop: Header=BB6_393 Depth=4
	s_or_saveexec_b32 s34, s34
	v_mov_b32_e32 v44, s31
	s_xor_b32 exec_lo, exec_lo, s34
	s_cbranch_execnz .LBB6_1470
.LBB6_495:                              ;   in Loop: Header=BB6_393 Depth=4
	s_or_b32 exec_lo, exec_lo, s34
	s_and_saveexec_b32 s31, s13
	s_cbranch_execz .LBB6_497
.LBB6_496:                              ;   in Loop: Header=BB6_393 Depth=4
	v_bfe_u32 v44, v37, 16, 3
	v_lshlrev_b32_e32 v47, 8, v37
	s_delay_alu instid0(VALU_DEP_2) | instskip(NEXT) | instid1(VALU_DEP_1)
	v_clz_i32_u32_e32 v45, v44
	v_min_u32_e32 v45, 32, v45
	s_delay_alu instid0(VALU_DEP_1) | instskip(SKIP_1) | instid1(VALU_DEP_2)
	v_subrev_nc_u32_e32 v46, 28, v45
	v_sub_nc_u32_e32 v45, 29, v45
	v_lshlrev_b32_e32 v43, v46, v43
	v_bfe_u32 v46, v37, 19, 4
	s_delay_alu instid0(VALU_DEP_2) | instskip(NEXT) | instid1(VALU_DEP_2)
	v_and_b32_e32 v43, 7, v43
	v_cmp_eq_u32_e32 vcc_lo, 0, v46
	v_cndmask_b32_e32 v45, v46, v45, vcc_lo
	s_delay_alu instid0(VALU_DEP_3) | instskip(SKIP_1) | instid1(VALU_DEP_3)
	v_cndmask_b32_e32 v43, v44, v43, vcc_lo
	v_and_b32_e32 v44, 0x80000000, v47
	v_lshl_add_u32 v45, v45, 23, 0x3b800000
	s_delay_alu instid0(VALU_DEP_3) | instskip(NEXT) | instid1(VALU_DEP_1)
	v_lshlrev_b32_e32 v43, 20, v43
	v_or3_b32 v44, v44, v45, v43
.LBB6_497:                              ;   in Loop: Header=BB6_393 Depth=4
	s_or_b32 exec_lo, exec_lo, s31
	s_delay_alu instid0(VALU_DEP_1) | instskip(NEXT) | instid1(VALU_DEP_1)
	v_add_f32_e32 v43, v42, v44
	v_and_b32_e32 v42, 0x7f800000, v43
	s_delay_alu instid0(VALU_DEP_1)
	v_cmp_ne_u32_e32 vcc_lo, 0x7f800000, v42
	v_mov_b32_e32 v42, 0x80
	s_and_saveexec_b32 s31, vcc_lo
	s_cbranch_execz .LBB6_505
; %bb.498:                              ;   in Loop: Header=BB6_393 Depth=4
	v_mov_b32_e32 v42, 0
	s_mov_b32 s34, exec_lo
	v_cmpx_ne_u32_e32 0, v43
	s_cbranch_execz .LBB6_504
; %bb.499:                              ;   in Loop: Header=BB6_393 Depth=4
	v_bfe_u32 v42, v43, 23, 8
	s_delay_alu instid0(VALU_DEP_1) | instskip(SKIP_1) | instid1(VALU_DEP_2)
	v_sub_nc_u32_e32 v45, 0x78, v42
	v_cmp_gt_u32_e32 vcc_lo, 0x79, v42
	v_dual_cndmask_b32 v45, 0, v45 :: v_dual_and_b32 v44, 0x7fffff, v43
	s_delay_alu instid0(VALU_DEP_1) | instskip(SKIP_2) | instid1(VALU_DEP_4)
	v_or_b32_e32 v46, 0x800000, v44
	v_cmp_eq_u32_e32 vcc_lo, 0, v42
	v_add_nc_u32_e32 v42, 0xffffff89, v42
	v_cndmask_b32_e64 v45, v45, 0x77, vcc_lo
	s_delay_alu instid0(VALU_DEP_2) | instskip(SKIP_1) | instid1(VALU_DEP_3)
	v_cndmask_b32_e64 v42, v42, 0xffffff8a, vcc_lo
	v_cndmask_b32_e32 v44, v46, v44, vcc_lo
	v_lshl_add_u32 v46, 0x100000, v45, -1
	v_lshlrev_b32_e64 v57, v45, 0x80000
	s_delay_alu instid0(VALU_DEP_3) | instskip(SKIP_1) | instid1(VALU_DEP_4)
	v_lshrrev_b32_e32 v47, v45, v44
	v_add_nc_u32_e32 v45, v45, v42
	v_and_b32_e32 v44, v46, v44
	s_delay_alu instid0(VALU_DEP_3) | instskip(NEXT) | instid1(VALU_DEP_2)
	v_bfe_u32 v56, v47, 20, 1
	v_cmp_eq_u32_e64 s13, v44, v57
	s_delay_alu instid0(VALU_DEP_2) | instskip(NEXT) | instid1(VALU_DEP_1)
	v_add_nc_u32_e32 v46, -1, v56
	v_cndmask_b32_e64 v44, 0, v46, s13
	v_lshrrev_b32_e32 v46, 23, v47
	s_mov_b32 s13, exec_lo
	s_delay_alu instid0(VALU_DEP_2) | instskip(NEXT) | instid1(VALU_DEP_2)
	v_add_nc_u32_e32 v44, v44, v47
	v_xor_b32_e32 v46, 1, v46
	s_delay_alu instid0(VALU_DEP_2) | instskip(NEXT) | instid1(VALU_DEP_1)
	v_and_b32_e32 v42, 0xfffff, v44
	v_add_nc_u32_e32 v44, v42, v47
                                        ; implicit-def: $vgpr42
	s_delay_alu instid0(VALU_DEP_3)
	v_cmpx_ne_u32_e64 v45, v46
	s_xor_b32 s13, exec_lo, s13
; %bb.500:                              ;   in Loop: Header=BB6_393 Depth=4
	s_delay_alu instid0(VALU_DEP_2) | instskip(SKIP_2) | instid1(VALU_DEP_2)
	v_cmp_lt_u32_e32 vcc_lo, 0xffffff, v44
	v_sub_nc_u32_e32 v42, v45, v46
	v_cndmask_b32_e64 v45, 0, 1, vcc_lo
	v_add_co_ci_u32_e32 v42, vcc_lo, 0, v42, vcc_lo
	s_delay_alu instid0(VALU_DEP_2)
	v_lshrrev_b32_e32 v44, v45, v44
; %bb.501:                              ;   in Loop: Header=BB6_393 Depth=4
	s_and_not1_saveexec_b32 s13, s13
; %bb.502:                              ;   in Loop: Header=BB6_393 Depth=4
	s_delay_alu instid0(VALU_DEP_1)
	v_bfe_u32 v42, v44, 23, 1
; %bb.503:                              ;   in Loop: Header=BB6_393 Depth=4
	s_or_b32 exec_lo, exec_lo, s13
	v_lshrrev_b32_e32 v44, 20, v44
	s_delay_alu instid0(VALU_DEP_2) | instskip(SKIP_2) | instid1(VALU_DEP_2)
	v_cmp_gt_i32_e32 vcc_lo, 16, v42
	v_min_i32_e32 v45, 15, v42
	v_lshrrev_b32_e32 v43, 24, v43
	v_dual_cndmask_b32 v44, 7, v44 :: v_dual_lshlrev_b32 v45, 3, v45
	s_delay_alu instid0(VALU_DEP_2) | instskip(NEXT) | instid1(VALU_DEP_2)
	v_and_b32_e32 v43, 0x80, v43
	v_or_b32_e32 v42, v42, v44
	v_and_b32_e32 v46, 7, v44
	s_delay_alu instid0(VALU_DEP_2) | instskip(SKIP_1) | instid1(VALU_DEP_1)
	v_cmp_ne_u32_e32 vcc_lo, 0, v42
	v_and_b32_e32 v45, 0xf8, v45
	v_or3_b32 v43, v45, v43, v46
	s_delay_alu instid0(VALU_DEP_1)
	v_cndmask_b32_e32 v42, 0, v43, vcc_lo
.LBB6_504:                              ;   in Loop: Header=BB6_393 Depth=4
	s_or_b32 exec_lo, exec_lo, s34
.LBB6_505:                              ;   in Loop: Header=BB6_393 Depth=4
	s_delay_alu instid0(SALU_CYCLE_1) | instskip(SKIP_3) | instid1(VALU_DEP_1)
	s_or_b32 exec_lo, exec_lo, s31
	v_lshrrev_b32_e32 v44, 24, v49
	s_mov_b32 s13, 0
	s_mov_b32 s34, exec_lo
                                        ; implicit-def: $sgpr31
	v_cmpx_lt_i16_e32 0x7f, v44
	s_xor_b32 s34, exec_lo, s34
	s_cbranch_execnz .LBB6_1471
; %bb.506:                              ;   in Loop: Header=BB6_393 Depth=4
	s_or_saveexec_b32 s34, s34
	v_mov_b32_e32 v43, s31
	s_xor_b32 exec_lo, exec_lo, s34
	s_cbranch_execnz .LBB6_1474
.LBB6_507:                              ;   in Loop: Header=BB6_393 Depth=4
	s_or_b32 exec_lo, exec_lo, s34
	s_and_saveexec_b32 s31, s13
	s_cbranch_execz .LBB6_509
.LBB6_508:                              ;   in Loop: Header=BB6_393 Depth=4
	v_bfe_u32 v43, v49, 24, 3
	s_delay_alu instid0(VALU_DEP_1) | instskip(NEXT) | instid1(VALU_DEP_1)
	v_clz_i32_u32_e32 v45, v43
	v_min_u32_e32 v45, 32, v45
	s_delay_alu instid0(VALU_DEP_1) | instskip(SKIP_1) | instid1(VALU_DEP_2)
	v_subrev_nc_u32_e32 v46, 28, v45
	v_sub_nc_u32_e32 v45, 29, v45
	v_lshlrev_b32_e32 v44, v46, v44
	v_bfe_u32 v46, v49, 27, 4
	v_and_b32_e32 v49, 0x80000000, v49
	s_delay_alu instid0(VALU_DEP_2) | instskip(NEXT) | instid1(VALU_DEP_4)
	v_cmp_eq_u32_e32 vcc_lo, 0, v46
	v_dual_cndmask_b32 v45, v46, v45 :: v_dual_and_b32 v44, 7, v44
	s_delay_alu instid0(VALU_DEP_1) | instskip(NEXT) | instid1(VALU_DEP_2)
	v_cndmask_b32_e32 v43, v43, v44, vcc_lo
	v_lshl_add_u32 v44, v45, 23, 0x3b800000
	s_delay_alu instid0(VALU_DEP_2) | instskip(NEXT) | instid1(VALU_DEP_1)
	v_lshlrev_b32_e32 v43, 20, v43
	v_or3_b32 v43, v49, v44, v43
.LBB6_509:                              ;   in Loop: Header=BB6_393 Depth=4
	s_or_b32 exec_lo, exec_lo, s31
	v_lshrrev_b32_e32 v49, 24, v37
	s_mov_b32 s13, 0
	s_mov_b32 s34, exec_lo
                                        ; implicit-def: $sgpr31
	s_delay_alu instid0(VALU_DEP_1)
	v_cmpx_lt_i16_e32 0x7f, v49
	s_xor_b32 s34, exec_lo, s34
	s_cbranch_execnz .LBB6_1475
; %bb.510:                              ;   in Loop: Header=BB6_393 Depth=4
	s_or_saveexec_b32 s34, s34
	v_mov_b32_e32 v44, s31
	s_xor_b32 exec_lo, exec_lo, s34
	s_cbranch_execnz .LBB6_1478
.LBB6_511:                              ;   in Loop: Header=BB6_393 Depth=4
	s_or_b32 exec_lo, exec_lo, s34
	s_and_saveexec_b32 s31, s13
	s_cbranch_execz .LBB6_513
.LBB6_512:                              ;   in Loop: Header=BB6_393 Depth=4
	v_bfe_u32 v44, v37, 24, 3
	s_delay_alu instid0(VALU_DEP_1) | instskip(NEXT) | instid1(VALU_DEP_1)
	v_clz_i32_u32_e32 v45, v44
	v_min_u32_e32 v45, 32, v45
	s_delay_alu instid0(VALU_DEP_1) | instskip(SKIP_1) | instid1(VALU_DEP_2)
	v_subrev_nc_u32_e32 v46, 28, v45
	v_sub_nc_u32_e32 v45, 29, v45
	v_lshlrev_b32_e32 v49, v46, v49
	v_bfe_u32 v46, v37, 27, 4
	v_and_b32_e32 v37, 0x80000000, v37
	s_delay_alu instid0(VALU_DEP_3) | instskip(NEXT) | instid1(VALU_DEP_3)
	v_and_b32_e32 v49, 7, v49
	v_cmp_eq_u32_e32 vcc_lo, 0, v46
	v_cndmask_b32_e32 v45, v46, v45, vcc_lo
	s_delay_alu instid0(VALU_DEP_3) | instskip(NEXT) | instid1(VALU_DEP_2)
	v_cndmask_b32_e32 v49, v44, v49, vcc_lo
	v_lshl_add_u32 v44, v45, 23, 0x3b800000
	s_delay_alu instid0(VALU_DEP_2) | instskip(NEXT) | instid1(VALU_DEP_1)
	v_lshlrev_b32_e32 v49, 20, v49
	v_or3_b32 v44, v37, v44, v49
.LBB6_513:                              ;   in Loop: Header=BB6_393 Depth=4
	s_or_b32 exec_lo, exec_lo, s31
	s_delay_alu instid0(VALU_DEP_1) | instskip(NEXT) | instid1(VALU_DEP_1)
	v_add_f32_e32 v49, v43, v44
	v_and_b32_e32 v37, 0x7f800000, v49
	s_delay_alu instid0(VALU_DEP_1)
	v_cmp_ne_u32_e32 vcc_lo, 0x7f800000, v37
	v_mov_b32_e32 v37, 0x8000
	s_and_saveexec_b32 s31, vcc_lo
	s_cbranch_execz .LBB6_521
; %bb.514:                              ;   in Loop: Header=BB6_393 Depth=4
	v_mov_b32_e32 v37, 0
	s_mov_b32 s34, exec_lo
	v_cmpx_ne_u32_e32 0, v49
	s_cbranch_execz .LBB6_520
; %bb.515:                              ;   in Loop: Header=BB6_393 Depth=4
	v_bfe_u32 v37, v49, 23, 8
	s_delay_alu instid0(VALU_DEP_1) | instskip(SKIP_1) | instid1(VALU_DEP_2)
	v_sub_nc_u32_e32 v44, 0x78, v37
	v_cmp_gt_u32_e32 vcc_lo, 0x79, v37
	v_dual_cndmask_b32 v44, 0, v44 :: v_dual_and_b32 v43, 0x7fffff, v49
	s_delay_alu instid0(VALU_DEP_1) | instskip(SKIP_2) | instid1(VALU_DEP_4)
	v_or_b32_e32 v45, 0x800000, v43
	v_cmp_eq_u32_e32 vcc_lo, 0, v37
	v_add_nc_u32_e32 v37, 0xffffff89, v37
	v_cndmask_b32_e64 v44, v44, 0x77, vcc_lo
	s_delay_alu instid0(VALU_DEP_2) | instskip(SKIP_1) | instid1(VALU_DEP_3)
	v_cndmask_b32_e64 v37, v37, 0xffffff8a, vcc_lo
	v_cndmask_b32_e32 v43, v45, v43, vcc_lo
	v_lshl_add_u32 v45, 0x100000, v44, -1
	v_lshlrev_b32_e64 v56, v44, 0x80000
	s_delay_alu instid0(VALU_DEP_3) | instskip(SKIP_1) | instid1(VALU_DEP_4)
	v_lshrrev_b32_e32 v46, v44, v43
	v_add_nc_u32_e32 v44, v44, v37
	v_and_b32_e32 v43, v45, v43
	s_delay_alu instid0(VALU_DEP_3) | instskip(NEXT) | instid1(VALU_DEP_2)
	v_bfe_u32 v47, v46, 20, 1
	v_cmp_eq_u32_e64 s13, v43, v56
	s_delay_alu instid0(VALU_DEP_2) | instskip(NEXT) | instid1(VALU_DEP_1)
	v_add_nc_u32_e32 v45, -1, v47
	v_cndmask_b32_e64 v43, 0, v45, s13
	v_lshrrev_b32_e32 v45, 23, v46
	s_mov_b32 s13, exec_lo
	s_delay_alu instid0(VALU_DEP_2) | instskip(NEXT) | instid1(VALU_DEP_2)
	v_add_nc_u32_e32 v43, v43, v46
	v_xor_b32_e32 v45, 1, v45
	s_delay_alu instid0(VALU_DEP_2) | instskip(NEXT) | instid1(VALU_DEP_1)
	v_and_b32_e32 v37, 0xfffff, v43
	v_add_nc_u32_e32 v43, v37, v46
                                        ; implicit-def: $vgpr37
	s_delay_alu instid0(VALU_DEP_3)
	v_cmpx_ne_u32_e64 v44, v45
	s_xor_b32 s13, exec_lo, s13
; %bb.516:                              ;   in Loop: Header=BB6_393 Depth=4
	s_delay_alu instid0(VALU_DEP_2) | instskip(SKIP_2) | instid1(VALU_DEP_2)
	v_cmp_lt_u32_e32 vcc_lo, 0xffffff, v43
	v_sub_nc_u32_e32 v37, v44, v45
	v_cndmask_b32_e64 v44, 0, 1, vcc_lo
	v_add_co_ci_u32_e32 v37, vcc_lo, 0, v37, vcc_lo
	s_delay_alu instid0(VALU_DEP_2)
	v_lshrrev_b32_e32 v43, v44, v43
; %bb.517:                              ;   in Loop: Header=BB6_393 Depth=4
	s_and_not1_saveexec_b32 s13, s13
; %bb.518:                              ;   in Loop: Header=BB6_393 Depth=4
	s_delay_alu instid0(VALU_DEP_1)
	v_bfe_u32 v37, v43, 23, 1
; %bb.519:                              ;   in Loop: Header=BB6_393 Depth=4
	s_or_b32 exec_lo, exec_lo, s13
	v_lshrrev_b32_e32 v43, 20, v43
	s_delay_alu instid0(VALU_DEP_2) | instskip(SKIP_2) | instid1(VALU_DEP_2)
	v_cmp_gt_i32_e32 vcc_lo, 16, v37
	v_min_i32_e32 v44, 15, v37
	v_lshrrev_b32_e32 v49, 24, v49
	v_dual_cndmask_b32 v43, 7, v43 :: v_dual_lshlrev_b32 v44, 3, v44
	s_delay_alu instid0(VALU_DEP_2) | instskip(NEXT) | instid1(VALU_DEP_2)
	v_and_b32_e32 v49, 0x80, v49
	v_or_b32_e32 v37, v37, v43
	v_and_b32_e32 v45, 7, v43
	s_delay_alu instid0(VALU_DEP_2) | instskip(SKIP_1) | instid1(VALU_DEP_1)
	v_cmp_ne_u32_e32 vcc_lo, 0, v37
	v_and_b32_e32 v44, 0xf8, v44
	v_or3_b32 v49, v49, v44, v45
	s_delay_alu instid0(VALU_DEP_1) | instskip(NEXT) | instid1(VALU_DEP_1)
	v_lshlrev_b32_e32 v49, 8, v49
	v_cndmask_b32_e32 v37, 0, v49, vcc_lo
.LBB6_520:                              ;   in Loop: Header=BB6_393 Depth=4
	s_or_b32 exec_lo, exec_lo, s34
.LBB6_521:                              ;   in Loop: Header=BB6_393 Depth=4
	s_delay_alu instid0(SALU_CYCLE_1) | instskip(SKIP_3) | instid1(VALU_DEP_1)
	s_or_b32 exec_lo, exec_lo, s31
	v_and_b32_e32 v43, 0xff, v50
	s_mov_b32 s13, 0
	s_mov_b32 s34, exec_lo
                                        ; implicit-def: $sgpr31
	v_cmpx_lt_i16_e32 0x7f, v43
	s_xor_b32 s34, exec_lo, s34
	s_cbranch_execnz .LBB6_1479
; %bb.522:                              ;   in Loop: Header=BB6_393 Depth=4
	s_or_saveexec_b32 s34, s34
	v_mov_b32_e32 v49, s31
	s_xor_b32 exec_lo, exec_lo, s34
	s_cbranch_execnz .LBB6_1482
.LBB6_523:                              ;   in Loop: Header=BB6_393 Depth=4
	s_or_b32 exec_lo, exec_lo, s34
	s_and_saveexec_b32 s31, s13
	s_cbranch_execz .LBB6_525
.LBB6_524:                              ;   in Loop: Header=BB6_393 Depth=4
	v_and_b32_e32 v49, 7, v50
	v_bfe_u32 v45, v50, 3, 4
	s_delay_alu instid0(VALU_DEP_2) | instskip(NEXT) | instid1(VALU_DEP_2)
	v_clz_i32_u32_e32 v43, v49
	v_cmp_eq_u32_e32 vcc_lo, 0, v45
	s_delay_alu instid0(VALU_DEP_2) | instskip(NEXT) | instid1(VALU_DEP_1)
	v_min_u32_e32 v43, 32, v43
	v_subrev_nc_u32_e32 v44, 28, v43
	v_sub_nc_u32_e32 v43, 29, v43
	s_delay_alu instid0(VALU_DEP_1) | instskip(NEXT) | instid1(VALU_DEP_1)
	v_dual_cndmask_b32 v43, v45, v43 :: v_dual_lshlrev_b32 v44, v44, v50
	v_and_b32_e32 v44, 7, v44
	v_lshlrev_b32_e32 v46, 24, v50
	s_delay_alu instid0(VALU_DEP_3) | instskip(NEXT) | instid1(VALU_DEP_2)
	v_lshl_add_u32 v43, v43, 23, 0x3b800000
	v_dual_cndmask_b32 v49, v49, v44 :: v_dual_and_b32 v44, 0x80000000, v46
	s_delay_alu instid0(VALU_DEP_1) | instskip(NEXT) | instid1(VALU_DEP_1)
	v_lshlrev_b32_e32 v49, 20, v49
	v_or3_b32 v49, v44, v43, v49
.LBB6_525:                              ;   in Loop: Header=BB6_393 Depth=4
	s_or_b32 exec_lo, exec_lo, s31
	v_and_b32_e32 v44, 0xff, v38
	s_mov_b32 s13, 0
	s_mov_b32 s34, exec_lo
                                        ; implicit-def: $sgpr31
	s_delay_alu instid0(VALU_DEP_1)
	v_cmpx_lt_i16_e32 0x7f, v44
	s_xor_b32 s34, exec_lo, s34
	s_cbranch_execnz .LBB6_1483
; %bb.526:                              ;   in Loop: Header=BB6_393 Depth=4
	s_or_saveexec_b32 s34, s34
	v_mov_b32_e32 v43, s31
	s_xor_b32 exec_lo, exec_lo, s34
	s_cbranch_execnz .LBB6_1486
.LBB6_527:                              ;   in Loop: Header=BB6_393 Depth=4
	s_or_b32 exec_lo, exec_lo, s34
	s_and_saveexec_b32 s31, s13
	s_cbranch_execz .LBB6_529
.LBB6_528:                              ;   in Loop: Header=BB6_393 Depth=4
	v_bfe_u32 v46, v38, 3, 4
	v_lshlrev_b32_e32 v47, 24, v38
	s_delay_alu instid0(VALU_DEP_2) | instskip(SKIP_1) | instid1(VALU_DEP_1)
	v_cmp_eq_u32_e32 vcc_lo, 0, v46
	v_and_b32_e32 v43, 7, v38
	v_clz_i32_u32_e32 v44, v43
	s_delay_alu instid0(VALU_DEP_1) | instskip(NEXT) | instid1(VALU_DEP_1)
	v_min_u32_e32 v44, 32, v44
	v_subrev_nc_u32_e32 v45, 28, v44
	v_sub_nc_u32_e32 v44, 29, v44
	s_delay_alu instid0(VALU_DEP_1) | instskip(NEXT) | instid1(VALU_DEP_1)
	v_dual_cndmask_b32 v44, v46, v44 :: v_dual_lshlrev_b32 v45, v45, v38
	v_and_b32_e32 v45, 7, v45
	s_delay_alu instid0(VALU_DEP_2) | instskip(NEXT) | instid1(VALU_DEP_2)
	v_lshl_add_u32 v44, v44, 23, 0x3b800000
	v_cndmask_b32_e32 v43, v43, v45, vcc_lo
	v_and_b32_e32 v45, 0x80000000, v47
	s_delay_alu instid0(VALU_DEP_2) | instskip(NEXT) | instid1(VALU_DEP_1)
	v_lshlrev_b32_e32 v43, 20, v43
	v_or3_b32 v43, v45, v44, v43
.LBB6_529:                              ;   in Loop: Header=BB6_393 Depth=4
	s_or_b32 exec_lo, exec_lo, s31
	s_delay_alu instid0(VALU_DEP_1) | instskip(NEXT) | instid1(VALU_DEP_1)
	v_add_f32_e32 v43, v49, v43
	v_and_b32_e32 v49, 0x7f800000, v43
	s_delay_alu instid0(VALU_DEP_1)
	v_cmp_ne_u32_e32 vcc_lo, 0x7f800000, v49
	v_mov_b32_e32 v49, 0x80
	s_and_saveexec_b32 s31, vcc_lo
	s_cbranch_execz .LBB6_537
; %bb.530:                              ;   in Loop: Header=BB6_393 Depth=4
	v_mov_b32_e32 v49, 0
	s_mov_b32 s34, exec_lo
	v_cmpx_ne_u32_e32 0, v43
	s_cbranch_execz .LBB6_536
; %bb.531:                              ;   in Loop: Header=BB6_393 Depth=4
	v_bfe_u32 v49, v43, 23, 8
	s_delay_alu instid0(VALU_DEP_1) | instskip(SKIP_1) | instid1(VALU_DEP_2)
	v_sub_nc_u32_e32 v45, 0x78, v49
	v_cmp_gt_u32_e32 vcc_lo, 0x79, v49
	v_dual_cndmask_b32 v45, 0, v45 :: v_dual_and_b32 v44, 0x7fffff, v43
	s_delay_alu instid0(VALU_DEP_1) | instskip(SKIP_2) | instid1(VALU_DEP_4)
	v_or_b32_e32 v46, 0x800000, v44
	v_cmp_eq_u32_e32 vcc_lo, 0, v49
	v_add_nc_u32_e32 v49, 0xffffff89, v49
	v_cndmask_b32_e64 v45, v45, 0x77, vcc_lo
	s_delay_alu instid0(VALU_DEP_4) | instskip(NEXT) | instid1(VALU_DEP_3)
	v_cndmask_b32_e32 v44, v46, v44, vcc_lo
	v_cndmask_b32_e64 v49, v49, 0xffffff8a, vcc_lo
	s_delay_alu instid0(VALU_DEP_3) | instskip(NEXT) | instid1(VALU_DEP_3)
	v_lshl_add_u32 v46, 0x100000, v45, -1
	v_lshrrev_b32_e32 v47, v45, v44
	v_lshlrev_b32_e64 v57, v45, 0x80000
	s_delay_alu instid0(VALU_DEP_4) | instskip(NEXT) | instid1(VALU_DEP_4)
	v_add_nc_u32_e32 v45, v45, v49
	v_and_b32_e32 v44, v46, v44
	s_delay_alu instid0(VALU_DEP_4) | instskip(NEXT) | instid1(VALU_DEP_2)
	v_bfe_u32 v56, v47, 20, 1
	v_cmp_eq_u32_e64 s13, v44, v57
	s_delay_alu instid0(VALU_DEP_2) | instskip(NEXT) | instid1(VALU_DEP_1)
	v_add_nc_u32_e32 v46, -1, v56
	v_cndmask_b32_e64 v44, 0, v46, s13
	v_lshrrev_b32_e32 v46, 23, v47
	s_mov_b32 s13, exec_lo
	s_delay_alu instid0(VALU_DEP_2) | instskip(NEXT) | instid1(VALU_DEP_2)
	v_add_nc_u32_e32 v44, v44, v47
	v_xor_b32_e32 v46, 1, v46
	s_delay_alu instid0(VALU_DEP_2) | instskip(NEXT) | instid1(VALU_DEP_1)
	v_and_b32_e32 v49, 0xfffff, v44
	v_add_nc_u32_e32 v44, v49, v47
                                        ; implicit-def: $vgpr49
	s_delay_alu instid0(VALU_DEP_3)
	v_cmpx_ne_u32_e64 v45, v46
	s_xor_b32 s13, exec_lo, s13
; %bb.532:                              ;   in Loop: Header=BB6_393 Depth=4
	s_delay_alu instid0(VALU_DEP_2) | instskip(SKIP_2) | instid1(VALU_DEP_2)
	v_cmp_lt_u32_e32 vcc_lo, 0xffffff, v44
	v_sub_nc_u32_e32 v49, v45, v46
	v_cndmask_b32_e64 v45, 0, 1, vcc_lo
	v_add_co_ci_u32_e32 v49, vcc_lo, 0, v49, vcc_lo
	s_delay_alu instid0(VALU_DEP_2)
	v_lshrrev_b32_e32 v44, v45, v44
; %bb.533:                              ;   in Loop: Header=BB6_393 Depth=4
	s_and_not1_saveexec_b32 s13, s13
; %bb.534:                              ;   in Loop: Header=BB6_393 Depth=4
	s_delay_alu instid0(VALU_DEP_1)
	v_bfe_u32 v49, v44, 23, 1
; %bb.535:                              ;   in Loop: Header=BB6_393 Depth=4
	s_or_b32 exec_lo, exec_lo, s13
	v_lshrrev_b32_e32 v44, 20, v44
	s_delay_alu instid0(VALU_DEP_2) | instskip(SKIP_2) | instid1(VALU_DEP_2)
	v_cmp_gt_i32_e32 vcc_lo, 16, v49
	v_lshrrev_b32_e32 v43, 24, v43
	v_min_i32_e32 v45, 15, v49
	v_dual_cndmask_b32 v44, 7, v44 :: v_dual_and_b32 v43, 0x80, v43
	s_delay_alu instid0(VALU_DEP_2) | instskip(NEXT) | instid1(VALU_DEP_2)
	v_lshlrev_b32_e32 v45, 3, v45
	v_or_b32_e32 v49, v49, v44
	s_delay_alu instid0(VALU_DEP_1) | instskip(SKIP_1) | instid1(VALU_DEP_1)
	v_cmp_ne_u32_e32 vcc_lo, 0, v49
	v_and_b32_e32 v46, 7, v44
	v_or3_b32 v43, v45, v43, v46
	s_delay_alu instid0(VALU_DEP_1)
	v_cndmask_b32_e32 v49, 0, v43, vcc_lo
.LBB6_536:                              ;   in Loop: Header=BB6_393 Depth=4
	s_or_b32 exec_lo, exec_lo, s34
.LBB6_537:                              ;   in Loop: Header=BB6_393 Depth=4
	s_delay_alu instid0(SALU_CYCLE_1) | instskip(SKIP_3) | instid1(VALU_DEP_1)
	s_or_b32 exec_lo, exec_lo, s31
	v_lshrrev_b16 v44, 8, v50
	s_mov_b32 s13, 0
	s_mov_b32 s34, exec_lo
                                        ; implicit-def: $sgpr31
	v_cmpx_lt_i16_e32 0x7f, v44
	s_xor_b32 s34, exec_lo, s34
	s_cbranch_execnz .LBB6_1487
; %bb.538:                              ;   in Loop: Header=BB6_393 Depth=4
	s_or_saveexec_b32 s34, s34
	v_mov_b32_e32 v43, s31
	s_xor_b32 exec_lo, exec_lo, s34
	s_cbranch_execnz .LBB6_1490
.LBB6_539:                              ;   in Loop: Header=BB6_393 Depth=4
	s_or_b32 exec_lo, exec_lo, s34
	s_and_saveexec_b32 s31, s13
	s_cbranch_execz .LBB6_541
.LBB6_540:                              ;   in Loop: Header=BB6_393 Depth=4
	v_and_b32_e32 v43, 0xffff, v44
	s_delay_alu instid0(VALU_DEP_1) | instskip(NEXT) | instid1(VALU_DEP_1)
	v_and_b32_e32 v45, 7, v43
	v_clz_i32_u32_e32 v46, v45
	s_delay_alu instid0(VALU_DEP_1) | instskip(NEXT) | instid1(VALU_DEP_1)
	v_min_u32_e32 v46, 32, v46
	v_subrev_nc_u32_e32 v47, 28, v46
	v_sub_nc_u32_e32 v46, 29, v46
	s_delay_alu instid0(VALU_DEP_2) | instskip(SKIP_1) | instid1(VALU_DEP_2)
	v_lshlrev_b32_e32 v47, v47, v43
	v_bfe_u32 v43, v43, 3, 4
	v_and_b32_e32 v47, 7, v47
	s_delay_alu instid0(VALU_DEP_2) | instskip(SKIP_1) | instid1(VALU_DEP_1)
	v_cmp_eq_u32_e32 vcc_lo, 0, v43
	v_dual_cndmask_b32 v43, v43, v46 :: v_dual_lshlrev_b32 v44, 24, v44
	v_dual_cndmask_b32 v45, v45, v47 :: v_dual_and_b32 v44, 0x80000000, v44
	s_delay_alu instid0(VALU_DEP_2) | instskip(NEXT) | instid1(VALU_DEP_2)
	v_lshl_add_u32 v43, v43, 23, 0x3b800000
	v_lshlrev_b32_e32 v45, 20, v45
	s_delay_alu instid0(VALU_DEP_1)
	v_or3_b32 v43, v44, v43, v45
.LBB6_541:                              ;   in Loop: Header=BB6_393 Depth=4
	s_or_b32 exec_lo, exec_lo, s31
	v_lshrrev_b16 v44, 8, v38
	s_mov_b32 s13, 0
	s_mov_b32 s34, exec_lo
                                        ; implicit-def: $sgpr31
	s_delay_alu instid0(VALU_DEP_1)
	v_cmpx_lt_i16_e32 0x7f, v44
	s_xor_b32 s34, exec_lo, s34
	s_cbranch_execnz .LBB6_1491
; %bb.542:                              ;   in Loop: Header=BB6_393 Depth=4
	s_or_saveexec_b32 s34, s34
	v_mov_b32_e32 v45, s31
	s_xor_b32 exec_lo, exec_lo, s34
	s_cbranch_execnz .LBB6_1494
.LBB6_543:                              ;   in Loop: Header=BB6_393 Depth=4
	s_or_b32 exec_lo, exec_lo, s34
	s_and_saveexec_b32 s31, s13
	s_cbranch_execz .LBB6_545
.LBB6_544:                              ;   in Loop: Header=BB6_393 Depth=4
	v_and_b32_e32 v45, 0xffff, v44
	v_lshlrev_b32_e32 v44, 24, v44
	s_delay_alu instid0(VALU_DEP_2) | instskip(NEXT) | instid1(VALU_DEP_2)
	v_and_b32_e32 v46, 7, v45
	v_and_b32_e32 v44, 0x80000000, v44
	s_delay_alu instid0(VALU_DEP_2) | instskip(NEXT) | instid1(VALU_DEP_1)
	v_clz_i32_u32_e32 v47, v46
	v_min_u32_e32 v47, 32, v47
	s_delay_alu instid0(VALU_DEP_1) | instskip(SKIP_1) | instid1(VALU_DEP_2)
	v_subrev_nc_u32_e32 v56, 28, v47
	v_sub_nc_u32_e32 v47, 29, v47
	v_lshlrev_b32_e32 v56, v56, v45
	v_bfe_u32 v45, v45, 3, 4
	s_delay_alu instid0(VALU_DEP_2) | instskip(NEXT) | instid1(VALU_DEP_2)
	v_and_b32_e32 v56, 7, v56
	v_cmp_eq_u32_e32 vcc_lo, 0, v45
	s_delay_alu instid0(VALU_DEP_2) | instskip(NEXT) | instid1(VALU_DEP_1)
	v_dual_cndmask_b32 v45, v45, v47 :: v_dual_cndmask_b32 v46, v46, v56
	v_lshl_add_u32 v45, v45, 23, 0x3b800000
	s_delay_alu instid0(VALU_DEP_2) | instskip(NEXT) | instid1(VALU_DEP_1)
	v_lshlrev_b32_e32 v46, 20, v46
	v_or3_b32 v45, v44, v45, v46
.LBB6_545:                              ;   in Loop: Header=BB6_393 Depth=4
	s_or_b32 exec_lo, exec_lo, s31
	s_delay_alu instid0(VALU_DEP_1) | instskip(NEXT) | instid1(VALU_DEP_1)
	v_add_f32_e32 v44, v43, v45
	v_and_b32_e32 v43, 0x7f800000, v44
	s_delay_alu instid0(VALU_DEP_1)
	v_cmp_ne_u32_e32 vcc_lo, 0x7f800000, v43
	v_mov_b32_e32 v43, 0x80
	s_and_saveexec_b32 s31, vcc_lo
	s_cbranch_execz .LBB6_553
; %bb.546:                              ;   in Loop: Header=BB6_393 Depth=4
	v_mov_b32_e32 v43, 0
	s_mov_b32 s34, exec_lo
	v_cmpx_ne_u32_e32 0, v44
	s_cbranch_execz .LBB6_552
; %bb.547:                              ;   in Loop: Header=BB6_393 Depth=4
	v_bfe_u32 v43, v44, 23, 8
	s_delay_alu instid0(VALU_DEP_1) | instskip(SKIP_1) | instid1(VALU_DEP_2)
	v_sub_nc_u32_e32 v46, 0x78, v43
	v_cmp_gt_u32_e32 vcc_lo, 0x79, v43
	v_dual_cndmask_b32 v46, 0, v46 :: v_dual_and_b32 v45, 0x7fffff, v44
	s_delay_alu instid0(VALU_DEP_1) | instskip(SKIP_2) | instid1(VALU_DEP_4)
	v_or_b32_e32 v47, 0x800000, v45
	v_cmp_eq_u32_e32 vcc_lo, 0, v43
	v_add_nc_u32_e32 v43, 0xffffff89, v43
	v_cndmask_b32_e64 v46, v46, 0x77, vcc_lo
	s_delay_alu instid0(VALU_DEP_2) | instskip(SKIP_1) | instid1(VALU_DEP_3)
	v_cndmask_b32_e64 v43, v43, 0xffffff8a, vcc_lo
	v_cndmask_b32_e32 v45, v47, v45, vcc_lo
	v_lshl_add_u32 v47, 0x100000, v46, -1
	v_lshlrev_b32_e64 v58, v46, 0x80000
	s_delay_alu instid0(VALU_DEP_3) | instskip(SKIP_1) | instid1(VALU_DEP_4)
	v_lshrrev_b32_e32 v56, v46, v45
	v_add_nc_u32_e32 v46, v46, v43
	v_and_b32_e32 v45, v47, v45
	s_delay_alu instid0(VALU_DEP_3) | instskip(NEXT) | instid1(VALU_DEP_2)
	v_bfe_u32 v57, v56, 20, 1
	v_cmp_eq_u32_e64 s13, v45, v58
	s_delay_alu instid0(VALU_DEP_2) | instskip(NEXT) | instid1(VALU_DEP_1)
	v_add_nc_u32_e32 v47, -1, v57
	v_cndmask_b32_e64 v45, 0, v47, s13
	v_lshrrev_b32_e32 v47, 23, v56
	s_mov_b32 s13, exec_lo
	s_delay_alu instid0(VALU_DEP_2) | instskip(NEXT) | instid1(VALU_DEP_2)
	v_add_nc_u32_e32 v45, v45, v56
	v_xor_b32_e32 v47, 1, v47
	s_delay_alu instid0(VALU_DEP_2) | instskip(NEXT) | instid1(VALU_DEP_1)
	v_and_b32_e32 v43, 0xfffff, v45
	v_add_nc_u32_e32 v45, v43, v56
                                        ; implicit-def: $vgpr43
	s_delay_alu instid0(VALU_DEP_3)
	v_cmpx_ne_u32_e64 v46, v47
	s_xor_b32 s13, exec_lo, s13
; %bb.548:                              ;   in Loop: Header=BB6_393 Depth=4
	s_delay_alu instid0(VALU_DEP_2) | instskip(SKIP_2) | instid1(VALU_DEP_2)
	v_cmp_lt_u32_e32 vcc_lo, 0xffffff, v45
	v_sub_nc_u32_e32 v43, v46, v47
	v_cndmask_b32_e64 v46, 0, 1, vcc_lo
	v_add_co_ci_u32_e32 v43, vcc_lo, 0, v43, vcc_lo
	s_delay_alu instid0(VALU_DEP_2)
	v_lshrrev_b32_e32 v45, v46, v45
; %bb.549:                              ;   in Loop: Header=BB6_393 Depth=4
	s_and_not1_saveexec_b32 s13, s13
; %bb.550:                              ;   in Loop: Header=BB6_393 Depth=4
	s_delay_alu instid0(VALU_DEP_1)
	v_bfe_u32 v43, v45, 23, 1
; %bb.551:                              ;   in Loop: Header=BB6_393 Depth=4
	s_or_b32 exec_lo, exec_lo, s13
	v_lshrrev_b32_e32 v45, 20, v45
	s_delay_alu instid0(VALU_DEP_2) | instskip(SKIP_2) | instid1(VALU_DEP_2)
	v_cmp_gt_i32_e32 vcc_lo, 16, v43
	v_lshrrev_b32_e32 v44, 24, v44
	v_min_i32_e32 v46, 15, v43
	v_dual_cndmask_b32 v45, 7, v45 :: v_dual_and_b32 v44, 0x80, v44
	s_delay_alu instid0(VALU_DEP_1) | instskip(SKIP_1) | instid1(VALU_DEP_2)
	v_or_b32_e32 v43, v43, v45
	v_and_b32_e32 v47, 7, v45
	v_cmp_ne_u32_e32 vcc_lo, 0, v43
	v_lshlrev_b32_e32 v46, 3, v46
	s_delay_alu instid0(VALU_DEP_1) | instskip(NEXT) | instid1(VALU_DEP_1)
	v_or3_b32 v44, v46, v44, v47
	v_cndmask_b32_e32 v43, 0, v44, vcc_lo
.LBB6_552:                              ;   in Loop: Header=BB6_393 Depth=4
	s_or_b32 exec_lo, exec_lo, s34
.LBB6_553:                              ;   in Loop: Header=BB6_393 Depth=4
	s_delay_alu instid0(SALU_CYCLE_1) | instskip(SKIP_3) | instid1(VALU_DEP_1)
	s_or_b32 exec_lo, exec_lo, s31
	v_lshrrev_b32_e32 v45, 16, v50
	s_mov_b32 s13, 0
	s_mov_b32 s34, exec_lo
                                        ; implicit-def: $sgpr31
	v_and_b32_e32 v46, 0xff, v45
	s_delay_alu instid0(VALU_DEP_1)
	v_cmpx_lt_i16_e32 0x7f, v46
	s_xor_b32 s34, exec_lo, s34
	s_cbranch_execnz .LBB6_1495
; %bb.554:                              ;   in Loop: Header=BB6_393 Depth=4
	s_or_saveexec_b32 s34, s34
	v_mov_b32_e32 v44, s31
	s_xor_b32 exec_lo, exec_lo, s34
	s_cbranch_execnz .LBB6_1498
.LBB6_555:                              ;   in Loop: Header=BB6_393 Depth=4
	s_or_b32 exec_lo, exec_lo, s34
	s_and_saveexec_b32 s31, s13
	s_cbranch_execz .LBB6_557
.LBB6_556:                              ;   in Loop: Header=BB6_393 Depth=4
	v_bfe_u32 v44, v50, 16, 3
	v_lshlrev_b32_e32 v56, 8, v50
	s_delay_alu instid0(VALU_DEP_2) | instskip(NEXT) | instid1(VALU_DEP_1)
	v_clz_i32_u32_e32 v46, v44
	v_min_u32_e32 v46, 32, v46
	s_delay_alu instid0(VALU_DEP_1) | instskip(SKIP_1) | instid1(VALU_DEP_2)
	v_subrev_nc_u32_e32 v47, 28, v46
	v_sub_nc_u32_e32 v46, 29, v46
	v_lshlrev_b32_e32 v45, v47, v45
	v_bfe_u32 v47, v50, 19, 4
	s_delay_alu instid0(VALU_DEP_1) | instskip(NEXT) | instid1(VALU_DEP_3)
	v_cmp_eq_u32_e32 vcc_lo, 0, v47
	v_dual_cndmask_b32 v46, v47, v46 :: v_dual_and_b32 v45, 7, v45
	s_delay_alu instid0(VALU_DEP_1) | instskip(NEXT) | instid1(VALU_DEP_2)
	v_dual_cndmask_b32 v44, v44, v45 :: v_dual_and_b32 v45, 0x80000000, v56
	v_lshl_add_u32 v46, v46, 23, 0x3b800000
	s_delay_alu instid0(VALU_DEP_2) | instskip(NEXT) | instid1(VALU_DEP_1)
	v_lshlrev_b32_e32 v44, 20, v44
	v_or3_b32 v44, v45, v46, v44
.LBB6_557:                              ;   in Loop: Header=BB6_393 Depth=4
	s_or_b32 exec_lo, exec_lo, s31
	v_lshrrev_b32_e32 v45, 16, v38
	s_mov_b32 s13, 0
	s_mov_b32 s34, exec_lo
                                        ; implicit-def: $sgpr31
	s_delay_alu instid0(VALU_DEP_1) | instskip(NEXT) | instid1(VALU_DEP_1)
	v_and_b32_e32 v47, 0xff, v45
	v_cmpx_lt_i16_e32 0x7f, v47
	s_xor_b32 s34, exec_lo, s34
	s_cbranch_execnz .LBB6_1499
; %bb.558:                              ;   in Loop: Header=BB6_393 Depth=4
	s_or_saveexec_b32 s34, s34
	v_mov_b32_e32 v46, s31
	s_xor_b32 exec_lo, exec_lo, s34
	s_cbranch_execnz .LBB6_1502
.LBB6_559:                              ;   in Loop: Header=BB6_393 Depth=4
	s_or_b32 exec_lo, exec_lo, s34
	s_and_saveexec_b32 s31, s13
	s_cbranch_execz .LBB6_561
.LBB6_560:                              ;   in Loop: Header=BB6_393 Depth=4
	v_bfe_u32 v46, v38, 16, 3
	v_lshlrev_b32_e32 v57, 8, v38
	s_delay_alu instid0(VALU_DEP_2) | instskip(NEXT) | instid1(VALU_DEP_1)
	v_clz_i32_u32_e32 v47, v46
	v_min_u32_e32 v47, 32, v47
	s_delay_alu instid0(VALU_DEP_1) | instskip(SKIP_1) | instid1(VALU_DEP_2)
	v_subrev_nc_u32_e32 v56, 28, v47
	v_sub_nc_u32_e32 v47, 29, v47
	v_lshlrev_b32_e32 v45, v56, v45
	v_bfe_u32 v56, v38, 19, 4
	s_delay_alu instid0(VALU_DEP_2) | instskip(NEXT) | instid1(VALU_DEP_2)
	v_and_b32_e32 v45, 7, v45
	v_cmp_eq_u32_e32 vcc_lo, 0, v56
	v_cndmask_b32_e32 v47, v56, v47, vcc_lo
	s_delay_alu instid0(VALU_DEP_3) | instskip(SKIP_1) | instid1(VALU_DEP_3)
	v_cndmask_b32_e32 v45, v46, v45, vcc_lo
	v_and_b32_e32 v46, 0x80000000, v57
	v_lshl_add_u32 v47, v47, 23, 0x3b800000
	s_delay_alu instid0(VALU_DEP_3) | instskip(NEXT) | instid1(VALU_DEP_1)
	v_lshlrev_b32_e32 v45, 20, v45
	v_or3_b32 v46, v46, v47, v45
.LBB6_561:                              ;   in Loop: Header=BB6_393 Depth=4
	s_or_b32 exec_lo, exec_lo, s31
	s_delay_alu instid0(VALU_DEP_1) | instskip(NEXT) | instid1(VALU_DEP_1)
	v_add_f32_e32 v45, v44, v46
	v_and_b32_e32 v44, 0x7f800000, v45
	s_delay_alu instid0(VALU_DEP_1)
	v_cmp_ne_u32_e32 vcc_lo, 0x7f800000, v44
	v_mov_b32_e32 v44, 0x80
	s_and_saveexec_b32 s31, vcc_lo
	s_cbranch_execz .LBB6_569
; %bb.562:                              ;   in Loop: Header=BB6_393 Depth=4
	v_mov_b32_e32 v44, 0
	s_mov_b32 s34, exec_lo
	v_cmpx_ne_u32_e32 0, v45
	s_cbranch_execz .LBB6_568
; %bb.563:                              ;   in Loop: Header=BB6_393 Depth=4
	v_bfe_u32 v44, v45, 23, 8
	s_delay_alu instid0(VALU_DEP_1) | instskip(SKIP_1) | instid1(VALU_DEP_2)
	v_sub_nc_u32_e32 v47, 0x78, v44
	v_cmp_gt_u32_e32 vcc_lo, 0x79, v44
	v_dual_cndmask_b32 v47, 0, v47 :: v_dual_and_b32 v46, 0x7fffff, v45
	s_delay_alu instid0(VALU_DEP_1) | instskip(SKIP_2) | instid1(VALU_DEP_4)
	v_or_b32_e32 v56, 0x800000, v46
	v_cmp_eq_u32_e32 vcc_lo, 0, v44
	v_add_nc_u32_e32 v44, 0xffffff89, v44
	v_cndmask_b32_e64 v47, v47, 0x77, vcc_lo
	s_delay_alu instid0(VALU_DEP_2) | instskip(SKIP_1) | instid1(VALU_DEP_3)
	v_cndmask_b32_e64 v44, v44, 0xffffff8a, vcc_lo
	v_cndmask_b32_e32 v46, v56, v46, vcc_lo
	v_lshl_add_u32 v56, 0x100000, v47, -1
	v_lshlrev_b32_e64 v59, v47, 0x80000
	s_delay_alu instid0(VALU_DEP_3) | instskip(SKIP_1) | instid1(VALU_DEP_4)
	v_lshrrev_b32_e32 v57, v47, v46
	v_add_nc_u32_e32 v47, v47, v44
	v_and_b32_e32 v46, v56, v46
	s_delay_alu instid0(VALU_DEP_3) | instskip(NEXT) | instid1(VALU_DEP_2)
	v_bfe_u32 v58, v57, 20, 1
	v_cmp_eq_u32_e64 s13, v46, v59
	s_delay_alu instid0(VALU_DEP_2) | instskip(NEXT) | instid1(VALU_DEP_1)
	v_add_nc_u32_e32 v56, -1, v58
	v_cndmask_b32_e64 v46, 0, v56, s13
	v_lshrrev_b32_e32 v56, 23, v57
	s_mov_b32 s13, exec_lo
	s_delay_alu instid0(VALU_DEP_2) | instskip(NEXT) | instid1(VALU_DEP_2)
	v_add_nc_u32_e32 v46, v46, v57
	v_xor_b32_e32 v56, 1, v56
	s_delay_alu instid0(VALU_DEP_2) | instskip(NEXT) | instid1(VALU_DEP_1)
	v_and_b32_e32 v44, 0xfffff, v46
	v_add_nc_u32_e32 v46, v44, v57
                                        ; implicit-def: $vgpr44
	s_delay_alu instid0(VALU_DEP_3)
	v_cmpx_ne_u32_e64 v47, v56
	s_xor_b32 s13, exec_lo, s13
; %bb.564:                              ;   in Loop: Header=BB6_393 Depth=4
	s_delay_alu instid0(VALU_DEP_2) | instskip(SKIP_2) | instid1(VALU_DEP_2)
	v_cmp_lt_u32_e32 vcc_lo, 0xffffff, v46
	v_sub_nc_u32_e32 v44, v47, v56
	v_cndmask_b32_e64 v47, 0, 1, vcc_lo
	v_add_co_ci_u32_e32 v44, vcc_lo, 0, v44, vcc_lo
	s_delay_alu instid0(VALU_DEP_2)
	v_lshrrev_b32_e32 v46, v47, v46
; %bb.565:                              ;   in Loop: Header=BB6_393 Depth=4
	s_and_not1_saveexec_b32 s13, s13
; %bb.566:                              ;   in Loop: Header=BB6_393 Depth=4
	s_delay_alu instid0(VALU_DEP_1)
	v_bfe_u32 v44, v46, 23, 1
; %bb.567:                              ;   in Loop: Header=BB6_393 Depth=4
	s_or_b32 exec_lo, exec_lo, s13
	v_lshrrev_b32_e32 v46, 20, v46
	s_delay_alu instid0(VALU_DEP_2) | instskip(SKIP_2) | instid1(VALU_DEP_2)
	v_cmp_gt_i32_e32 vcc_lo, 16, v44
	v_lshrrev_b32_e32 v45, 24, v45
	v_min_i32_e32 v47, 15, v44
	v_dual_cndmask_b32 v46, 7, v46 :: v_dual_and_b32 v45, 0x80, v45
	s_delay_alu instid0(VALU_DEP_1) | instskip(SKIP_1) | instid1(VALU_DEP_2)
	v_or_b32_e32 v44, v44, v46
	v_and_b32_e32 v56, 7, v46
	v_cmp_ne_u32_e32 vcc_lo, 0, v44
	v_lshlrev_b32_e32 v47, 3, v47
	s_delay_alu instid0(VALU_DEP_1) | instskip(NEXT) | instid1(VALU_DEP_1)
	v_or3_b32 v45, v47, v45, v56
	v_cndmask_b32_e32 v44, 0, v45, vcc_lo
.LBB6_568:                              ;   in Loop: Header=BB6_393 Depth=4
	s_or_b32 exec_lo, exec_lo, s34
.LBB6_569:                              ;   in Loop: Header=BB6_393 Depth=4
	s_delay_alu instid0(SALU_CYCLE_1) | instskip(SKIP_3) | instid1(VALU_DEP_1)
	s_or_b32 exec_lo, exec_lo, s31
	v_lshrrev_b32_e32 v46, 24, v50
	s_mov_b32 s13, 0
	s_mov_b32 s34, exec_lo
                                        ; implicit-def: $sgpr31
	v_cmpx_lt_i16_e32 0x7f, v46
	s_xor_b32 s34, exec_lo, s34
	s_cbranch_execnz .LBB6_1503
; %bb.570:                              ;   in Loop: Header=BB6_393 Depth=4
	s_or_saveexec_b32 s34, s34
	v_mov_b32_e32 v45, s31
	s_xor_b32 exec_lo, exec_lo, s34
	s_cbranch_execnz .LBB6_1506
.LBB6_571:                              ;   in Loop: Header=BB6_393 Depth=4
	s_or_b32 exec_lo, exec_lo, s34
	s_and_saveexec_b32 s31, s13
	s_cbranch_execz .LBB6_573
.LBB6_572:                              ;   in Loop: Header=BB6_393 Depth=4
	v_bfe_u32 v45, v50, 24, 3
	s_delay_alu instid0(VALU_DEP_1) | instskip(NEXT) | instid1(VALU_DEP_1)
	v_clz_i32_u32_e32 v47, v45
	v_min_u32_e32 v47, 32, v47
	s_delay_alu instid0(VALU_DEP_1) | instskip(SKIP_1) | instid1(VALU_DEP_2)
	v_subrev_nc_u32_e32 v56, 28, v47
	v_sub_nc_u32_e32 v47, 29, v47
	v_lshlrev_b32_e32 v46, v56, v46
	v_bfe_u32 v56, v50, 27, 4
	v_and_b32_e32 v50, 0x80000000, v50
	s_delay_alu instid0(VALU_DEP_2) | instskip(NEXT) | instid1(VALU_DEP_4)
	v_cmp_eq_u32_e32 vcc_lo, 0, v56
	v_dual_cndmask_b32 v47, v56, v47 :: v_dual_and_b32 v46, 7, v46
	s_delay_alu instid0(VALU_DEP_1) | instskip(NEXT) | instid1(VALU_DEP_2)
	v_cndmask_b32_e32 v45, v45, v46, vcc_lo
	v_lshl_add_u32 v46, v47, 23, 0x3b800000
	s_delay_alu instid0(VALU_DEP_2) | instskip(NEXT) | instid1(VALU_DEP_1)
	v_lshlrev_b32_e32 v45, 20, v45
	v_or3_b32 v45, v50, v46, v45
.LBB6_573:                              ;   in Loop: Header=BB6_393 Depth=4
	s_or_b32 exec_lo, exec_lo, s31
	v_lshrrev_b32_e32 v50, 24, v38
	s_mov_b32 s13, 0
	s_mov_b32 s34, exec_lo
                                        ; implicit-def: $sgpr31
	s_delay_alu instid0(VALU_DEP_1)
	v_cmpx_lt_i16_e32 0x7f, v50
	s_xor_b32 s34, exec_lo, s34
	s_cbranch_execnz .LBB6_1507
; %bb.574:                              ;   in Loop: Header=BB6_393 Depth=4
	s_or_saveexec_b32 s34, s34
	v_mov_b32_e32 v46, s31
	s_xor_b32 exec_lo, exec_lo, s34
	s_cbranch_execnz .LBB6_1510
.LBB6_575:                              ;   in Loop: Header=BB6_393 Depth=4
	s_or_b32 exec_lo, exec_lo, s34
	s_and_saveexec_b32 s31, s13
	s_cbranch_execz .LBB6_577
.LBB6_576:                              ;   in Loop: Header=BB6_393 Depth=4
	v_bfe_u32 v46, v38, 24, 3
	s_delay_alu instid0(VALU_DEP_1) | instskip(NEXT) | instid1(VALU_DEP_1)
	v_clz_i32_u32_e32 v47, v46
	v_min_u32_e32 v47, 32, v47
	s_delay_alu instid0(VALU_DEP_1) | instskip(SKIP_1) | instid1(VALU_DEP_2)
	v_subrev_nc_u32_e32 v56, 28, v47
	v_sub_nc_u32_e32 v47, 29, v47
	v_lshlrev_b32_e32 v50, v56, v50
	v_bfe_u32 v56, v38, 27, 4
	v_and_b32_e32 v38, 0x80000000, v38
	s_delay_alu instid0(VALU_DEP_2) | instskip(NEXT) | instid1(VALU_DEP_4)
	v_cmp_eq_u32_e32 vcc_lo, 0, v56
	v_dual_cndmask_b32 v47, v56, v47 :: v_dual_and_b32 v50, 7, v50
	s_delay_alu instid0(VALU_DEP_1) | instskip(NEXT) | instid1(VALU_DEP_2)
	v_cndmask_b32_e32 v50, v46, v50, vcc_lo
	v_lshl_add_u32 v46, v47, 23, 0x3b800000
	s_delay_alu instid0(VALU_DEP_2) | instskip(NEXT) | instid1(VALU_DEP_1)
	v_lshlrev_b32_e32 v50, 20, v50
	v_or3_b32 v46, v38, v46, v50
.LBB6_577:                              ;   in Loop: Header=BB6_393 Depth=4
	s_or_b32 exec_lo, exec_lo, s31
	s_delay_alu instid0(VALU_DEP_1) | instskip(NEXT) | instid1(VALU_DEP_1)
	v_add_f32_e32 v50, v45, v46
	v_and_b32_e32 v38, 0x7f800000, v50
	s_delay_alu instid0(VALU_DEP_1)
	v_cmp_ne_u32_e32 vcc_lo, 0x7f800000, v38
	v_mov_b32_e32 v38, 0x80
	s_and_saveexec_b32 s31, vcc_lo
	s_cbranch_execz .LBB6_585
; %bb.578:                              ;   in Loop: Header=BB6_393 Depth=4
	v_mov_b32_e32 v38, 0
	s_mov_b32 s34, exec_lo
	v_cmpx_ne_u32_e32 0, v50
	s_cbranch_execz .LBB6_584
; %bb.579:                              ;   in Loop: Header=BB6_393 Depth=4
	v_bfe_u32 v38, v50, 23, 8
	v_and_b32_e32 v45, 0x7fffff, v50
	s_delay_alu instid0(VALU_DEP_2) | instskip(SKIP_1) | instid1(VALU_DEP_3)
	v_sub_nc_u32_e32 v46, 0x78, v38
	v_cmp_gt_u32_e32 vcc_lo, 0x79, v38
	v_or_b32_e32 v47, 0x800000, v45
	s_delay_alu instid0(VALU_DEP_3) | instskip(SKIP_1) | instid1(VALU_DEP_3)
	v_cndmask_b32_e32 v46, 0, v46, vcc_lo
	v_cmp_eq_u32_e32 vcc_lo, 0, v38
	v_dual_cndmask_b32 v45, v47, v45 :: v_dual_add_nc_u32 v38, 0xffffff89, v38
	s_delay_alu instid0(VALU_DEP_3) | instskip(NEXT) | instid1(VALU_DEP_2)
	v_cndmask_b32_e64 v46, v46, 0x77, vcc_lo
	v_cndmask_b32_e64 v38, v38, 0xffffff8a, vcc_lo
	s_delay_alu instid0(VALU_DEP_2) | instskip(SKIP_2) | instid1(VALU_DEP_4)
	v_lshrrev_b32_e32 v56, v46, v45
	v_lshl_add_u32 v47, 0x100000, v46, -1
	v_lshlrev_b32_e64 v58, v46, 0x80000
	v_add_nc_u32_e32 v46, v46, v38
	s_delay_alu instid0(VALU_DEP_4) | instskip(NEXT) | instid1(VALU_DEP_4)
	v_bfe_u32 v57, v56, 20, 1
	v_and_b32_e32 v45, v47, v45
	s_delay_alu instid0(VALU_DEP_2) | instskip(NEXT) | instid1(VALU_DEP_2)
	v_add_nc_u32_e32 v47, -1, v57
	v_cmp_eq_u32_e64 s13, v45, v58
	s_delay_alu instid0(VALU_DEP_1) | instskip(SKIP_2) | instid1(VALU_DEP_2)
	v_cndmask_b32_e64 v45, 0, v47, s13
	v_lshrrev_b32_e32 v47, 23, v56
	s_mov_b32 s13, exec_lo
	v_add_nc_u32_e32 v45, v45, v56
	s_delay_alu instid0(VALU_DEP_2) | instskip(NEXT) | instid1(VALU_DEP_2)
	v_xor_b32_e32 v47, 1, v47
	v_and_b32_e32 v38, 0xfffff, v45
	s_delay_alu instid0(VALU_DEP_1) | instskip(NEXT) | instid1(VALU_DEP_3)
	v_add_nc_u32_e32 v45, v38, v56
                                        ; implicit-def: $vgpr38
	v_cmpx_ne_u32_e64 v46, v47
	s_xor_b32 s13, exec_lo, s13
; %bb.580:                              ;   in Loop: Header=BB6_393 Depth=4
	s_delay_alu instid0(VALU_DEP_2) | instskip(SKIP_2) | instid1(VALU_DEP_2)
	v_cmp_lt_u32_e32 vcc_lo, 0xffffff, v45
	v_sub_nc_u32_e32 v38, v46, v47
	v_cndmask_b32_e64 v46, 0, 1, vcc_lo
	v_add_co_ci_u32_e32 v38, vcc_lo, 0, v38, vcc_lo
	s_delay_alu instid0(VALU_DEP_2)
	v_lshrrev_b32_e32 v45, v46, v45
; %bb.581:                              ;   in Loop: Header=BB6_393 Depth=4
	s_and_not1_saveexec_b32 s13, s13
; %bb.582:                              ;   in Loop: Header=BB6_393 Depth=4
	s_delay_alu instid0(VALU_DEP_1)
	v_bfe_u32 v38, v45, 23, 1
; %bb.583:                              ;   in Loop: Header=BB6_393 Depth=4
	s_or_b32 exec_lo, exec_lo, s13
	v_lshrrev_b32_e32 v45, 20, v45
	s_delay_alu instid0(VALU_DEP_2) | instskip(SKIP_2) | instid1(VALU_DEP_2)
	v_cmp_gt_i32_e32 vcc_lo, 16, v38
	v_lshrrev_b32_e32 v50, 24, v50
	v_min_i32_e32 v46, 15, v38
	v_dual_cndmask_b32 v45, 7, v45 :: v_dual_and_b32 v50, 0x80, v50
	s_delay_alu instid0(VALU_DEP_2) | instskip(NEXT) | instid1(VALU_DEP_2)
	v_lshlrev_b32_e32 v46, 3, v46
	v_or_b32_e32 v38, v38, v45
	s_delay_alu instid0(VALU_DEP_1) | instskip(SKIP_1) | instid1(VALU_DEP_1)
	v_cmp_ne_u32_e32 vcc_lo, 0, v38
	v_and_b32_e32 v47, 7, v45
	v_or3_b32 v50, v46, v50, v47
	s_delay_alu instid0(VALU_DEP_1)
	v_cndmask_b32_e32 v38, 0, v50, vcc_lo
.LBB6_584:                              ;   in Loop: Header=BB6_393 Depth=4
	s_or_b32 exec_lo, exec_lo, s34
.LBB6_585:                              ;   in Loop: Header=BB6_393 Depth=4
	s_delay_alu instid0(SALU_CYCLE_1) | instskip(SKIP_3) | instid1(VALU_DEP_1)
	s_or_b32 exec_lo, exec_lo, s31
	v_and_b32_e32 v45, 0xff, v51
	s_mov_b32 s13, 0
	s_mov_b32 s34, exec_lo
                                        ; implicit-def: $sgpr31
	v_cmpx_lt_i16_e32 0x7f, v45
	s_xor_b32 s34, exec_lo, s34
	s_cbranch_execnz .LBB6_1511
; %bb.586:                              ;   in Loop: Header=BB6_393 Depth=4
	s_or_saveexec_b32 s34, s34
	v_mov_b32_e32 v50, s31
	s_xor_b32 exec_lo, exec_lo, s34
	s_cbranch_execnz .LBB6_1514
.LBB6_587:                              ;   in Loop: Header=BB6_393 Depth=4
	s_or_b32 exec_lo, exec_lo, s34
	s_and_saveexec_b32 s31, s13
	s_cbranch_execz .LBB6_589
.LBB6_588:                              ;   in Loop: Header=BB6_393 Depth=4
	v_bfe_u32 v47, v51, 3, 4
	v_lshlrev_b32_e32 v56, 24, v51
	s_delay_alu instid0(VALU_DEP_2) | instskip(SKIP_1) | instid1(VALU_DEP_1)
	v_cmp_eq_u32_e32 vcc_lo, 0, v47
	v_and_b32_e32 v50, 7, v51
	v_clz_i32_u32_e32 v45, v50
	s_delay_alu instid0(VALU_DEP_1) | instskip(NEXT) | instid1(VALU_DEP_1)
	v_min_u32_e32 v45, 32, v45
	v_subrev_nc_u32_e32 v46, 28, v45
	v_sub_nc_u32_e32 v45, 29, v45
	s_delay_alu instid0(VALU_DEP_1) | instskip(NEXT) | instid1(VALU_DEP_1)
	v_dual_cndmask_b32 v45, v47, v45 :: v_dual_lshlrev_b32 v46, v46, v51
	v_and_b32_e32 v46, 7, v46
	s_delay_alu instid0(VALU_DEP_2) | instskip(NEXT) | instid1(VALU_DEP_2)
	v_lshl_add_u32 v45, v45, 23, 0x3b800000
	v_cndmask_b32_e32 v50, v50, v46, vcc_lo
	v_and_b32_e32 v46, 0x80000000, v56
	s_delay_alu instid0(VALU_DEP_2) | instskip(NEXT) | instid1(VALU_DEP_1)
	v_lshlrev_b32_e32 v50, 20, v50
	v_or3_b32 v50, v46, v45, v50
.LBB6_589:                              ;   in Loop: Header=BB6_393 Depth=4
	s_or_b32 exec_lo, exec_lo, s31
	v_and_b32_e32 v46, 0xff, v39
	s_mov_b32 s13, 0
	s_mov_b32 s34, exec_lo
                                        ; implicit-def: $sgpr31
	s_delay_alu instid0(VALU_DEP_1)
	v_cmpx_lt_i16_e32 0x7f, v46
	s_xor_b32 s34, exec_lo, s34
	s_cbranch_execnz .LBB6_1515
; %bb.590:                              ;   in Loop: Header=BB6_393 Depth=4
	s_or_saveexec_b32 s34, s34
	v_mov_b32_e32 v45, s31
	s_xor_b32 exec_lo, exec_lo, s34
	s_cbranch_execnz .LBB6_1518
.LBB6_591:                              ;   in Loop: Header=BB6_393 Depth=4
	s_or_b32 exec_lo, exec_lo, s34
	s_and_saveexec_b32 s31, s13
	s_cbranch_execz .LBB6_593
.LBB6_592:                              ;   in Loop: Header=BB6_393 Depth=4
	v_bfe_u32 v56, v39, 3, 4
	v_lshlrev_b32_e32 v57, 24, v39
	s_delay_alu instid0(VALU_DEP_2) | instskip(SKIP_1) | instid1(VALU_DEP_1)
	v_cmp_eq_u32_e32 vcc_lo, 0, v56
	v_and_b32_e32 v45, 7, v39
	v_clz_i32_u32_e32 v46, v45
	s_delay_alu instid0(VALU_DEP_1) | instskip(NEXT) | instid1(VALU_DEP_1)
	v_min_u32_e32 v46, 32, v46
	v_subrev_nc_u32_e32 v47, 28, v46
	v_sub_nc_u32_e32 v46, 29, v46
	s_delay_alu instid0(VALU_DEP_1) | instskip(NEXT) | instid1(VALU_DEP_1)
	v_dual_cndmask_b32 v46, v56, v46 :: v_dual_lshlrev_b32 v47, v47, v39
	v_and_b32_e32 v47, 7, v47
	s_delay_alu instid0(VALU_DEP_2) | instskip(NEXT) | instid1(VALU_DEP_2)
	v_lshl_add_u32 v46, v46, 23, 0x3b800000
	v_cndmask_b32_e32 v45, v45, v47, vcc_lo
	v_and_b32_e32 v47, 0x80000000, v57
	s_delay_alu instid0(VALU_DEP_2) | instskip(NEXT) | instid1(VALU_DEP_1)
	v_lshlrev_b32_e32 v45, 20, v45
	v_or3_b32 v45, v47, v46, v45
.LBB6_593:                              ;   in Loop: Header=BB6_393 Depth=4
	s_or_b32 exec_lo, exec_lo, s31
	s_delay_alu instid0(VALU_DEP_1) | instskip(NEXT) | instid1(VALU_DEP_1)
	v_add_f32_e32 v45, v50, v45
	v_and_b32_e32 v50, 0x7f800000, v45
	s_delay_alu instid0(VALU_DEP_1)
	v_cmp_ne_u32_e32 vcc_lo, 0x7f800000, v50
	v_mov_b32_e32 v50, 0x80
	s_and_saveexec_b32 s31, vcc_lo
	s_cbranch_execz .LBB6_601
; %bb.594:                              ;   in Loop: Header=BB6_393 Depth=4
	v_mov_b32_e32 v50, 0
	s_mov_b32 s34, exec_lo
	v_cmpx_ne_u32_e32 0, v45
	s_cbranch_execz .LBB6_600
; %bb.595:                              ;   in Loop: Header=BB6_393 Depth=4
	v_bfe_u32 v50, v45, 23, 8
	s_delay_alu instid0(VALU_DEP_1) | instskip(SKIP_1) | instid1(VALU_DEP_2)
	v_sub_nc_u32_e32 v47, 0x78, v50
	v_cmp_gt_u32_e32 vcc_lo, 0x79, v50
	v_dual_cndmask_b32 v47, 0, v47 :: v_dual_and_b32 v46, 0x7fffff, v45
	s_delay_alu instid0(VALU_DEP_1) | instskip(SKIP_2) | instid1(VALU_DEP_4)
	v_or_b32_e32 v56, 0x800000, v46
	v_cmp_eq_u32_e32 vcc_lo, 0, v50
	v_add_nc_u32_e32 v50, 0xffffff89, v50
	v_cndmask_b32_e64 v47, v47, 0x77, vcc_lo
	s_delay_alu instid0(VALU_DEP_4) | instskip(NEXT) | instid1(VALU_DEP_3)
	v_cndmask_b32_e32 v46, v56, v46, vcc_lo
	v_cndmask_b32_e64 v50, v50, 0xffffff8a, vcc_lo
	s_delay_alu instid0(VALU_DEP_3) | instskip(NEXT) | instid1(VALU_DEP_3)
	v_lshl_add_u32 v56, 0x100000, v47, -1
	v_lshrrev_b32_e32 v57, v47, v46
	v_lshlrev_b32_e64 v59, v47, 0x80000
	s_delay_alu instid0(VALU_DEP_4) | instskip(NEXT) | instid1(VALU_DEP_4)
	v_add_nc_u32_e32 v47, v47, v50
	v_and_b32_e32 v46, v56, v46
	s_delay_alu instid0(VALU_DEP_4) | instskip(NEXT) | instid1(VALU_DEP_2)
	v_bfe_u32 v58, v57, 20, 1
	v_cmp_eq_u32_e64 s13, v46, v59
	s_delay_alu instid0(VALU_DEP_2) | instskip(NEXT) | instid1(VALU_DEP_1)
	v_add_nc_u32_e32 v56, -1, v58
	v_cndmask_b32_e64 v46, 0, v56, s13
	v_lshrrev_b32_e32 v56, 23, v57
	s_mov_b32 s13, exec_lo
	s_delay_alu instid0(VALU_DEP_2) | instskip(NEXT) | instid1(VALU_DEP_2)
	v_add_nc_u32_e32 v46, v46, v57
	v_xor_b32_e32 v56, 1, v56
	s_delay_alu instid0(VALU_DEP_2) | instskip(NEXT) | instid1(VALU_DEP_1)
	v_and_b32_e32 v50, 0xfffff, v46
	v_add_nc_u32_e32 v46, v50, v57
                                        ; implicit-def: $vgpr50
	s_delay_alu instid0(VALU_DEP_3)
	v_cmpx_ne_u32_e64 v47, v56
	s_xor_b32 s13, exec_lo, s13
; %bb.596:                              ;   in Loop: Header=BB6_393 Depth=4
	s_delay_alu instid0(VALU_DEP_2) | instskip(SKIP_2) | instid1(VALU_DEP_2)
	v_cmp_lt_u32_e32 vcc_lo, 0xffffff, v46
	v_sub_nc_u32_e32 v50, v47, v56
	v_cndmask_b32_e64 v47, 0, 1, vcc_lo
	v_add_co_ci_u32_e32 v50, vcc_lo, 0, v50, vcc_lo
	s_delay_alu instid0(VALU_DEP_2)
	v_lshrrev_b32_e32 v46, v47, v46
; %bb.597:                              ;   in Loop: Header=BB6_393 Depth=4
	s_and_not1_saveexec_b32 s13, s13
; %bb.598:                              ;   in Loop: Header=BB6_393 Depth=4
	s_delay_alu instid0(VALU_DEP_1)
	v_bfe_u32 v50, v46, 23, 1
; %bb.599:                              ;   in Loop: Header=BB6_393 Depth=4
	s_or_b32 exec_lo, exec_lo, s13
	v_lshrrev_b32_e32 v46, 20, v46
	s_delay_alu instid0(VALU_DEP_2) | instskip(SKIP_2) | instid1(VALU_DEP_2)
	v_cmp_gt_i32_e32 vcc_lo, 16, v50
	v_lshrrev_b32_e32 v45, 24, v45
	v_min_i32_e32 v47, 15, v50
	v_dual_cndmask_b32 v46, 7, v46 :: v_dual_and_b32 v45, 0x80, v45
	s_delay_alu instid0(VALU_DEP_1) | instskip(SKIP_1) | instid1(VALU_DEP_2)
	v_or_b32_e32 v50, v50, v46
	v_and_b32_e32 v56, 7, v46
	v_cmp_ne_u32_e32 vcc_lo, 0, v50
	v_lshlrev_b32_e32 v47, 3, v47
	s_delay_alu instid0(VALU_DEP_1) | instskip(NEXT) | instid1(VALU_DEP_1)
	v_or3_b32 v45, v47, v45, v56
	v_cndmask_b32_e32 v50, 0, v45, vcc_lo
.LBB6_600:                              ;   in Loop: Header=BB6_393 Depth=4
	s_or_b32 exec_lo, exec_lo, s34
.LBB6_601:                              ;   in Loop: Header=BB6_393 Depth=4
	s_delay_alu instid0(SALU_CYCLE_1) | instskip(SKIP_3) | instid1(VALU_DEP_1)
	s_or_b32 exec_lo, exec_lo, s31
	v_lshrrev_b16 v46, 8, v51
	s_mov_b32 s13, 0
	s_mov_b32 s34, exec_lo
                                        ; implicit-def: $sgpr31
	v_cmpx_lt_i16_e32 0x7f, v46
	s_xor_b32 s34, exec_lo, s34
	s_cbranch_execnz .LBB6_1519
; %bb.602:                              ;   in Loop: Header=BB6_393 Depth=4
	s_or_saveexec_b32 s34, s34
	v_mov_b32_e32 v45, s31
	s_xor_b32 exec_lo, exec_lo, s34
	s_cbranch_execnz .LBB6_1522
.LBB6_603:                              ;   in Loop: Header=BB6_393 Depth=4
	s_or_b32 exec_lo, exec_lo, s34
	s_and_saveexec_b32 s31, s13
	s_cbranch_execz .LBB6_605
.LBB6_604:                              ;   in Loop: Header=BB6_393 Depth=4
	v_and_b32_e32 v45, 0xffff, v46
	s_delay_alu instid0(VALU_DEP_1) | instskip(NEXT) | instid1(VALU_DEP_1)
	v_and_b32_e32 v47, 7, v45
	v_clz_i32_u32_e32 v56, v47
	s_delay_alu instid0(VALU_DEP_1) | instskip(NEXT) | instid1(VALU_DEP_1)
	v_min_u32_e32 v56, 32, v56
	v_subrev_nc_u32_e32 v57, 28, v56
	v_sub_nc_u32_e32 v56, 29, v56
	s_delay_alu instid0(VALU_DEP_2) | instskip(SKIP_1) | instid1(VALU_DEP_2)
	v_lshlrev_b32_e32 v57, v57, v45
	v_bfe_u32 v45, v45, 3, 4
	v_and_b32_e32 v57, 7, v57
	s_delay_alu instid0(VALU_DEP_2) | instskip(SKIP_1) | instid1(VALU_DEP_1)
	v_cmp_eq_u32_e32 vcc_lo, 0, v45
	v_dual_cndmask_b32 v45, v45, v56 :: v_dual_lshlrev_b32 v46, 24, v46
	v_dual_cndmask_b32 v47, v47, v57 :: v_dual_and_b32 v46, 0x80000000, v46
	s_delay_alu instid0(VALU_DEP_2) | instskip(NEXT) | instid1(VALU_DEP_2)
	v_lshl_add_u32 v45, v45, 23, 0x3b800000
	v_lshlrev_b32_e32 v47, 20, v47
	s_delay_alu instid0(VALU_DEP_1)
	v_or3_b32 v45, v46, v45, v47
.LBB6_605:                              ;   in Loop: Header=BB6_393 Depth=4
	s_or_b32 exec_lo, exec_lo, s31
	v_lshrrev_b16 v46, 8, v39
	s_mov_b32 s13, 0
	s_mov_b32 s34, exec_lo
                                        ; implicit-def: $sgpr31
	s_delay_alu instid0(VALU_DEP_1)
	v_cmpx_lt_i16_e32 0x7f, v46
	s_xor_b32 s34, exec_lo, s34
	s_cbranch_execnz .LBB6_1523
; %bb.606:                              ;   in Loop: Header=BB6_393 Depth=4
	s_or_saveexec_b32 s34, s34
	v_mov_b32_e32 v47, s31
	s_xor_b32 exec_lo, exec_lo, s34
	s_cbranch_execnz .LBB6_1526
.LBB6_607:                              ;   in Loop: Header=BB6_393 Depth=4
	s_or_b32 exec_lo, exec_lo, s34
	s_and_saveexec_b32 s31, s13
	s_cbranch_execz .LBB6_609
.LBB6_608:                              ;   in Loop: Header=BB6_393 Depth=4
	v_and_b32_e32 v47, 0xffff, v46
	v_lshlrev_b32_e32 v46, 24, v46
	s_delay_alu instid0(VALU_DEP_2) | instskip(NEXT) | instid1(VALU_DEP_2)
	v_and_b32_e32 v56, 7, v47
	v_and_b32_e32 v46, 0x80000000, v46
	s_delay_alu instid0(VALU_DEP_2) | instskip(NEXT) | instid1(VALU_DEP_1)
	v_clz_i32_u32_e32 v57, v56
	v_min_u32_e32 v57, 32, v57
	s_delay_alu instid0(VALU_DEP_1) | instskip(SKIP_1) | instid1(VALU_DEP_2)
	v_subrev_nc_u32_e32 v58, 28, v57
	v_sub_nc_u32_e32 v57, 29, v57
	v_lshlrev_b32_e32 v58, v58, v47
	v_bfe_u32 v47, v47, 3, 4
	s_delay_alu instid0(VALU_DEP_2) | instskip(NEXT) | instid1(VALU_DEP_2)
	v_and_b32_e32 v58, 7, v58
	v_cmp_eq_u32_e32 vcc_lo, 0, v47
	s_delay_alu instid0(VALU_DEP_2) | instskip(NEXT) | instid1(VALU_DEP_1)
	v_dual_cndmask_b32 v47, v47, v57 :: v_dual_cndmask_b32 v56, v56, v58
	v_lshl_add_u32 v47, v47, 23, 0x3b800000
	s_delay_alu instid0(VALU_DEP_2) | instskip(NEXT) | instid1(VALU_DEP_1)
	v_lshlrev_b32_e32 v56, 20, v56
	v_or3_b32 v47, v46, v47, v56
.LBB6_609:                              ;   in Loop: Header=BB6_393 Depth=4
	s_or_b32 exec_lo, exec_lo, s31
	s_delay_alu instid0(VALU_DEP_1) | instskip(NEXT) | instid1(VALU_DEP_1)
	v_add_f32_e32 v46, v45, v47
	v_and_b32_e32 v45, 0x7f800000, v46
	s_delay_alu instid0(VALU_DEP_1)
	v_cmp_ne_u32_e32 vcc_lo, 0x7f800000, v45
	v_mov_b32_e32 v45, 0x8000
	s_and_saveexec_b32 s31, vcc_lo
	s_cbranch_execz .LBB6_617
; %bb.610:                              ;   in Loop: Header=BB6_393 Depth=4
	v_mov_b32_e32 v45, 0
	s_mov_b32 s34, exec_lo
	v_cmpx_ne_u32_e32 0, v46
	s_cbranch_execz .LBB6_616
; %bb.611:                              ;   in Loop: Header=BB6_393 Depth=4
	v_bfe_u32 v45, v46, 23, 8
	s_delay_alu instid0(VALU_DEP_1) | instskip(SKIP_1) | instid1(VALU_DEP_2)
	v_sub_nc_u32_e32 v56, 0x78, v45
	v_cmp_gt_u32_e32 vcc_lo, 0x79, v45
	v_dual_cndmask_b32 v56, 0, v56 :: v_dual_and_b32 v47, 0x7fffff, v46
	s_delay_alu instid0(VALU_DEP_1) | instskip(SKIP_2) | instid1(VALU_DEP_4)
	v_or_b32_e32 v57, 0x800000, v47
	v_cmp_eq_u32_e32 vcc_lo, 0, v45
	v_add_nc_u32_e32 v45, 0xffffff89, v45
	v_cndmask_b32_e64 v56, v56, 0x77, vcc_lo
	s_delay_alu instid0(VALU_DEP_2) | instskip(SKIP_1) | instid1(VALU_DEP_3)
	v_cndmask_b32_e64 v45, v45, 0xffffff8a, vcc_lo
	v_cndmask_b32_e32 v47, v57, v47, vcc_lo
	v_lshl_add_u32 v57, 0x100000, v56, -1
	v_lshlrev_b32_e64 v60, v56, 0x80000
	s_delay_alu instid0(VALU_DEP_3) | instskip(SKIP_1) | instid1(VALU_DEP_4)
	v_lshrrev_b32_e32 v58, v56, v47
	v_add_nc_u32_e32 v56, v56, v45
	v_and_b32_e32 v47, v57, v47
	s_delay_alu instid0(VALU_DEP_3) | instskip(NEXT) | instid1(VALU_DEP_2)
	v_bfe_u32 v59, v58, 20, 1
	v_cmp_eq_u32_e64 s13, v47, v60
	s_delay_alu instid0(VALU_DEP_2) | instskip(NEXT) | instid1(VALU_DEP_1)
	v_add_nc_u32_e32 v57, -1, v59
	v_cndmask_b32_e64 v47, 0, v57, s13
	v_lshrrev_b32_e32 v57, 23, v58
	s_mov_b32 s13, exec_lo
	s_delay_alu instid0(VALU_DEP_2) | instskip(NEXT) | instid1(VALU_DEP_2)
	v_add_nc_u32_e32 v47, v47, v58
	v_xor_b32_e32 v57, 1, v57
	s_delay_alu instid0(VALU_DEP_2) | instskip(NEXT) | instid1(VALU_DEP_1)
	v_and_b32_e32 v45, 0xfffff, v47
	v_add_nc_u32_e32 v47, v45, v58
                                        ; implicit-def: $vgpr45
	s_delay_alu instid0(VALU_DEP_3)
	v_cmpx_ne_u32_e64 v56, v57
	s_xor_b32 s13, exec_lo, s13
; %bb.612:                              ;   in Loop: Header=BB6_393 Depth=4
	s_delay_alu instid0(VALU_DEP_2) | instskip(SKIP_2) | instid1(VALU_DEP_2)
	v_cmp_lt_u32_e32 vcc_lo, 0xffffff, v47
	v_sub_nc_u32_e32 v45, v56, v57
	v_cndmask_b32_e64 v56, 0, 1, vcc_lo
	v_add_co_ci_u32_e32 v45, vcc_lo, 0, v45, vcc_lo
	s_delay_alu instid0(VALU_DEP_2)
	v_lshrrev_b32_e32 v47, v56, v47
; %bb.613:                              ;   in Loop: Header=BB6_393 Depth=4
	s_and_not1_saveexec_b32 s13, s13
; %bb.614:                              ;   in Loop: Header=BB6_393 Depth=4
	s_delay_alu instid0(VALU_DEP_1)
	v_bfe_u32 v45, v47, 23, 1
; %bb.615:                              ;   in Loop: Header=BB6_393 Depth=4
	s_or_b32 exec_lo, exec_lo, s13
	v_lshrrev_b32_e32 v47, 20, v47
	s_delay_alu instid0(VALU_DEP_2) | instskip(SKIP_2) | instid1(VALU_DEP_2)
	v_cmp_gt_i32_e32 vcc_lo, 16, v45
	v_min_i32_e32 v56, 15, v45
	v_lshrrev_b32_e32 v46, 24, v46
	v_dual_cndmask_b32 v47, 7, v47 :: v_dual_lshlrev_b32 v56, 3, v56
	s_delay_alu instid0(VALU_DEP_2) | instskip(NEXT) | instid1(VALU_DEP_2)
	v_and_b32_e32 v46, 0x80, v46
	v_or_b32_e32 v45, v45, v47
	v_and_b32_e32 v57, 7, v47
	s_delay_alu instid0(VALU_DEP_2) | instskip(SKIP_1) | instid1(VALU_DEP_1)
	v_cmp_ne_u32_e32 vcc_lo, 0, v45
	v_and_b32_e32 v56, 0xf8, v56
	v_or3_b32 v46, v46, v56, v57
	s_delay_alu instid0(VALU_DEP_1) | instskip(NEXT) | instid1(VALU_DEP_1)
	v_lshlrev_b32_e32 v46, 8, v46
	v_cndmask_b32_e32 v45, 0, v46, vcc_lo
.LBB6_616:                              ;   in Loop: Header=BB6_393 Depth=4
	s_or_b32 exec_lo, exec_lo, s34
.LBB6_617:                              ;   in Loop: Header=BB6_393 Depth=4
	s_delay_alu instid0(SALU_CYCLE_1) | instskip(SKIP_3) | instid1(VALU_DEP_1)
	s_or_b32 exec_lo, exec_lo, s31
	v_lshrrev_b32_e32 v47, 16, v51
	s_mov_b32 s13, 0
	s_mov_b32 s34, exec_lo
                                        ; implicit-def: $sgpr31
	v_and_b32_e32 v56, 0xff, v47
	s_delay_alu instid0(VALU_DEP_1)
	v_cmpx_lt_i16_e32 0x7f, v56
	s_xor_b32 s34, exec_lo, s34
	s_cbranch_execnz .LBB6_1527
; %bb.618:                              ;   in Loop: Header=BB6_393 Depth=4
	s_or_saveexec_b32 s34, s34
	v_mov_b32_e32 v46, s31
	s_xor_b32 exec_lo, exec_lo, s34
	s_cbranch_execnz .LBB6_1530
.LBB6_619:                              ;   in Loop: Header=BB6_393 Depth=4
	s_or_b32 exec_lo, exec_lo, s34
	s_and_saveexec_b32 s31, s13
	s_cbranch_execz .LBB6_621
.LBB6_620:                              ;   in Loop: Header=BB6_393 Depth=4
	v_bfe_u32 v46, v51, 16, 3
	v_lshlrev_b32_e32 v58, 8, v51
	s_delay_alu instid0(VALU_DEP_2) | instskip(NEXT) | instid1(VALU_DEP_1)
	v_clz_i32_u32_e32 v56, v46
	v_min_u32_e32 v56, 32, v56
	s_delay_alu instid0(VALU_DEP_1) | instskip(SKIP_1) | instid1(VALU_DEP_2)
	v_subrev_nc_u32_e32 v57, 28, v56
	v_sub_nc_u32_e32 v56, 29, v56
	v_lshlrev_b32_e32 v47, v57, v47
	v_bfe_u32 v57, v51, 19, 4
	s_delay_alu instid0(VALU_DEP_1) | instskip(NEXT) | instid1(VALU_DEP_3)
	v_cmp_eq_u32_e32 vcc_lo, 0, v57
	v_dual_cndmask_b32 v56, v57, v56 :: v_dual_and_b32 v47, 7, v47
	s_delay_alu instid0(VALU_DEP_1) | instskip(NEXT) | instid1(VALU_DEP_2)
	v_dual_cndmask_b32 v46, v46, v47 :: v_dual_and_b32 v47, 0x80000000, v58
	v_lshl_add_u32 v56, v56, 23, 0x3b800000
	s_delay_alu instid0(VALU_DEP_2) | instskip(NEXT) | instid1(VALU_DEP_1)
	v_lshlrev_b32_e32 v46, 20, v46
	v_or3_b32 v46, v47, v56, v46
.LBB6_621:                              ;   in Loop: Header=BB6_393 Depth=4
	s_or_b32 exec_lo, exec_lo, s31
	v_lshrrev_b32_e32 v47, 16, v39
	s_mov_b32 s13, 0
	s_mov_b32 s34, exec_lo
                                        ; implicit-def: $sgpr31
	s_delay_alu instid0(VALU_DEP_1) | instskip(NEXT) | instid1(VALU_DEP_1)
	v_and_b32_e32 v57, 0xff, v47
	v_cmpx_lt_i16_e32 0x7f, v57
	s_xor_b32 s34, exec_lo, s34
	s_cbranch_execnz .LBB6_1531
; %bb.622:                              ;   in Loop: Header=BB6_393 Depth=4
	s_or_saveexec_b32 s34, s34
	v_mov_b32_e32 v56, s31
	s_xor_b32 exec_lo, exec_lo, s34
	s_cbranch_execnz .LBB6_1534
.LBB6_623:                              ;   in Loop: Header=BB6_393 Depth=4
	s_or_b32 exec_lo, exec_lo, s34
	s_and_saveexec_b32 s31, s13
	s_cbranch_execz .LBB6_625
.LBB6_624:                              ;   in Loop: Header=BB6_393 Depth=4
	v_bfe_u32 v56, v39, 16, 3
	v_lshlrev_b32_e32 v59, 8, v39
	s_delay_alu instid0(VALU_DEP_2) | instskip(NEXT) | instid1(VALU_DEP_1)
	v_clz_i32_u32_e32 v57, v56
	v_min_u32_e32 v57, 32, v57
	s_delay_alu instid0(VALU_DEP_1) | instskip(SKIP_1) | instid1(VALU_DEP_2)
	v_subrev_nc_u32_e32 v58, 28, v57
	v_sub_nc_u32_e32 v57, 29, v57
	v_lshlrev_b32_e32 v47, v58, v47
	v_bfe_u32 v58, v39, 19, 4
	s_delay_alu instid0(VALU_DEP_2) | instskip(NEXT) | instid1(VALU_DEP_2)
	v_and_b32_e32 v47, 7, v47
	v_cmp_eq_u32_e32 vcc_lo, 0, v58
	v_cndmask_b32_e32 v57, v58, v57, vcc_lo
	s_delay_alu instid0(VALU_DEP_3) | instskip(SKIP_1) | instid1(VALU_DEP_3)
	v_cndmask_b32_e32 v47, v56, v47, vcc_lo
	v_and_b32_e32 v56, 0x80000000, v59
	v_lshl_add_u32 v57, v57, 23, 0x3b800000
	s_delay_alu instid0(VALU_DEP_3) | instskip(NEXT) | instid1(VALU_DEP_1)
	v_lshlrev_b32_e32 v47, 20, v47
	v_or3_b32 v56, v56, v57, v47
.LBB6_625:                              ;   in Loop: Header=BB6_393 Depth=4
	s_or_b32 exec_lo, exec_lo, s31
	s_delay_alu instid0(VALU_DEP_1) | instskip(NEXT) | instid1(VALU_DEP_1)
	v_add_f32_e32 v47, v46, v56
	v_and_b32_e32 v46, 0x7f800000, v47
	s_delay_alu instid0(VALU_DEP_1)
	v_cmp_ne_u32_e32 vcc_lo, 0x7f800000, v46
	v_mov_b32_e32 v46, 0x80
	s_and_saveexec_b32 s31, vcc_lo
	s_cbranch_execz .LBB6_633
; %bb.626:                              ;   in Loop: Header=BB6_393 Depth=4
	v_mov_b32_e32 v46, 0
	s_mov_b32 s34, exec_lo
	v_cmpx_ne_u32_e32 0, v47
	s_cbranch_execz .LBB6_632
; %bb.627:                              ;   in Loop: Header=BB6_393 Depth=4
	v_bfe_u32 v46, v47, 23, 8
	s_delay_alu instid0(VALU_DEP_1) | instskip(SKIP_1) | instid1(VALU_DEP_2)
	v_sub_nc_u32_e32 v57, 0x78, v46
	v_cmp_gt_u32_e32 vcc_lo, 0x79, v46
	v_dual_cndmask_b32 v57, 0, v57 :: v_dual_and_b32 v56, 0x7fffff, v47
	s_delay_alu instid0(VALU_DEP_1) | instskip(SKIP_2) | instid1(VALU_DEP_4)
	v_or_b32_e32 v58, 0x800000, v56
	v_cmp_eq_u32_e32 vcc_lo, 0, v46
	v_add_nc_u32_e32 v46, 0xffffff89, v46
	v_cndmask_b32_e64 v57, v57, 0x77, vcc_lo
	s_delay_alu instid0(VALU_DEP_2) | instskip(SKIP_1) | instid1(VALU_DEP_3)
	v_cndmask_b32_e64 v46, v46, 0xffffff8a, vcc_lo
	v_cndmask_b32_e32 v56, v58, v56, vcc_lo
	v_lshl_add_u32 v58, 0x100000, v57, -1
	v_lshlrev_b32_e64 v61, v57, 0x80000
	s_delay_alu instid0(VALU_DEP_3) | instskip(SKIP_1) | instid1(VALU_DEP_4)
	v_lshrrev_b32_e32 v59, v57, v56
	v_add_nc_u32_e32 v57, v57, v46
	v_and_b32_e32 v56, v58, v56
	s_delay_alu instid0(VALU_DEP_3) | instskip(NEXT) | instid1(VALU_DEP_2)
	v_bfe_u32 v60, v59, 20, 1
	v_cmp_eq_u32_e64 s13, v56, v61
	s_delay_alu instid0(VALU_DEP_2) | instskip(NEXT) | instid1(VALU_DEP_1)
	v_add_nc_u32_e32 v58, -1, v60
	v_cndmask_b32_e64 v56, 0, v58, s13
	v_lshrrev_b32_e32 v58, 23, v59
	s_mov_b32 s13, exec_lo
	s_delay_alu instid0(VALU_DEP_2) | instskip(NEXT) | instid1(VALU_DEP_2)
	v_add_nc_u32_e32 v56, v56, v59
	v_xor_b32_e32 v58, 1, v58
	s_delay_alu instid0(VALU_DEP_2) | instskip(NEXT) | instid1(VALU_DEP_1)
	v_and_b32_e32 v46, 0xfffff, v56
	v_add_nc_u32_e32 v56, v46, v59
                                        ; implicit-def: $vgpr46
	s_delay_alu instid0(VALU_DEP_3)
	v_cmpx_ne_u32_e64 v57, v58
	s_xor_b32 s13, exec_lo, s13
; %bb.628:                              ;   in Loop: Header=BB6_393 Depth=4
	s_delay_alu instid0(VALU_DEP_2) | instskip(SKIP_2) | instid1(VALU_DEP_2)
	v_cmp_lt_u32_e32 vcc_lo, 0xffffff, v56
	v_sub_nc_u32_e32 v46, v57, v58
	v_cndmask_b32_e64 v57, 0, 1, vcc_lo
	v_add_co_ci_u32_e32 v46, vcc_lo, 0, v46, vcc_lo
	s_delay_alu instid0(VALU_DEP_2)
	v_lshrrev_b32_e32 v56, v57, v56
; %bb.629:                              ;   in Loop: Header=BB6_393 Depth=4
	s_and_not1_saveexec_b32 s13, s13
; %bb.630:                              ;   in Loop: Header=BB6_393 Depth=4
	s_delay_alu instid0(VALU_DEP_1)
	v_bfe_u32 v46, v56, 23, 1
; %bb.631:                              ;   in Loop: Header=BB6_393 Depth=4
	s_or_b32 exec_lo, exec_lo, s13
	v_lshrrev_b32_e32 v56, 20, v56
	s_delay_alu instid0(VALU_DEP_2) | instskip(SKIP_2) | instid1(VALU_DEP_2)
	v_cmp_gt_i32_e32 vcc_lo, 16, v46
	v_min_i32_e32 v57, 15, v46
	v_lshrrev_b32_e32 v47, 24, v47
	v_dual_cndmask_b32 v56, 7, v56 :: v_dual_lshlrev_b32 v57, 3, v57
	s_delay_alu instid0(VALU_DEP_2) | instskip(NEXT) | instid1(VALU_DEP_2)
	v_and_b32_e32 v47, 0x80, v47
	v_or_b32_e32 v46, v46, v56
	v_and_b32_e32 v58, 7, v56
	s_delay_alu instid0(VALU_DEP_2) | instskip(SKIP_1) | instid1(VALU_DEP_1)
	v_cmp_ne_u32_e32 vcc_lo, 0, v46
	v_and_b32_e32 v57, 0xf8, v57
	v_or3_b32 v47, v57, v47, v58
	s_delay_alu instid0(VALU_DEP_1)
	v_cndmask_b32_e32 v46, 0, v47, vcc_lo
.LBB6_632:                              ;   in Loop: Header=BB6_393 Depth=4
	s_or_b32 exec_lo, exec_lo, s34
.LBB6_633:                              ;   in Loop: Header=BB6_393 Depth=4
	s_delay_alu instid0(SALU_CYCLE_1) | instskip(SKIP_3) | instid1(VALU_DEP_1)
	s_or_b32 exec_lo, exec_lo, s31
	v_lshrrev_b32_e32 v56, 24, v51
	s_mov_b32 s13, 0
	s_mov_b32 s34, exec_lo
                                        ; implicit-def: $sgpr31
	v_cmpx_lt_i16_e32 0x7f, v56
	s_xor_b32 s34, exec_lo, s34
	s_cbranch_execnz .LBB6_1535
; %bb.634:                              ;   in Loop: Header=BB6_393 Depth=4
	s_or_saveexec_b32 s34, s34
	v_mov_b32_e32 v47, s31
	s_xor_b32 exec_lo, exec_lo, s34
	s_cbranch_execnz .LBB6_1538
.LBB6_635:                              ;   in Loop: Header=BB6_393 Depth=4
	s_or_b32 exec_lo, exec_lo, s34
	s_and_saveexec_b32 s31, s13
	s_cbranch_execz .LBB6_637
.LBB6_636:                              ;   in Loop: Header=BB6_393 Depth=4
	v_bfe_u32 v47, v51, 24, 3
	s_delay_alu instid0(VALU_DEP_1) | instskip(NEXT) | instid1(VALU_DEP_1)
	v_clz_i32_u32_e32 v57, v47
	v_min_u32_e32 v57, 32, v57
	s_delay_alu instid0(VALU_DEP_1) | instskip(SKIP_1) | instid1(VALU_DEP_2)
	v_subrev_nc_u32_e32 v58, 28, v57
	v_sub_nc_u32_e32 v57, 29, v57
	v_lshlrev_b32_e32 v56, v58, v56
	v_bfe_u32 v58, v51, 27, 4
	v_and_b32_e32 v51, 0x80000000, v51
	s_delay_alu instid0(VALU_DEP_2) | instskip(NEXT) | instid1(VALU_DEP_4)
	v_cmp_eq_u32_e32 vcc_lo, 0, v58
	v_dual_cndmask_b32 v57, v58, v57 :: v_dual_and_b32 v56, 7, v56
	s_delay_alu instid0(VALU_DEP_1) | instskip(NEXT) | instid1(VALU_DEP_2)
	v_cndmask_b32_e32 v47, v47, v56, vcc_lo
	v_lshl_add_u32 v56, v57, 23, 0x3b800000
	s_delay_alu instid0(VALU_DEP_2) | instskip(NEXT) | instid1(VALU_DEP_1)
	v_lshlrev_b32_e32 v47, 20, v47
	v_or3_b32 v47, v51, v56, v47
.LBB6_637:                              ;   in Loop: Header=BB6_393 Depth=4
	s_or_b32 exec_lo, exec_lo, s31
	v_lshrrev_b32_e32 v51, 24, v39
	s_mov_b32 s13, 0
	s_mov_b32 s34, exec_lo
                                        ; implicit-def: $sgpr31
	s_delay_alu instid0(VALU_DEP_1)
	v_cmpx_lt_i16_e32 0x7f, v51
	s_xor_b32 s34, exec_lo, s34
	s_cbranch_execnz .LBB6_1539
; %bb.638:                              ;   in Loop: Header=BB6_393 Depth=4
	s_or_saveexec_b32 s34, s34
	v_mov_b32_e32 v56, s31
	s_xor_b32 exec_lo, exec_lo, s34
	s_cbranch_execnz .LBB6_1542
.LBB6_639:                              ;   in Loop: Header=BB6_393 Depth=4
	s_or_b32 exec_lo, exec_lo, s34
	s_and_saveexec_b32 s31, s13
	s_cbranch_execz .LBB6_641
.LBB6_640:                              ;   in Loop: Header=BB6_393 Depth=4
	v_bfe_u32 v56, v39, 24, 3
	s_delay_alu instid0(VALU_DEP_1) | instskip(NEXT) | instid1(VALU_DEP_1)
	v_clz_i32_u32_e32 v57, v56
	v_min_u32_e32 v57, 32, v57
	s_delay_alu instid0(VALU_DEP_1) | instskip(SKIP_1) | instid1(VALU_DEP_2)
	v_subrev_nc_u32_e32 v58, 28, v57
	v_sub_nc_u32_e32 v57, 29, v57
	v_lshlrev_b32_e32 v51, v58, v51
	v_bfe_u32 v58, v39, 27, 4
	v_and_b32_e32 v39, 0x80000000, v39
	s_delay_alu instid0(VALU_DEP_3) | instskip(NEXT) | instid1(VALU_DEP_3)
	v_and_b32_e32 v51, 7, v51
	v_cmp_eq_u32_e32 vcc_lo, 0, v58
	v_cndmask_b32_e32 v57, v58, v57, vcc_lo
	s_delay_alu instid0(VALU_DEP_3) | instskip(NEXT) | instid1(VALU_DEP_2)
	v_cndmask_b32_e32 v51, v56, v51, vcc_lo
	v_lshl_add_u32 v56, v57, 23, 0x3b800000
	s_delay_alu instid0(VALU_DEP_2) | instskip(NEXT) | instid1(VALU_DEP_1)
	v_lshlrev_b32_e32 v51, 20, v51
	v_or3_b32 v56, v39, v56, v51
.LBB6_641:                              ;   in Loop: Header=BB6_393 Depth=4
	s_or_b32 exec_lo, exec_lo, s31
	s_delay_alu instid0(VALU_DEP_1) | instskip(NEXT) | instid1(VALU_DEP_1)
	v_add_f32_e32 v51, v47, v56
	v_and_b32_e32 v39, 0x7f800000, v51
	s_delay_alu instid0(VALU_DEP_1)
	v_cmp_ne_u32_e32 vcc_lo, 0x7f800000, v39
	v_mov_b32_e32 v39, 0x8000
	s_and_saveexec_b32 s31, vcc_lo
	s_cbranch_execz .LBB6_649
; %bb.642:                              ;   in Loop: Header=BB6_393 Depth=4
	v_mov_b32_e32 v39, 0
	s_mov_b32 s34, exec_lo
	v_cmpx_ne_u32_e32 0, v51
	s_cbranch_execz .LBB6_648
; %bb.643:                              ;   in Loop: Header=BB6_393 Depth=4
	v_bfe_u32 v39, v51, 23, 8
	s_delay_alu instid0(VALU_DEP_1) | instskip(SKIP_1) | instid1(VALU_DEP_2)
	v_sub_nc_u32_e32 v56, 0x78, v39
	v_cmp_gt_u32_e32 vcc_lo, 0x79, v39
	v_dual_cndmask_b32 v56, 0, v56 :: v_dual_and_b32 v47, 0x7fffff, v51
	s_delay_alu instid0(VALU_DEP_1) | instskip(SKIP_2) | instid1(VALU_DEP_4)
	v_or_b32_e32 v57, 0x800000, v47
	v_cmp_eq_u32_e32 vcc_lo, 0, v39
	v_add_nc_u32_e32 v39, 0xffffff89, v39
	v_cndmask_b32_e64 v56, v56, 0x77, vcc_lo
	s_delay_alu instid0(VALU_DEP_4) | instskip(NEXT) | instid1(VALU_DEP_3)
	v_cndmask_b32_e32 v47, v57, v47, vcc_lo
	v_cndmask_b32_e64 v39, v39, 0xffffff8a, vcc_lo
	s_delay_alu instid0(VALU_DEP_3) | instskip(NEXT) | instid1(VALU_DEP_3)
	v_lshl_add_u32 v57, 0x100000, v56, -1
	v_lshrrev_b32_e32 v58, v56, v47
	v_lshlrev_b32_e64 v60, v56, 0x80000
	s_delay_alu instid0(VALU_DEP_4) | instskip(NEXT) | instid1(VALU_DEP_4)
	v_add_nc_u32_e32 v56, v56, v39
	v_and_b32_e32 v47, v57, v47
	s_delay_alu instid0(VALU_DEP_4) | instskip(NEXT) | instid1(VALU_DEP_2)
	v_bfe_u32 v59, v58, 20, 1
	v_cmp_eq_u32_e64 s13, v47, v60
	s_delay_alu instid0(VALU_DEP_2) | instskip(NEXT) | instid1(VALU_DEP_1)
	v_add_nc_u32_e32 v57, -1, v59
	v_cndmask_b32_e64 v47, 0, v57, s13
	v_lshrrev_b32_e32 v57, 23, v58
	s_mov_b32 s13, exec_lo
	s_delay_alu instid0(VALU_DEP_2) | instskip(NEXT) | instid1(VALU_DEP_2)
	v_add_nc_u32_e32 v47, v47, v58
	v_xor_b32_e32 v57, 1, v57
	s_delay_alu instid0(VALU_DEP_2) | instskip(NEXT) | instid1(VALU_DEP_1)
	v_and_b32_e32 v39, 0xfffff, v47
	v_add_nc_u32_e32 v47, v39, v58
                                        ; implicit-def: $vgpr39
	s_delay_alu instid0(VALU_DEP_3)
	v_cmpx_ne_u32_e64 v56, v57
	s_xor_b32 s13, exec_lo, s13
; %bb.644:                              ;   in Loop: Header=BB6_393 Depth=4
	s_delay_alu instid0(VALU_DEP_2) | instskip(SKIP_2) | instid1(VALU_DEP_2)
	v_cmp_lt_u32_e32 vcc_lo, 0xffffff, v47
	v_sub_nc_u32_e32 v39, v56, v57
	v_cndmask_b32_e64 v56, 0, 1, vcc_lo
	v_add_co_ci_u32_e32 v39, vcc_lo, 0, v39, vcc_lo
	s_delay_alu instid0(VALU_DEP_2)
	v_lshrrev_b32_e32 v47, v56, v47
; %bb.645:                              ;   in Loop: Header=BB6_393 Depth=4
	s_and_not1_saveexec_b32 s13, s13
; %bb.646:                              ;   in Loop: Header=BB6_393 Depth=4
	s_delay_alu instid0(VALU_DEP_1)
	v_bfe_u32 v39, v47, 23, 1
; %bb.647:                              ;   in Loop: Header=BB6_393 Depth=4
	s_or_b32 exec_lo, exec_lo, s13
	v_lshrrev_b32_e32 v47, 20, v47
	s_delay_alu instid0(VALU_DEP_2) | instskip(SKIP_2) | instid1(VALU_DEP_2)
	v_cmp_gt_i32_e32 vcc_lo, 16, v39
	v_min_i32_e32 v56, 15, v39
	v_lshrrev_b32_e32 v51, 24, v51
	v_dual_cndmask_b32 v47, 7, v47 :: v_dual_lshlrev_b32 v56, 3, v56
	s_delay_alu instid0(VALU_DEP_2) | instskip(NEXT) | instid1(VALU_DEP_2)
	v_and_b32_e32 v51, 0x80, v51
	v_or_b32_e32 v39, v39, v47
	v_and_b32_e32 v57, 7, v47
	s_delay_alu instid0(VALU_DEP_2) | instskip(SKIP_1) | instid1(VALU_DEP_1)
	v_cmp_ne_u32_e32 vcc_lo, 0, v39
	v_and_b32_e32 v56, 0xf8, v56
	v_or3_b32 v51, v51, v56, v57
	s_delay_alu instid0(VALU_DEP_1) | instskip(NEXT) | instid1(VALU_DEP_1)
	v_lshlrev_b32_e32 v51, 8, v51
	v_cndmask_b32_e32 v39, 0, v51, vcc_lo
.LBB6_648:                              ;   in Loop: Header=BB6_393 Depth=4
	s_or_b32 exec_lo, exec_lo, s34
.LBB6_649:                              ;   in Loop: Header=BB6_393 Depth=4
	s_delay_alu instid0(SALU_CYCLE_1) | instskip(SKIP_3) | instid1(VALU_DEP_1)
	s_or_b32 exec_lo, exec_lo, s31
	v_and_b32_e32 v47, 0xff, v32
	s_mov_b32 s13, 0
	s_mov_b32 s34, exec_lo
                                        ; implicit-def: $sgpr31
	v_cmpx_lt_i16_e32 0x7f, v47
	s_xor_b32 s34, exec_lo, s34
	s_cbranch_execnz .LBB6_1543
; %bb.650:                              ;   in Loop: Header=BB6_393 Depth=4
	s_or_saveexec_b32 s34, s34
	v_mov_b32_e32 v51, s31
	s_xor_b32 exec_lo, exec_lo, s34
	s_cbranch_execnz .LBB6_1546
.LBB6_651:                              ;   in Loop: Header=BB6_393 Depth=4
	s_or_b32 exec_lo, exec_lo, s34
	s_and_saveexec_b32 s31, s13
	s_cbranch_execz .LBB6_653
.LBB6_652:                              ;   in Loop: Header=BB6_393 Depth=4
	v_and_b32_e32 v51, 7, v32
	v_bfe_u32 v57, v32, 3, 4
	v_lshlrev_b32_e32 v58, 24, v32
	s_delay_alu instid0(VALU_DEP_3) | instskip(NEXT) | instid1(VALU_DEP_3)
	v_clz_i32_u32_e32 v47, v51
	v_cmp_eq_u32_e32 vcc_lo, 0, v57
	s_delay_alu instid0(VALU_DEP_2) | instskip(NEXT) | instid1(VALU_DEP_1)
	v_min_u32_e32 v47, 32, v47
	v_subrev_nc_u32_e32 v56, 28, v47
	v_sub_nc_u32_e32 v47, 29, v47
	s_delay_alu instid0(VALU_DEP_1) | instskip(NEXT) | instid1(VALU_DEP_1)
	v_dual_cndmask_b32 v47, v57, v47 :: v_dual_lshlrev_b32 v56, v56, v32
	v_and_b32_e32 v56, 7, v56
	s_delay_alu instid0(VALU_DEP_2) | instskip(NEXT) | instid1(VALU_DEP_2)
	v_lshl_add_u32 v47, v47, 23, 0x3b800000
	v_dual_cndmask_b32 v51, v51, v56 :: v_dual_and_b32 v56, 0x80000000, v58
	s_delay_alu instid0(VALU_DEP_1) | instskip(NEXT) | instid1(VALU_DEP_1)
	v_lshlrev_b32_e32 v51, 20, v51
	v_or3_b32 v51, v56, v47, v51
.LBB6_653:                              ;   in Loop: Header=BB6_393 Depth=4
	s_or_b32 exec_lo, exec_lo, s31
	s_waitcnt vmcnt(2)
	v_and_b32_e32 v56, 0xff, v24
	s_mov_b32 s13, 0
	s_mov_b32 s34, exec_lo
                                        ; implicit-def: $sgpr31
	s_delay_alu instid0(VALU_DEP_1)
	v_cmpx_lt_i16_e32 0x7f, v56
	s_xor_b32 s34, exec_lo, s34
	s_cbranch_execnz .LBB6_1547
; %bb.654:                              ;   in Loop: Header=BB6_393 Depth=4
	s_or_saveexec_b32 s34, s34
	v_mov_b32_e32 v47, s31
	s_xor_b32 exec_lo, exec_lo, s34
	s_cbranch_execnz .LBB6_1550
.LBB6_655:                              ;   in Loop: Header=BB6_393 Depth=4
	s_or_b32 exec_lo, exec_lo, s34
	s_and_saveexec_b32 s31, s13
	s_cbranch_execz .LBB6_657
.LBB6_656:                              ;   in Loop: Header=BB6_393 Depth=4
	v_and_b32_e32 v47, 7, v24
	v_bfe_u32 v58, v24, 3, 4
	v_lshlrev_b32_e32 v59, 24, v24
	s_delay_alu instid0(VALU_DEP_3) | instskip(NEXT) | instid1(VALU_DEP_3)
	v_clz_i32_u32_e32 v56, v47
	v_cmp_eq_u32_e32 vcc_lo, 0, v58
	s_delay_alu instid0(VALU_DEP_2) | instskip(NEXT) | instid1(VALU_DEP_1)
	v_min_u32_e32 v56, 32, v56
	v_subrev_nc_u32_e32 v57, 28, v56
	v_sub_nc_u32_e32 v56, 29, v56
	s_delay_alu instid0(VALU_DEP_2) | instskip(NEXT) | instid1(VALU_DEP_1)
	v_lshlrev_b32_e32 v57, v57, v24
	v_dual_cndmask_b32 v56, v58, v56 :: v_dual_and_b32 v57, 7, v57
	s_delay_alu instid0(VALU_DEP_1) | instskip(NEXT) | instid1(VALU_DEP_2)
	v_lshl_add_u32 v56, v56, 23, 0x3b800000
	v_cndmask_b32_e32 v47, v47, v57, vcc_lo
	v_and_b32_e32 v57, 0x80000000, v59
	s_delay_alu instid0(VALU_DEP_2) | instskip(NEXT) | instid1(VALU_DEP_1)
	v_lshlrev_b32_e32 v47, 20, v47
	v_or3_b32 v47, v57, v56, v47
.LBB6_657:                              ;   in Loop: Header=BB6_393 Depth=4
	s_or_b32 exec_lo, exec_lo, s31
	s_delay_alu instid0(VALU_DEP_1) | instskip(NEXT) | instid1(VALU_DEP_1)
	v_add_f32_e32 v47, v51, v47
	v_and_b32_e32 v51, 0x7f800000, v47
	s_delay_alu instid0(VALU_DEP_1)
	v_cmp_ne_u32_e32 vcc_lo, 0x7f800000, v51
	v_mov_b32_e32 v51, 0x80
	s_and_saveexec_b32 s31, vcc_lo
	s_cbranch_execz .LBB6_665
; %bb.658:                              ;   in Loop: Header=BB6_393 Depth=4
	v_mov_b32_e32 v51, 0
	s_mov_b32 s34, exec_lo
	v_cmpx_ne_u32_e32 0, v47
	s_cbranch_execz .LBB6_664
; %bb.659:                              ;   in Loop: Header=BB6_393 Depth=4
	v_bfe_u32 v51, v47, 23, 8
	s_delay_alu instid0(VALU_DEP_1) | instskip(SKIP_1) | instid1(VALU_DEP_2)
	v_sub_nc_u32_e32 v57, 0x78, v51
	v_cmp_gt_u32_e32 vcc_lo, 0x79, v51
	v_dual_cndmask_b32 v57, 0, v57 :: v_dual_and_b32 v56, 0x7fffff, v47
	s_delay_alu instid0(VALU_DEP_1) | instskip(SKIP_2) | instid1(VALU_DEP_4)
	v_or_b32_e32 v58, 0x800000, v56
	v_cmp_eq_u32_e32 vcc_lo, 0, v51
	v_add_nc_u32_e32 v51, 0xffffff89, v51
	v_cndmask_b32_e64 v57, v57, 0x77, vcc_lo
	s_delay_alu instid0(VALU_DEP_4) | instskip(NEXT) | instid1(VALU_DEP_3)
	v_cndmask_b32_e32 v56, v58, v56, vcc_lo
	v_cndmask_b32_e64 v51, v51, 0xffffff8a, vcc_lo
	s_delay_alu instid0(VALU_DEP_3) | instskip(NEXT) | instid1(VALU_DEP_3)
	v_lshl_add_u32 v58, 0x100000, v57, -1
	v_lshrrev_b32_e32 v59, v57, v56
	v_lshlrev_b32_e64 v61, v57, 0x80000
	s_delay_alu instid0(VALU_DEP_4) | instskip(NEXT) | instid1(VALU_DEP_4)
	v_add_nc_u32_e32 v57, v57, v51
	v_and_b32_e32 v56, v58, v56
	s_delay_alu instid0(VALU_DEP_4) | instskip(NEXT) | instid1(VALU_DEP_2)
	v_bfe_u32 v60, v59, 20, 1
	v_cmp_eq_u32_e64 s13, v56, v61
	s_delay_alu instid0(VALU_DEP_2) | instskip(NEXT) | instid1(VALU_DEP_1)
	v_add_nc_u32_e32 v58, -1, v60
	v_cndmask_b32_e64 v56, 0, v58, s13
	v_lshrrev_b32_e32 v58, 23, v59
	s_mov_b32 s13, exec_lo
	s_delay_alu instid0(VALU_DEP_2) | instskip(NEXT) | instid1(VALU_DEP_2)
	v_add_nc_u32_e32 v56, v56, v59
	v_xor_b32_e32 v58, 1, v58
	s_delay_alu instid0(VALU_DEP_2) | instskip(NEXT) | instid1(VALU_DEP_1)
	v_and_b32_e32 v51, 0xfffff, v56
	v_add_nc_u32_e32 v56, v51, v59
                                        ; implicit-def: $vgpr51
	s_delay_alu instid0(VALU_DEP_3)
	v_cmpx_ne_u32_e64 v57, v58
	s_xor_b32 s13, exec_lo, s13
; %bb.660:                              ;   in Loop: Header=BB6_393 Depth=4
	s_delay_alu instid0(VALU_DEP_2) | instskip(SKIP_2) | instid1(VALU_DEP_2)
	v_cmp_lt_u32_e32 vcc_lo, 0xffffff, v56
	v_sub_nc_u32_e32 v51, v57, v58
	v_cndmask_b32_e64 v57, 0, 1, vcc_lo
	v_add_co_ci_u32_e32 v51, vcc_lo, 0, v51, vcc_lo
	s_delay_alu instid0(VALU_DEP_2)
	v_lshrrev_b32_e32 v56, v57, v56
; %bb.661:                              ;   in Loop: Header=BB6_393 Depth=4
	s_and_not1_saveexec_b32 s13, s13
; %bb.662:                              ;   in Loop: Header=BB6_393 Depth=4
	s_delay_alu instid0(VALU_DEP_1)
	v_bfe_u32 v51, v56, 23, 1
; %bb.663:                              ;   in Loop: Header=BB6_393 Depth=4
	s_or_b32 exec_lo, exec_lo, s13
	v_lshrrev_b32_e32 v56, 20, v56
	s_delay_alu instid0(VALU_DEP_2) | instskip(SKIP_2) | instid1(VALU_DEP_2)
	v_cmp_gt_i32_e32 vcc_lo, 16, v51
	v_lshrrev_b32_e32 v47, 24, v47
	v_min_i32_e32 v57, 15, v51
	v_dual_cndmask_b32 v56, 7, v56 :: v_dual_and_b32 v47, 0x80, v47
	s_delay_alu instid0(VALU_DEP_2) | instskip(NEXT) | instid1(VALU_DEP_2)
	v_lshlrev_b32_e32 v57, 3, v57
	v_or_b32_e32 v51, v51, v56
	s_delay_alu instid0(VALU_DEP_1) | instskip(SKIP_1) | instid1(VALU_DEP_1)
	v_cmp_ne_u32_e32 vcc_lo, 0, v51
	v_and_b32_e32 v58, 7, v56
	v_or3_b32 v47, v57, v47, v58
	s_delay_alu instid0(VALU_DEP_1)
	v_cndmask_b32_e32 v51, 0, v47, vcc_lo
.LBB6_664:                              ;   in Loop: Header=BB6_393 Depth=4
	s_or_b32 exec_lo, exec_lo, s34
.LBB6_665:                              ;   in Loop: Header=BB6_393 Depth=4
	s_delay_alu instid0(SALU_CYCLE_1) | instskip(SKIP_3) | instid1(VALU_DEP_1)
	s_or_b32 exec_lo, exec_lo, s31
	v_lshrrev_b16 v56, 8, v32
	s_mov_b32 s13, 0
	s_mov_b32 s34, exec_lo
                                        ; implicit-def: $sgpr31
	v_cmpx_lt_i16_e32 0x7f, v56
	s_xor_b32 s34, exec_lo, s34
	s_cbranch_execnz .LBB6_1551
; %bb.666:                              ;   in Loop: Header=BB6_393 Depth=4
	s_or_saveexec_b32 s34, s34
	v_mov_b32_e32 v47, s31
	s_xor_b32 exec_lo, exec_lo, s34
	s_cbranch_execnz .LBB6_1554
.LBB6_667:                              ;   in Loop: Header=BB6_393 Depth=4
	s_or_b32 exec_lo, exec_lo, s34
	s_and_saveexec_b32 s31, s13
	s_cbranch_execz .LBB6_669
.LBB6_668:                              ;   in Loop: Header=BB6_393 Depth=4
	v_and_b32_e32 v47, 0xffff, v56
	s_delay_alu instid0(VALU_DEP_1) | instskip(NEXT) | instid1(VALU_DEP_1)
	v_and_b32_e32 v57, 7, v47
	v_clz_i32_u32_e32 v58, v57
	s_delay_alu instid0(VALU_DEP_1) | instskip(NEXT) | instid1(VALU_DEP_1)
	v_min_u32_e32 v58, 32, v58
	v_subrev_nc_u32_e32 v59, 28, v58
	v_sub_nc_u32_e32 v58, 29, v58
	s_delay_alu instid0(VALU_DEP_2) | instskip(SKIP_1) | instid1(VALU_DEP_2)
	v_lshlrev_b32_e32 v59, v59, v47
	v_bfe_u32 v47, v47, 3, 4
	v_and_b32_e32 v59, 7, v59
	s_delay_alu instid0(VALU_DEP_2) | instskip(SKIP_1) | instid1(VALU_DEP_1)
	v_cmp_eq_u32_e32 vcc_lo, 0, v47
	v_dual_cndmask_b32 v47, v47, v58 :: v_dual_lshlrev_b32 v56, 24, v56
	v_dual_cndmask_b32 v57, v57, v59 :: v_dual_and_b32 v56, 0x80000000, v56
	s_delay_alu instid0(VALU_DEP_2) | instskip(NEXT) | instid1(VALU_DEP_2)
	v_lshl_add_u32 v47, v47, 23, 0x3b800000
	v_lshlrev_b32_e32 v57, 20, v57
	s_delay_alu instid0(VALU_DEP_1)
	v_or3_b32 v47, v56, v47, v57
.LBB6_669:                              ;   in Loop: Header=BB6_393 Depth=4
	s_or_b32 exec_lo, exec_lo, s31
	v_lshrrev_b16 v56, 8, v24
	s_mov_b32 s13, 0
	s_mov_b32 s34, exec_lo
                                        ; implicit-def: $sgpr31
	s_delay_alu instid0(VALU_DEP_1)
	v_cmpx_lt_i16_e32 0x7f, v56
	s_xor_b32 s34, exec_lo, s34
	s_cbranch_execnz .LBB6_1555
; %bb.670:                              ;   in Loop: Header=BB6_393 Depth=4
	s_or_saveexec_b32 s34, s34
	v_mov_b32_e32 v57, s31
	s_xor_b32 exec_lo, exec_lo, s34
	s_cbranch_execnz .LBB6_1558
.LBB6_671:                              ;   in Loop: Header=BB6_393 Depth=4
	s_or_b32 exec_lo, exec_lo, s34
	s_and_saveexec_b32 s31, s13
	s_cbranch_execz .LBB6_673
.LBB6_672:                              ;   in Loop: Header=BB6_393 Depth=4
	v_and_b32_e32 v57, 0xffff, v56
	v_lshlrev_b32_e32 v56, 24, v56
	s_delay_alu instid0(VALU_DEP_2) | instskip(NEXT) | instid1(VALU_DEP_2)
	v_and_b32_e32 v58, 7, v57
	v_and_b32_e32 v56, 0x80000000, v56
	s_delay_alu instid0(VALU_DEP_2) | instskip(NEXT) | instid1(VALU_DEP_1)
	v_clz_i32_u32_e32 v59, v58
	v_min_u32_e32 v59, 32, v59
	s_delay_alu instid0(VALU_DEP_1) | instskip(SKIP_1) | instid1(VALU_DEP_2)
	v_subrev_nc_u32_e32 v60, 28, v59
	v_sub_nc_u32_e32 v59, 29, v59
	v_lshlrev_b32_e32 v60, v60, v57
	v_bfe_u32 v57, v57, 3, 4
	s_delay_alu instid0(VALU_DEP_2) | instskip(NEXT) | instid1(VALU_DEP_2)
	v_and_b32_e32 v60, 7, v60
	v_cmp_eq_u32_e32 vcc_lo, 0, v57
	s_delay_alu instid0(VALU_DEP_2) | instskip(NEXT) | instid1(VALU_DEP_1)
	v_dual_cndmask_b32 v57, v57, v59 :: v_dual_cndmask_b32 v58, v58, v60
	v_lshl_add_u32 v57, v57, 23, 0x3b800000
	s_delay_alu instid0(VALU_DEP_2) | instskip(NEXT) | instid1(VALU_DEP_1)
	v_lshlrev_b32_e32 v58, 20, v58
	v_or3_b32 v57, v56, v57, v58
.LBB6_673:                              ;   in Loop: Header=BB6_393 Depth=4
	s_or_b32 exec_lo, exec_lo, s31
	s_delay_alu instid0(VALU_DEP_1) | instskip(NEXT) | instid1(VALU_DEP_1)
	v_add_f32_e32 v56, v47, v57
	v_and_b32_e32 v47, 0x7f800000, v56
	s_delay_alu instid0(VALU_DEP_1)
	v_cmp_ne_u32_e32 vcc_lo, 0x7f800000, v47
	v_mov_b32_e32 v47, 0x80
	s_and_saveexec_b32 s31, vcc_lo
	s_cbranch_execz .LBB6_681
; %bb.674:                              ;   in Loop: Header=BB6_393 Depth=4
	v_mov_b32_e32 v47, 0
	s_mov_b32 s34, exec_lo
	v_cmpx_ne_u32_e32 0, v56
	s_cbranch_execz .LBB6_680
; %bb.675:                              ;   in Loop: Header=BB6_393 Depth=4
	v_bfe_u32 v47, v56, 23, 8
	s_delay_alu instid0(VALU_DEP_1) | instskip(SKIP_1) | instid1(VALU_DEP_2)
	v_sub_nc_u32_e32 v58, 0x78, v47
	v_cmp_gt_u32_e32 vcc_lo, 0x79, v47
	v_dual_cndmask_b32 v58, 0, v58 :: v_dual_and_b32 v57, 0x7fffff, v56
	s_delay_alu instid0(VALU_DEP_1) | instskip(SKIP_2) | instid1(VALU_DEP_4)
	v_or_b32_e32 v59, 0x800000, v57
	v_cmp_eq_u32_e32 vcc_lo, 0, v47
	v_add_nc_u32_e32 v47, 0xffffff89, v47
	v_cndmask_b32_e64 v58, v58, 0x77, vcc_lo
	s_delay_alu instid0(VALU_DEP_2) | instskip(SKIP_1) | instid1(VALU_DEP_3)
	v_cndmask_b32_e64 v47, v47, 0xffffff8a, vcc_lo
	v_cndmask_b32_e32 v57, v59, v57, vcc_lo
	v_lshl_add_u32 v59, 0x100000, v58, -1
	v_lshlrev_b32_e64 v62, v58, 0x80000
	s_delay_alu instid0(VALU_DEP_3) | instskip(SKIP_1) | instid1(VALU_DEP_4)
	v_lshrrev_b32_e32 v60, v58, v57
	v_add_nc_u32_e32 v58, v58, v47
	v_and_b32_e32 v57, v59, v57
	s_delay_alu instid0(VALU_DEP_3) | instskip(NEXT) | instid1(VALU_DEP_2)
	v_bfe_u32 v61, v60, 20, 1
	v_cmp_eq_u32_e64 s13, v57, v62
	s_delay_alu instid0(VALU_DEP_2) | instskip(NEXT) | instid1(VALU_DEP_1)
	v_add_nc_u32_e32 v59, -1, v61
	v_cndmask_b32_e64 v57, 0, v59, s13
	v_lshrrev_b32_e32 v59, 23, v60
	s_mov_b32 s13, exec_lo
	s_delay_alu instid0(VALU_DEP_2) | instskip(NEXT) | instid1(VALU_DEP_2)
	v_add_nc_u32_e32 v57, v57, v60
	v_xor_b32_e32 v59, 1, v59
	s_delay_alu instid0(VALU_DEP_2) | instskip(NEXT) | instid1(VALU_DEP_1)
	v_and_b32_e32 v47, 0xfffff, v57
	v_add_nc_u32_e32 v57, v47, v60
                                        ; implicit-def: $vgpr47
	s_delay_alu instid0(VALU_DEP_3)
	v_cmpx_ne_u32_e64 v58, v59
	s_xor_b32 s13, exec_lo, s13
; %bb.676:                              ;   in Loop: Header=BB6_393 Depth=4
	s_delay_alu instid0(VALU_DEP_2) | instskip(SKIP_2) | instid1(VALU_DEP_2)
	v_cmp_lt_u32_e32 vcc_lo, 0xffffff, v57
	v_sub_nc_u32_e32 v47, v58, v59
	v_cndmask_b32_e64 v58, 0, 1, vcc_lo
	v_add_co_ci_u32_e32 v47, vcc_lo, 0, v47, vcc_lo
	s_delay_alu instid0(VALU_DEP_2)
	v_lshrrev_b32_e32 v57, v58, v57
; %bb.677:                              ;   in Loop: Header=BB6_393 Depth=4
	s_and_not1_saveexec_b32 s13, s13
; %bb.678:                              ;   in Loop: Header=BB6_393 Depth=4
	s_delay_alu instid0(VALU_DEP_1)
	v_bfe_u32 v47, v57, 23, 1
; %bb.679:                              ;   in Loop: Header=BB6_393 Depth=4
	s_or_b32 exec_lo, exec_lo, s13
	v_lshrrev_b32_e32 v57, 20, v57
	s_delay_alu instid0(VALU_DEP_2) | instskip(SKIP_2) | instid1(VALU_DEP_2)
	v_cmp_gt_i32_e32 vcc_lo, 16, v47
	v_lshrrev_b32_e32 v56, 24, v56
	v_min_i32_e32 v58, 15, v47
	v_dual_cndmask_b32 v57, 7, v57 :: v_dual_and_b32 v56, 0x80, v56
	s_delay_alu instid0(VALU_DEP_1) | instskip(SKIP_1) | instid1(VALU_DEP_2)
	v_or_b32_e32 v47, v47, v57
	v_and_b32_e32 v59, 7, v57
	v_cmp_ne_u32_e32 vcc_lo, 0, v47
	v_lshlrev_b32_e32 v58, 3, v58
	s_delay_alu instid0(VALU_DEP_1) | instskip(NEXT) | instid1(VALU_DEP_1)
	v_or3_b32 v56, v58, v56, v59
	v_cndmask_b32_e32 v47, 0, v56, vcc_lo
.LBB6_680:                              ;   in Loop: Header=BB6_393 Depth=4
	s_or_b32 exec_lo, exec_lo, s34
.LBB6_681:                              ;   in Loop: Header=BB6_393 Depth=4
	s_delay_alu instid0(SALU_CYCLE_1) | instskip(SKIP_3) | instid1(VALU_DEP_1)
	s_or_b32 exec_lo, exec_lo, s31
	v_lshrrev_b32_e32 v57, 16, v32
	s_mov_b32 s13, 0
	s_mov_b32 s34, exec_lo
                                        ; implicit-def: $sgpr31
	v_and_b32_e32 v58, 0xff, v57
	s_delay_alu instid0(VALU_DEP_1)
	v_cmpx_lt_i16_e32 0x7f, v58
	s_xor_b32 s34, exec_lo, s34
	s_cbranch_execnz .LBB6_1559
; %bb.682:                              ;   in Loop: Header=BB6_393 Depth=4
	s_or_saveexec_b32 s34, s34
	v_mov_b32_e32 v56, s31
	s_xor_b32 exec_lo, exec_lo, s34
	s_cbranch_execnz .LBB6_1562
.LBB6_683:                              ;   in Loop: Header=BB6_393 Depth=4
	s_or_b32 exec_lo, exec_lo, s34
	s_and_saveexec_b32 s31, s13
	s_cbranch_execz .LBB6_685
.LBB6_684:                              ;   in Loop: Header=BB6_393 Depth=4
	v_bfe_u32 v56, v32, 16, 3
	v_lshlrev_b32_e32 v60, 8, v32
	s_delay_alu instid0(VALU_DEP_2) | instskip(NEXT) | instid1(VALU_DEP_1)
	v_clz_i32_u32_e32 v58, v56
	v_min_u32_e32 v58, 32, v58
	s_delay_alu instid0(VALU_DEP_1) | instskip(SKIP_1) | instid1(VALU_DEP_2)
	v_subrev_nc_u32_e32 v59, 28, v58
	v_sub_nc_u32_e32 v58, 29, v58
	v_lshlrev_b32_e32 v57, v59, v57
	v_bfe_u32 v59, v32, 19, 4
	s_delay_alu instid0(VALU_DEP_1) | instskip(NEXT) | instid1(VALU_DEP_3)
	v_cmp_eq_u32_e32 vcc_lo, 0, v59
	v_dual_cndmask_b32 v58, v59, v58 :: v_dual_and_b32 v57, 7, v57
	s_delay_alu instid0(VALU_DEP_1) | instskip(NEXT) | instid1(VALU_DEP_2)
	v_dual_cndmask_b32 v56, v56, v57 :: v_dual_and_b32 v57, 0x80000000, v60
	v_lshl_add_u32 v58, v58, 23, 0x3b800000
	s_delay_alu instid0(VALU_DEP_2) | instskip(NEXT) | instid1(VALU_DEP_1)
	v_lshlrev_b32_e32 v56, 20, v56
	v_or3_b32 v56, v57, v58, v56
.LBB6_685:                              ;   in Loop: Header=BB6_393 Depth=4
	s_or_b32 exec_lo, exec_lo, s31
	v_lshrrev_b32_e32 v57, 16, v24
	s_mov_b32 s13, 0
	s_mov_b32 s34, exec_lo
                                        ; implicit-def: $sgpr31
	s_delay_alu instid0(VALU_DEP_1) | instskip(NEXT) | instid1(VALU_DEP_1)
	v_and_b32_e32 v59, 0xff, v57
	v_cmpx_lt_i16_e32 0x7f, v59
	s_xor_b32 s34, exec_lo, s34
	s_cbranch_execnz .LBB6_1563
; %bb.686:                              ;   in Loop: Header=BB6_393 Depth=4
	s_or_saveexec_b32 s34, s34
	v_mov_b32_e32 v58, s31
	s_xor_b32 exec_lo, exec_lo, s34
	s_cbranch_execnz .LBB6_1566
.LBB6_687:                              ;   in Loop: Header=BB6_393 Depth=4
	s_or_b32 exec_lo, exec_lo, s34
	s_and_saveexec_b32 s31, s13
	s_cbranch_execz .LBB6_689
.LBB6_688:                              ;   in Loop: Header=BB6_393 Depth=4
	v_bfe_u32 v58, v24, 16, 3
	v_lshlrev_b32_e32 v61, 8, v24
	s_delay_alu instid0(VALU_DEP_2) | instskip(NEXT) | instid1(VALU_DEP_1)
	v_clz_i32_u32_e32 v59, v58
	v_min_u32_e32 v59, 32, v59
	s_delay_alu instid0(VALU_DEP_1) | instskip(SKIP_1) | instid1(VALU_DEP_2)
	v_subrev_nc_u32_e32 v60, 28, v59
	v_sub_nc_u32_e32 v59, 29, v59
	v_lshlrev_b32_e32 v57, v60, v57
	v_bfe_u32 v60, v24, 19, 4
	s_delay_alu instid0(VALU_DEP_2) | instskip(NEXT) | instid1(VALU_DEP_2)
	v_and_b32_e32 v57, 7, v57
	v_cmp_eq_u32_e32 vcc_lo, 0, v60
	v_cndmask_b32_e32 v59, v60, v59, vcc_lo
	s_delay_alu instid0(VALU_DEP_3) | instskip(SKIP_1) | instid1(VALU_DEP_3)
	v_cndmask_b32_e32 v57, v58, v57, vcc_lo
	v_and_b32_e32 v58, 0x80000000, v61
	v_lshl_add_u32 v59, v59, 23, 0x3b800000
	s_delay_alu instid0(VALU_DEP_3) | instskip(NEXT) | instid1(VALU_DEP_1)
	v_lshlrev_b32_e32 v57, 20, v57
	v_or3_b32 v58, v58, v59, v57
.LBB6_689:                              ;   in Loop: Header=BB6_393 Depth=4
	s_or_b32 exec_lo, exec_lo, s31
	s_delay_alu instid0(VALU_DEP_1) | instskip(NEXT) | instid1(VALU_DEP_1)
	v_add_f32_e32 v57, v56, v58
	v_and_b32_e32 v56, 0x7f800000, v57
	s_delay_alu instid0(VALU_DEP_1)
	v_cmp_ne_u32_e32 vcc_lo, 0x7f800000, v56
	v_mov_b32_e32 v56, 0x80
	s_and_saveexec_b32 s31, vcc_lo
	s_cbranch_execz .LBB6_697
; %bb.690:                              ;   in Loop: Header=BB6_393 Depth=4
	v_mov_b32_e32 v56, 0
	s_mov_b32 s34, exec_lo
	v_cmpx_ne_u32_e32 0, v57
	s_cbranch_execz .LBB6_696
; %bb.691:                              ;   in Loop: Header=BB6_393 Depth=4
	v_bfe_u32 v56, v57, 23, 8
	s_delay_alu instid0(VALU_DEP_1) | instskip(SKIP_1) | instid1(VALU_DEP_2)
	v_sub_nc_u32_e32 v59, 0x78, v56
	v_cmp_gt_u32_e32 vcc_lo, 0x79, v56
	v_dual_cndmask_b32 v59, 0, v59 :: v_dual_and_b32 v58, 0x7fffff, v57
	s_delay_alu instid0(VALU_DEP_1) | instskip(SKIP_2) | instid1(VALU_DEP_4)
	v_or_b32_e32 v60, 0x800000, v58
	v_cmp_eq_u32_e32 vcc_lo, 0, v56
	v_add_nc_u32_e32 v56, 0xffffff89, v56
	v_cndmask_b32_e64 v59, v59, 0x77, vcc_lo
	s_delay_alu instid0(VALU_DEP_2) | instskip(SKIP_1) | instid1(VALU_DEP_3)
	v_cndmask_b32_e64 v56, v56, 0xffffff8a, vcc_lo
	v_cndmask_b32_e32 v58, v60, v58, vcc_lo
	v_lshl_add_u32 v60, 0x100000, v59, -1
	v_lshlrev_b32_e64 v63, v59, 0x80000
	s_delay_alu instid0(VALU_DEP_3) | instskip(SKIP_1) | instid1(VALU_DEP_4)
	v_lshrrev_b32_e32 v61, v59, v58
	v_add_nc_u32_e32 v59, v59, v56
	v_and_b32_e32 v58, v60, v58
	s_delay_alu instid0(VALU_DEP_3) | instskip(NEXT) | instid1(VALU_DEP_2)
	v_bfe_u32 v62, v61, 20, 1
	v_cmp_eq_u32_e64 s13, v58, v63
	s_delay_alu instid0(VALU_DEP_2) | instskip(NEXT) | instid1(VALU_DEP_1)
	v_add_nc_u32_e32 v60, -1, v62
	v_cndmask_b32_e64 v58, 0, v60, s13
	v_lshrrev_b32_e32 v60, 23, v61
	s_mov_b32 s13, exec_lo
	s_delay_alu instid0(VALU_DEP_2) | instskip(NEXT) | instid1(VALU_DEP_2)
	v_add_nc_u32_e32 v58, v58, v61
	v_xor_b32_e32 v60, 1, v60
	s_delay_alu instid0(VALU_DEP_2) | instskip(NEXT) | instid1(VALU_DEP_1)
	v_and_b32_e32 v56, 0xfffff, v58
	v_add_nc_u32_e32 v58, v56, v61
                                        ; implicit-def: $vgpr56
	s_delay_alu instid0(VALU_DEP_3)
	v_cmpx_ne_u32_e64 v59, v60
	s_xor_b32 s13, exec_lo, s13
; %bb.692:                              ;   in Loop: Header=BB6_393 Depth=4
	s_delay_alu instid0(VALU_DEP_2) | instskip(SKIP_2) | instid1(VALU_DEP_2)
	v_cmp_lt_u32_e32 vcc_lo, 0xffffff, v58
	v_sub_nc_u32_e32 v56, v59, v60
	v_cndmask_b32_e64 v59, 0, 1, vcc_lo
	v_add_co_ci_u32_e32 v56, vcc_lo, 0, v56, vcc_lo
	s_delay_alu instid0(VALU_DEP_2)
	v_lshrrev_b32_e32 v58, v59, v58
; %bb.693:                              ;   in Loop: Header=BB6_393 Depth=4
	s_and_not1_saveexec_b32 s13, s13
; %bb.694:                              ;   in Loop: Header=BB6_393 Depth=4
	s_delay_alu instid0(VALU_DEP_1)
	v_bfe_u32 v56, v58, 23, 1
; %bb.695:                              ;   in Loop: Header=BB6_393 Depth=4
	s_or_b32 exec_lo, exec_lo, s13
	v_lshrrev_b32_e32 v58, 20, v58
	s_delay_alu instid0(VALU_DEP_2) | instskip(SKIP_2) | instid1(VALU_DEP_2)
	v_cmp_gt_i32_e32 vcc_lo, 16, v56
	v_lshrrev_b32_e32 v57, 24, v57
	v_min_i32_e32 v59, 15, v56
	v_dual_cndmask_b32 v58, 7, v58 :: v_dual_and_b32 v57, 0x80, v57
	s_delay_alu instid0(VALU_DEP_1) | instskip(SKIP_1) | instid1(VALU_DEP_2)
	v_or_b32_e32 v56, v56, v58
	v_and_b32_e32 v60, 7, v58
	v_cmp_ne_u32_e32 vcc_lo, 0, v56
	v_lshlrev_b32_e32 v59, 3, v59
	s_delay_alu instid0(VALU_DEP_1) | instskip(NEXT) | instid1(VALU_DEP_1)
	v_or3_b32 v57, v59, v57, v60
	v_cndmask_b32_e32 v56, 0, v57, vcc_lo
.LBB6_696:                              ;   in Loop: Header=BB6_393 Depth=4
	s_or_b32 exec_lo, exec_lo, s34
.LBB6_697:                              ;   in Loop: Header=BB6_393 Depth=4
	s_delay_alu instid0(SALU_CYCLE_1) | instskip(SKIP_3) | instid1(VALU_DEP_1)
	s_or_b32 exec_lo, exec_lo, s31
	v_lshrrev_b32_e32 v58, 24, v32
	s_mov_b32 s13, 0
	s_mov_b32 s34, exec_lo
                                        ; implicit-def: $sgpr31
	v_cmpx_lt_i16_e32 0x7f, v58
	s_xor_b32 s34, exec_lo, s34
	s_cbranch_execnz .LBB6_1567
; %bb.698:                              ;   in Loop: Header=BB6_393 Depth=4
	s_or_saveexec_b32 s34, s34
	v_mov_b32_e32 v57, s31
	s_xor_b32 exec_lo, exec_lo, s34
	s_cbranch_execnz .LBB6_1570
.LBB6_699:                              ;   in Loop: Header=BB6_393 Depth=4
	s_or_b32 exec_lo, exec_lo, s34
	s_and_saveexec_b32 s31, s13
	s_cbranch_execz .LBB6_701
.LBB6_700:                              ;   in Loop: Header=BB6_393 Depth=4
	v_bfe_u32 v57, v32, 24, 3
	s_delay_alu instid0(VALU_DEP_1) | instskip(NEXT) | instid1(VALU_DEP_1)
	v_clz_i32_u32_e32 v59, v57
	v_min_u32_e32 v59, 32, v59
	s_delay_alu instid0(VALU_DEP_1) | instskip(SKIP_1) | instid1(VALU_DEP_2)
	v_subrev_nc_u32_e32 v60, 28, v59
	v_sub_nc_u32_e32 v59, 29, v59
	v_lshlrev_b32_e32 v58, v60, v58
	v_bfe_u32 v60, v32, 27, 4
	v_and_b32_e32 v32, 0x80000000, v32
	s_delay_alu instid0(VALU_DEP_2) | instskip(NEXT) | instid1(VALU_DEP_4)
	v_cmp_eq_u32_e32 vcc_lo, 0, v60
	v_dual_cndmask_b32 v59, v60, v59 :: v_dual_and_b32 v58, 7, v58
	s_delay_alu instid0(VALU_DEP_1) | instskip(NEXT) | instid1(VALU_DEP_2)
	v_cndmask_b32_e32 v57, v57, v58, vcc_lo
	v_lshl_add_u32 v58, v59, 23, 0x3b800000
	s_delay_alu instid0(VALU_DEP_2) | instskip(NEXT) | instid1(VALU_DEP_1)
	v_lshlrev_b32_e32 v57, 20, v57
	v_or3_b32 v57, v32, v58, v57
.LBB6_701:                              ;   in Loop: Header=BB6_393 Depth=4
	s_or_b32 exec_lo, exec_lo, s31
	v_lshrrev_b32_e32 v32, 24, v24
	s_mov_b32 s13, 0
	s_mov_b32 s34, exec_lo
                                        ; implicit-def: $sgpr31
	s_delay_alu instid0(VALU_DEP_1)
	v_cmpx_lt_i16_e32 0x7f, v32
	s_xor_b32 s34, exec_lo, s34
	s_cbranch_execnz .LBB6_1571
; %bb.702:                              ;   in Loop: Header=BB6_393 Depth=4
	s_or_saveexec_b32 s34, s34
	v_mov_b32_e32 v58, s31
	s_xor_b32 exec_lo, exec_lo, s34
	s_cbranch_execnz .LBB6_1574
.LBB6_703:                              ;   in Loop: Header=BB6_393 Depth=4
	s_or_b32 exec_lo, exec_lo, s34
	s_and_saveexec_b32 s31, s13
	s_cbranch_execz .LBB6_705
.LBB6_704:                              ;   in Loop: Header=BB6_393 Depth=4
	v_bfe_u32 v58, v24, 24, 3
	s_delay_alu instid0(VALU_DEP_1) | instskip(NEXT) | instid1(VALU_DEP_1)
	v_clz_i32_u32_e32 v59, v58
	v_min_u32_e32 v59, 32, v59
	s_delay_alu instid0(VALU_DEP_1) | instskip(SKIP_1) | instid1(VALU_DEP_2)
	v_subrev_nc_u32_e32 v60, 28, v59
	v_sub_nc_u32_e32 v59, 29, v59
	v_lshlrev_b32_e32 v32, v60, v32
	v_bfe_u32 v60, v24, 27, 4
	v_and_b32_e32 v24, 0x80000000, v24
	s_delay_alu instid0(VALU_DEP_2) | instskip(NEXT) | instid1(VALU_DEP_4)
	v_cmp_eq_u32_e32 vcc_lo, 0, v60
	v_dual_cndmask_b32 v59, v60, v59 :: v_dual_and_b32 v32, 7, v32
	s_delay_alu instid0(VALU_DEP_1) | instskip(NEXT) | instid1(VALU_DEP_2)
	v_cndmask_b32_e32 v32, v58, v32, vcc_lo
	v_lshl_add_u32 v58, v59, 23, 0x3b800000
	s_delay_alu instid0(VALU_DEP_2) | instskip(NEXT) | instid1(VALU_DEP_1)
	v_lshlrev_b32_e32 v32, 20, v32
	v_or3_b32 v58, v24, v58, v32
.LBB6_705:                              ;   in Loop: Header=BB6_393 Depth=4
	s_or_b32 exec_lo, exec_lo, s31
	s_delay_alu instid0(VALU_DEP_1) | instskip(NEXT) | instid1(VALU_DEP_1)
	v_add_f32_e32 v32, v57, v58
	v_and_b32_e32 v24, 0x7f800000, v32
	s_delay_alu instid0(VALU_DEP_1)
	v_cmp_ne_u32_e32 vcc_lo, 0x7f800000, v24
	v_mov_b32_e32 v24, 0x80
	s_and_saveexec_b32 s31, vcc_lo
	s_cbranch_execz .LBB6_713
; %bb.706:                              ;   in Loop: Header=BB6_393 Depth=4
	v_mov_b32_e32 v24, 0
	s_mov_b32 s34, exec_lo
	v_cmpx_ne_u32_e32 0, v32
	s_cbranch_execz .LBB6_712
; %bb.707:                              ;   in Loop: Header=BB6_393 Depth=4
	v_bfe_u32 v24, v32, 23, 8
	s_delay_alu instid0(VALU_DEP_1) | instskip(SKIP_1) | instid1(VALU_DEP_2)
	v_sub_nc_u32_e32 v58, 0x78, v24
	v_cmp_gt_u32_e32 vcc_lo, 0x79, v24
	v_dual_cndmask_b32 v58, 0, v58 :: v_dual_and_b32 v57, 0x7fffff, v32
	s_delay_alu instid0(VALU_DEP_1) | instskip(SKIP_2) | instid1(VALU_DEP_4)
	v_or_b32_e32 v59, 0x800000, v57
	v_cmp_eq_u32_e32 vcc_lo, 0, v24
	v_add_nc_u32_e32 v24, 0xffffff89, v24
	v_cndmask_b32_e64 v58, v58, 0x77, vcc_lo
	s_delay_alu instid0(VALU_DEP_4) | instskip(NEXT) | instid1(VALU_DEP_3)
	v_cndmask_b32_e32 v57, v59, v57, vcc_lo
	v_cndmask_b32_e64 v24, v24, 0xffffff8a, vcc_lo
	s_delay_alu instid0(VALU_DEP_3) | instskip(NEXT) | instid1(VALU_DEP_3)
	v_lshl_add_u32 v59, 0x100000, v58, -1
	v_lshrrev_b32_e32 v60, v58, v57
	v_lshlrev_b32_e64 v62, v58, 0x80000
	s_delay_alu instid0(VALU_DEP_4) | instskip(NEXT) | instid1(VALU_DEP_4)
	v_add_nc_u32_e32 v58, v58, v24
	v_and_b32_e32 v57, v59, v57
	s_delay_alu instid0(VALU_DEP_4) | instskip(NEXT) | instid1(VALU_DEP_2)
	v_bfe_u32 v61, v60, 20, 1
	v_cmp_eq_u32_e64 s13, v57, v62
	s_delay_alu instid0(VALU_DEP_2) | instskip(NEXT) | instid1(VALU_DEP_1)
	v_add_nc_u32_e32 v59, -1, v61
	v_cndmask_b32_e64 v57, 0, v59, s13
	v_lshrrev_b32_e32 v59, 23, v60
	s_mov_b32 s13, exec_lo
	s_delay_alu instid0(VALU_DEP_2) | instskip(NEXT) | instid1(VALU_DEP_2)
	v_add_nc_u32_e32 v57, v57, v60
	v_xor_b32_e32 v59, 1, v59
	s_delay_alu instid0(VALU_DEP_2) | instskip(NEXT) | instid1(VALU_DEP_1)
	v_and_b32_e32 v24, 0xfffff, v57
	v_add_nc_u32_e32 v57, v24, v60
                                        ; implicit-def: $vgpr24
	s_delay_alu instid0(VALU_DEP_3)
	v_cmpx_ne_u32_e64 v58, v59
	s_xor_b32 s13, exec_lo, s13
; %bb.708:                              ;   in Loop: Header=BB6_393 Depth=4
	s_delay_alu instid0(VALU_DEP_2) | instskip(SKIP_2) | instid1(VALU_DEP_2)
	v_cmp_lt_u32_e32 vcc_lo, 0xffffff, v57
	v_sub_nc_u32_e32 v24, v58, v59
	v_cndmask_b32_e64 v58, 0, 1, vcc_lo
	v_add_co_ci_u32_e32 v24, vcc_lo, 0, v24, vcc_lo
	s_delay_alu instid0(VALU_DEP_2)
	v_lshrrev_b32_e32 v57, v58, v57
; %bb.709:                              ;   in Loop: Header=BB6_393 Depth=4
	s_and_not1_saveexec_b32 s13, s13
; %bb.710:                              ;   in Loop: Header=BB6_393 Depth=4
	s_delay_alu instid0(VALU_DEP_1)
	v_bfe_u32 v24, v57, 23, 1
; %bb.711:                              ;   in Loop: Header=BB6_393 Depth=4
	s_or_b32 exec_lo, exec_lo, s13
	v_lshrrev_b32_e32 v57, 20, v57
	s_delay_alu instid0(VALU_DEP_2) | instskip(SKIP_2) | instid1(VALU_DEP_2)
	v_cmp_gt_i32_e32 vcc_lo, 16, v24
	v_lshrrev_b32_e32 v32, 24, v32
	v_min_i32_e32 v58, 15, v24
	v_dual_cndmask_b32 v57, 7, v57 :: v_dual_and_b32 v32, 0x80, v32
	s_delay_alu instid0(VALU_DEP_2) | instskip(NEXT) | instid1(VALU_DEP_2)
	v_lshlrev_b32_e32 v58, 3, v58
	v_or_b32_e32 v24, v24, v57
	s_delay_alu instid0(VALU_DEP_1) | instskip(SKIP_1) | instid1(VALU_DEP_1)
	v_cmp_ne_u32_e32 vcc_lo, 0, v24
	v_and_b32_e32 v59, 7, v57
	v_or3_b32 v32, v58, v32, v59
	s_delay_alu instid0(VALU_DEP_1)
	v_cndmask_b32_e32 v24, 0, v32, vcc_lo
.LBB6_712:                              ;   in Loop: Header=BB6_393 Depth=4
	s_or_b32 exec_lo, exec_lo, s34
.LBB6_713:                              ;   in Loop: Header=BB6_393 Depth=4
	s_delay_alu instid0(SALU_CYCLE_1) | instskip(SKIP_3) | instid1(VALU_DEP_1)
	s_or_b32 exec_lo, exec_lo, s31
	v_and_b32_e32 v57, 0xff, v33
	s_mov_b32 s13, 0
	s_mov_b32 s34, exec_lo
                                        ; implicit-def: $sgpr31
	v_cmpx_lt_i16_e32 0x7f, v57
	s_xor_b32 s34, exec_lo, s34
	s_cbranch_execnz .LBB6_1575
; %bb.714:                              ;   in Loop: Header=BB6_393 Depth=4
	s_or_saveexec_b32 s34, s34
	v_mov_b32_e32 v32, s31
	s_xor_b32 exec_lo, exec_lo, s34
	s_cbranch_execnz .LBB6_1578
.LBB6_715:                              ;   in Loop: Header=BB6_393 Depth=4
	s_or_b32 exec_lo, exec_lo, s34
	s_and_saveexec_b32 s31, s13
	s_cbranch_execz .LBB6_717
.LBB6_716:                              ;   in Loop: Header=BB6_393 Depth=4
	v_and_b32_e32 v32, 7, v33
	v_bfe_u32 v59, v33, 3, 4
	v_lshlrev_b32_e32 v60, 24, v33
	s_delay_alu instid0(VALU_DEP_3) | instskip(NEXT) | instid1(VALU_DEP_3)
	v_clz_i32_u32_e32 v57, v32
	v_cmp_eq_u32_e32 vcc_lo, 0, v59
	s_delay_alu instid0(VALU_DEP_2) | instskip(NEXT) | instid1(VALU_DEP_1)
	v_min_u32_e32 v57, 32, v57
	v_subrev_nc_u32_e32 v58, 28, v57
	v_sub_nc_u32_e32 v57, 29, v57
	s_delay_alu instid0(VALU_DEP_2) | instskip(NEXT) | instid1(VALU_DEP_1)
	v_lshlrev_b32_e32 v58, v58, v33
	v_dual_cndmask_b32 v57, v59, v57 :: v_dual_and_b32 v58, 7, v58
	s_delay_alu instid0(VALU_DEP_1) | instskip(NEXT) | instid1(VALU_DEP_2)
	v_lshl_add_u32 v57, v57, 23, 0x3b800000
	v_cndmask_b32_e32 v32, v32, v58, vcc_lo
	v_and_b32_e32 v58, 0x80000000, v60
	s_delay_alu instid0(VALU_DEP_2) | instskip(NEXT) | instid1(VALU_DEP_1)
	v_lshlrev_b32_e32 v32, 20, v32
	v_or3_b32 v32, v58, v57, v32
.LBB6_717:                              ;   in Loop: Header=BB6_393 Depth=4
	s_or_b32 exec_lo, exec_lo, s31
	v_and_b32_e32 v58, 0xff, v25
	s_mov_b32 s13, 0
	s_mov_b32 s34, exec_lo
                                        ; implicit-def: $sgpr31
	s_delay_alu instid0(VALU_DEP_1)
	v_cmpx_lt_i16_e32 0x7f, v58
	s_xor_b32 s34, exec_lo, s34
	s_cbranch_execnz .LBB6_1579
; %bb.718:                              ;   in Loop: Header=BB6_393 Depth=4
	s_or_saveexec_b32 s34, s34
	v_mov_b32_e32 v57, s31
	s_xor_b32 exec_lo, exec_lo, s34
	s_cbranch_execnz .LBB6_1582
.LBB6_719:                              ;   in Loop: Header=BB6_393 Depth=4
	s_or_b32 exec_lo, exec_lo, s34
	s_and_saveexec_b32 s31, s13
	s_cbranch_execz .LBB6_721
.LBB6_720:                              ;   in Loop: Header=BB6_393 Depth=4
	v_bfe_u32 v60, v25, 3, 4
	v_lshlrev_b32_e32 v61, 24, v25
	s_delay_alu instid0(VALU_DEP_2) | instskip(SKIP_1) | instid1(VALU_DEP_1)
	v_cmp_eq_u32_e32 vcc_lo, 0, v60
	v_and_b32_e32 v57, 7, v25
	v_clz_i32_u32_e32 v58, v57
	s_delay_alu instid0(VALU_DEP_1) | instskip(NEXT) | instid1(VALU_DEP_1)
	v_min_u32_e32 v58, 32, v58
	v_subrev_nc_u32_e32 v59, 28, v58
	v_sub_nc_u32_e32 v58, 29, v58
	s_delay_alu instid0(VALU_DEP_1) | instskip(NEXT) | instid1(VALU_DEP_1)
	v_dual_cndmask_b32 v58, v60, v58 :: v_dual_lshlrev_b32 v59, v59, v25
	v_and_b32_e32 v59, 7, v59
	s_delay_alu instid0(VALU_DEP_2) | instskip(NEXT) | instid1(VALU_DEP_2)
	v_lshl_add_u32 v58, v58, 23, 0x3b800000
	v_cndmask_b32_e32 v57, v57, v59, vcc_lo
	v_and_b32_e32 v59, 0x80000000, v61
	s_delay_alu instid0(VALU_DEP_2) | instskip(NEXT) | instid1(VALU_DEP_1)
	v_lshlrev_b32_e32 v57, 20, v57
	v_or3_b32 v57, v59, v58, v57
.LBB6_721:                              ;   in Loop: Header=BB6_393 Depth=4
	s_or_b32 exec_lo, exec_lo, s31
	s_delay_alu instid0(VALU_DEP_1) | instskip(NEXT) | instid1(VALU_DEP_1)
	v_add_f32_e32 v57, v32, v57
	v_and_b32_e32 v32, 0x7f800000, v57
	s_delay_alu instid0(VALU_DEP_1)
	v_cmp_ne_u32_e32 vcc_lo, 0x7f800000, v32
	v_mov_b32_e32 v32, 0x80
	s_and_saveexec_b32 s31, vcc_lo
	s_cbranch_execz .LBB6_729
; %bb.722:                              ;   in Loop: Header=BB6_393 Depth=4
	v_mov_b32_e32 v32, 0
	s_mov_b32 s34, exec_lo
	v_cmpx_ne_u32_e32 0, v57
	s_cbranch_execz .LBB6_728
; %bb.723:                              ;   in Loop: Header=BB6_393 Depth=4
	v_bfe_u32 v32, v57, 23, 8
	s_delay_alu instid0(VALU_DEP_1) | instskip(SKIP_1) | instid1(VALU_DEP_2)
	v_sub_nc_u32_e32 v59, 0x78, v32
	v_cmp_gt_u32_e32 vcc_lo, 0x79, v32
	v_dual_cndmask_b32 v59, 0, v59 :: v_dual_and_b32 v58, 0x7fffff, v57
	s_delay_alu instid0(VALU_DEP_1) | instskip(SKIP_2) | instid1(VALU_DEP_4)
	v_or_b32_e32 v60, 0x800000, v58
	v_cmp_eq_u32_e32 vcc_lo, 0, v32
	v_add_nc_u32_e32 v32, 0xffffff89, v32
	v_cndmask_b32_e64 v59, v59, 0x77, vcc_lo
	s_delay_alu instid0(VALU_DEP_2) | instskip(SKIP_1) | instid1(VALU_DEP_3)
	v_cndmask_b32_e64 v32, v32, 0xffffff8a, vcc_lo
	v_cndmask_b32_e32 v58, v60, v58, vcc_lo
	v_lshl_add_u32 v60, 0x100000, v59, -1
	v_lshlrev_b32_e64 v63, v59, 0x80000
	s_delay_alu instid0(VALU_DEP_3) | instskip(SKIP_1) | instid1(VALU_DEP_4)
	v_lshrrev_b32_e32 v61, v59, v58
	v_add_nc_u32_e32 v59, v59, v32
	v_and_b32_e32 v58, v60, v58
	s_delay_alu instid0(VALU_DEP_3) | instskip(NEXT) | instid1(VALU_DEP_2)
	v_bfe_u32 v62, v61, 20, 1
	v_cmp_eq_u32_e64 s13, v58, v63
	s_delay_alu instid0(VALU_DEP_2) | instskip(NEXT) | instid1(VALU_DEP_1)
	v_add_nc_u32_e32 v60, -1, v62
	v_cndmask_b32_e64 v58, 0, v60, s13
	v_lshrrev_b32_e32 v60, 23, v61
	s_mov_b32 s13, exec_lo
	s_delay_alu instid0(VALU_DEP_2) | instskip(NEXT) | instid1(VALU_DEP_2)
	v_add_nc_u32_e32 v58, v58, v61
	v_xor_b32_e32 v60, 1, v60
	s_delay_alu instid0(VALU_DEP_2) | instskip(NEXT) | instid1(VALU_DEP_1)
	v_and_b32_e32 v32, 0xfffff, v58
	v_add_nc_u32_e32 v58, v32, v61
                                        ; implicit-def: $vgpr32
	s_delay_alu instid0(VALU_DEP_3)
	v_cmpx_ne_u32_e64 v59, v60
	s_xor_b32 s13, exec_lo, s13
; %bb.724:                              ;   in Loop: Header=BB6_393 Depth=4
	s_delay_alu instid0(VALU_DEP_2) | instskip(SKIP_2) | instid1(VALU_DEP_2)
	v_cmp_lt_u32_e32 vcc_lo, 0xffffff, v58
	v_sub_nc_u32_e32 v32, v59, v60
	v_cndmask_b32_e64 v59, 0, 1, vcc_lo
	v_add_co_ci_u32_e32 v32, vcc_lo, 0, v32, vcc_lo
	s_delay_alu instid0(VALU_DEP_2)
	v_lshrrev_b32_e32 v58, v59, v58
; %bb.725:                              ;   in Loop: Header=BB6_393 Depth=4
	s_and_not1_saveexec_b32 s13, s13
; %bb.726:                              ;   in Loop: Header=BB6_393 Depth=4
	s_delay_alu instid0(VALU_DEP_1)
	v_bfe_u32 v32, v58, 23, 1
; %bb.727:                              ;   in Loop: Header=BB6_393 Depth=4
	s_or_b32 exec_lo, exec_lo, s13
	v_lshrrev_b32_e32 v58, 20, v58
	s_delay_alu instid0(VALU_DEP_2) | instskip(SKIP_2) | instid1(VALU_DEP_2)
	v_cmp_gt_i32_e32 vcc_lo, 16, v32
	v_lshrrev_b32_e32 v57, 24, v57
	v_min_i32_e32 v59, 15, v32
	v_dual_cndmask_b32 v58, 7, v58 :: v_dual_and_b32 v57, 0x80, v57
	s_delay_alu instid0(VALU_DEP_1) | instskip(SKIP_1) | instid1(VALU_DEP_2)
	v_or_b32_e32 v32, v32, v58
	v_and_b32_e32 v60, 7, v58
	v_cmp_ne_u32_e32 vcc_lo, 0, v32
	v_lshlrev_b32_e32 v59, 3, v59
	s_delay_alu instid0(VALU_DEP_1) | instskip(NEXT) | instid1(VALU_DEP_1)
	v_or3_b32 v57, v59, v57, v60
	v_cndmask_b32_e32 v32, 0, v57, vcc_lo
.LBB6_728:                              ;   in Loop: Header=BB6_393 Depth=4
	s_or_b32 exec_lo, exec_lo, s34
.LBB6_729:                              ;   in Loop: Header=BB6_393 Depth=4
	s_delay_alu instid0(SALU_CYCLE_1) | instskip(SKIP_3) | instid1(VALU_DEP_1)
	s_or_b32 exec_lo, exec_lo, s31
	v_lshrrev_b16 v58, 8, v33
	s_mov_b32 s13, 0
	s_mov_b32 s34, exec_lo
                                        ; implicit-def: $sgpr31
	v_cmpx_lt_i16_e32 0x7f, v58
	s_xor_b32 s34, exec_lo, s34
	s_cbranch_execnz .LBB6_1583
; %bb.730:                              ;   in Loop: Header=BB6_393 Depth=4
	s_or_saveexec_b32 s34, s34
	v_mov_b32_e32 v57, s31
	s_xor_b32 exec_lo, exec_lo, s34
	s_cbranch_execnz .LBB6_1586
.LBB6_731:                              ;   in Loop: Header=BB6_393 Depth=4
	s_or_b32 exec_lo, exec_lo, s34
	s_and_saveexec_b32 s31, s13
	s_cbranch_execz .LBB6_733
.LBB6_732:                              ;   in Loop: Header=BB6_393 Depth=4
	v_and_b32_e32 v57, 0xffff, v58
	s_delay_alu instid0(VALU_DEP_1) | instskip(NEXT) | instid1(VALU_DEP_1)
	v_and_b32_e32 v59, 7, v57
	v_clz_i32_u32_e32 v60, v59
	s_delay_alu instid0(VALU_DEP_1) | instskip(NEXT) | instid1(VALU_DEP_1)
	v_min_u32_e32 v60, 32, v60
	v_subrev_nc_u32_e32 v61, 28, v60
	v_sub_nc_u32_e32 v60, 29, v60
	s_delay_alu instid0(VALU_DEP_2) | instskip(SKIP_1) | instid1(VALU_DEP_2)
	v_lshlrev_b32_e32 v61, v61, v57
	v_bfe_u32 v57, v57, 3, 4
	v_and_b32_e32 v61, 7, v61
	s_delay_alu instid0(VALU_DEP_2) | instskip(SKIP_1) | instid1(VALU_DEP_1)
	v_cmp_eq_u32_e32 vcc_lo, 0, v57
	v_dual_cndmask_b32 v57, v57, v60 :: v_dual_lshlrev_b32 v58, 24, v58
	v_dual_cndmask_b32 v59, v59, v61 :: v_dual_and_b32 v58, 0x80000000, v58
	s_delay_alu instid0(VALU_DEP_2) | instskip(NEXT) | instid1(VALU_DEP_2)
	v_lshl_add_u32 v57, v57, 23, 0x3b800000
	v_lshlrev_b32_e32 v59, 20, v59
	s_delay_alu instid0(VALU_DEP_1)
	v_or3_b32 v57, v58, v57, v59
.LBB6_733:                              ;   in Loop: Header=BB6_393 Depth=4
	s_or_b32 exec_lo, exec_lo, s31
	v_lshrrev_b16 v58, 8, v25
	s_mov_b32 s13, 0
	s_mov_b32 s34, exec_lo
                                        ; implicit-def: $sgpr31
	s_delay_alu instid0(VALU_DEP_1)
	v_cmpx_lt_i16_e32 0x7f, v58
	s_xor_b32 s34, exec_lo, s34
	s_cbranch_execnz .LBB6_1587
; %bb.734:                              ;   in Loop: Header=BB6_393 Depth=4
	s_or_saveexec_b32 s34, s34
	v_mov_b32_e32 v59, s31
	s_xor_b32 exec_lo, exec_lo, s34
	s_cbranch_execnz .LBB6_1590
.LBB6_735:                              ;   in Loop: Header=BB6_393 Depth=4
	s_or_b32 exec_lo, exec_lo, s34
	s_and_saveexec_b32 s31, s13
	s_cbranch_execz .LBB6_737
.LBB6_736:                              ;   in Loop: Header=BB6_393 Depth=4
	v_and_b32_e32 v59, 0xffff, v58
	v_lshlrev_b32_e32 v58, 24, v58
	s_delay_alu instid0(VALU_DEP_2) | instskip(NEXT) | instid1(VALU_DEP_2)
	v_and_b32_e32 v60, 7, v59
	v_and_b32_e32 v58, 0x80000000, v58
	s_delay_alu instid0(VALU_DEP_2) | instskip(NEXT) | instid1(VALU_DEP_1)
	v_clz_i32_u32_e32 v61, v60
	v_min_u32_e32 v61, 32, v61
	s_delay_alu instid0(VALU_DEP_1) | instskip(SKIP_1) | instid1(VALU_DEP_2)
	v_subrev_nc_u32_e32 v62, 28, v61
	v_sub_nc_u32_e32 v61, 29, v61
	v_lshlrev_b32_e32 v62, v62, v59
	v_bfe_u32 v59, v59, 3, 4
	s_delay_alu instid0(VALU_DEP_2) | instskip(NEXT) | instid1(VALU_DEP_2)
	v_and_b32_e32 v62, 7, v62
	v_cmp_eq_u32_e32 vcc_lo, 0, v59
	s_delay_alu instid0(VALU_DEP_2) | instskip(NEXT) | instid1(VALU_DEP_1)
	v_dual_cndmask_b32 v59, v59, v61 :: v_dual_cndmask_b32 v60, v60, v62
	v_lshl_add_u32 v59, v59, 23, 0x3b800000
	s_delay_alu instid0(VALU_DEP_2) | instskip(NEXT) | instid1(VALU_DEP_1)
	v_lshlrev_b32_e32 v60, 20, v60
	v_or3_b32 v59, v58, v59, v60
.LBB6_737:                              ;   in Loop: Header=BB6_393 Depth=4
	s_or_b32 exec_lo, exec_lo, s31
	s_delay_alu instid0(VALU_DEP_1) | instskip(NEXT) | instid1(VALU_DEP_1)
	v_add_f32_e32 v58, v57, v59
	v_and_b32_e32 v57, 0x7f800000, v58
	s_delay_alu instid0(VALU_DEP_1)
	v_cmp_ne_u32_e32 vcc_lo, 0x7f800000, v57
	v_mov_b32_e32 v57, 0x8000
	s_and_saveexec_b32 s31, vcc_lo
	s_cbranch_execz .LBB6_745
; %bb.738:                              ;   in Loop: Header=BB6_393 Depth=4
	v_mov_b32_e32 v57, 0
	s_mov_b32 s34, exec_lo
	v_cmpx_ne_u32_e32 0, v58
	s_cbranch_execz .LBB6_744
; %bb.739:                              ;   in Loop: Header=BB6_393 Depth=4
	v_bfe_u32 v57, v58, 23, 8
	s_delay_alu instid0(VALU_DEP_1) | instskip(SKIP_1) | instid1(VALU_DEP_2)
	v_sub_nc_u32_e32 v60, 0x78, v57
	v_cmp_gt_u32_e32 vcc_lo, 0x79, v57
	v_dual_cndmask_b32 v60, 0, v60 :: v_dual_and_b32 v59, 0x7fffff, v58
	s_delay_alu instid0(VALU_DEP_1) | instskip(SKIP_2) | instid1(VALU_DEP_4)
	v_or_b32_e32 v61, 0x800000, v59
	v_cmp_eq_u32_e32 vcc_lo, 0, v57
	v_add_nc_u32_e32 v57, 0xffffff89, v57
	v_cndmask_b32_e64 v60, v60, 0x77, vcc_lo
	s_delay_alu instid0(VALU_DEP_2) | instskip(SKIP_1) | instid1(VALU_DEP_3)
	v_cndmask_b32_e64 v57, v57, 0xffffff8a, vcc_lo
	v_cndmask_b32_e32 v59, v61, v59, vcc_lo
	v_lshl_add_u32 v61, 0x100000, v60, -1
	v_lshlrev_b32_e64 v72, v60, 0x80000
	s_delay_alu instid0(VALU_DEP_3) | instskip(SKIP_1) | instid1(VALU_DEP_4)
	v_lshrrev_b32_e32 v62, v60, v59
	v_add_nc_u32_e32 v60, v60, v57
	v_and_b32_e32 v59, v61, v59
	s_delay_alu instid0(VALU_DEP_3) | instskip(NEXT) | instid1(VALU_DEP_2)
	v_bfe_u32 v63, v62, 20, 1
	v_cmp_eq_u32_e64 s13, v59, v72
	s_delay_alu instid0(VALU_DEP_2) | instskip(NEXT) | instid1(VALU_DEP_1)
	v_add_nc_u32_e32 v61, -1, v63
	v_cndmask_b32_e64 v59, 0, v61, s13
	v_lshrrev_b32_e32 v61, 23, v62
	s_mov_b32 s13, exec_lo
	s_delay_alu instid0(VALU_DEP_2) | instskip(NEXT) | instid1(VALU_DEP_2)
	v_add_nc_u32_e32 v59, v59, v62
	v_xor_b32_e32 v61, 1, v61
	s_delay_alu instid0(VALU_DEP_2) | instskip(NEXT) | instid1(VALU_DEP_1)
	v_and_b32_e32 v57, 0xfffff, v59
	v_add_nc_u32_e32 v59, v57, v62
                                        ; implicit-def: $vgpr57
	s_delay_alu instid0(VALU_DEP_3)
	v_cmpx_ne_u32_e64 v60, v61
	s_xor_b32 s13, exec_lo, s13
; %bb.740:                              ;   in Loop: Header=BB6_393 Depth=4
	s_delay_alu instid0(VALU_DEP_2) | instskip(SKIP_2) | instid1(VALU_DEP_2)
	v_cmp_lt_u32_e32 vcc_lo, 0xffffff, v59
	v_sub_nc_u32_e32 v57, v60, v61
	v_cndmask_b32_e64 v60, 0, 1, vcc_lo
	v_add_co_ci_u32_e32 v57, vcc_lo, 0, v57, vcc_lo
	s_delay_alu instid0(VALU_DEP_2)
	v_lshrrev_b32_e32 v59, v60, v59
; %bb.741:                              ;   in Loop: Header=BB6_393 Depth=4
	s_and_not1_saveexec_b32 s13, s13
; %bb.742:                              ;   in Loop: Header=BB6_393 Depth=4
	s_delay_alu instid0(VALU_DEP_1)
	v_bfe_u32 v57, v59, 23, 1
; %bb.743:                              ;   in Loop: Header=BB6_393 Depth=4
	s_or_b32 exec_lo, exec_lo, s13
	v_lshrrev_b32_e32 v59, 20, v59
	s_delay_alu instid0(VALU_DEP_2) | instskip(SKIP_2) | instid1(VALU_DEP_2)
	v_cmp_gt_i32_e32 vcc_lo, 16, v57
	v_min_i32_e32 v60, 15, v57
	v_lshrrev_b32_e32 v58, 24, v58
	v_dual_cndmask_b32 v59, 7, v59 :: v_dual_lshlrev_b32 v60, 3, v60
	s_delay_alu instid0(VALU_DEP_2) | instskip(NEXT) | instid1(VALU_DEP_2)
	v_and_b32_e32 v58, 0x80, v58
	v_or_b32_e32 v57, v57, v59
	v_and_b32_e32 v61, 7, v59
	s_delay_alu instid0(VALU_DEP_2) | instskip(SKIP_1) | instid1(VALU_DEP_1)
	v_cmp_ne_u32_e32 vcc_lo, 0, v57
	v_and_b32_e32 v60, 0xf8, v60
	v_or3_b32 v58, v58, v60, v61
	s_delay_alu instid0(VALU_DEP_1) | instskip(NEXT) | instid1(VALU_DEP_1)
	v_lshlrev_b32_e32 v58, 8, v58
	v_cndmask_b32_e32 v57, 0, v58, vcc_lo
.LBB6_744:                              ;   in Loop: Header=BB6_393 Depth=4
	s_or_b32 exec_lo, exec_lo, s34
.LBB6_745:                              ;   in Loop: Header=BB6_393 Depth=4
	s_delay_alu instid0(SALU_CYCLE_1) | instskip(SKIP_3) | instid1(VALU_DEP_1)
	s_or_b32 exec_lo, exec_lo, s31
	v_lshrrev_b32_e32 v59, 16, v33
	s_mov_b32 s13, 0
	s_mov_b32 s34, exec_lo
                                        ; implicit-def: $sgpr31
	v_and_b32_e32 v60, 0xff, v59
	s_delay_alu instid0(VALU_DEP_1)
	v_cmpx_lt_i16_e32 0x7f, v60
	s_xor_b32 s34, exec_lo, s34
	s_cbranch_execnz .LBB6_1591
; %bb.746:                              ;   in Loop: Header=BB6_393 Depth=4
	s_or_saveexec_b32 s34, s34
	v_mov_b32_e32 v58, s31
	s_xor_b32 exec_lo, exec_lo, s34
	s_cbranch_execnz .LBB6_1594
.LBB6_747:                              ;   in Loop: Header=BB6_393 Depth=4
	s_or_b32 exec_lo, exec_lo, s34
	s_and_saveexec_b32 s31, s13
	s_cbranch_execz .LBB6_749
.LBB6_748:                              ;   in Loop: Header=BB6_393 Depth=4
	v_bfe_u32 v58, v33, 16, 3
	v_lshlrev_b32_e32 v62, 8, v33
	s_delay_alu instid0(VALU_DEP_2) | instskip(NEXT) | instid1(VALU_DEP_1)
	v_clz_i32_u32_e32 v60, v58
	v_min_u32_e32 v60, 32, v60
	s_delay_alu instid0(VALU_DEP_1) | instskip(SKIP_1) | instid1(VALU_DEP_2)
	v_subrev_nc_u32_e32 v61, 28, v60
	v_sub_nc_u32_e32 v60, 29, v60
	v_lshlrev_b32_e32 v59, v61, v59
	v_bfe_u32 v61, v33, 19, 4
	s_delay_alu instid0(VALU_DEP_1) | instskip(NEXT) | instid1(VALU_DEP_3)
	v_cmp_eq_u32_e32 vcc_lo, 0, v61
	v_dual_cndmask_b32 v60, v61, v60 :: v_dual_and_b32 v59, 7, v59
	s_delay_alu instid0(VALU_DEP_1) | instskip(NEXT) | instid1(VALU_DEP_2)
	v_dual_cndmask_b32 v58, v58, v59 :: v_dual_and_b32 v59, 0x80000000, v62
	v_lshl_add_u32 v60, v60, 23, 0x3b800000
	s_delay_alu instid0(VALU_DEP_2) | instskip(NEXT) | instid1(VALU_DEP_1)
	v_lshlrev_b32_e32 v58, 20, v58
	v_or3_b32 v58, v59, v60, v58
.LBB6_749:                              ;   in Loop: Header=BB6_393 Depth=4
	s_or_b32 exec_lo, exec_lo, s31
	v_lshrrev_b32_e32 v59, 16, v25
	s_mov_b32 s13, 0
	s_mov_b32 s34, exec_lo
                                        ; implicit-def: $sgpr31
	s_delay_alu instid0(VALU_DEP_1) | instskip(NEXT) | instid1(VALU_DEP_1)
	v_and_b32_e32 v61, 0xff, v59
	v_cmpx_lt_i16_e32 0x7f, v61
	s_xor_b32 s34, exec_lo, s34
	s_cbranch_execnz .LBB6_1595
; %bb.750:                              ;   in Loop: Header=BB6_393 Depth=4
	s_or_saveexec_b32 s34, s34
	v_mov_b32_e32 v60, s31
	s_xor_b32 exec_lo, exec_lo, s34
	s_cbranch_execnz .LBB6_1598
.LBB6_751:                              ;   in Loop: Header=BB6_393 Depth=4
	s_or_b32 exec_lo, exec_lo, s34
	s_and_saveexec_b32 s31, s13
	s_cbranch_execz .LBB6_753
.LBB6_752:                              ;   in Loop: Header=BB6_393 Depth=4
	v_bfe_u32 v60, v25, 16, 3
	v_lshlrev_b32_e32 v63, 8, v25
	s_delay_alu instid0(VALU_DEP_2) | instskip(NEXT) | instid1(VALU_DEP_1)
	v_clz_i32_u32_e32 v61, v60
	v_min_u32_e32 v61, 32, v61
	s_delay_alu instid0(VALU_DEP_1) | instskip(SKIP_1) | instid1(VALU_DEP_2)
	v_subrev_nc_u32_e32 v62, 28, v61
	v_sub_nc_u32_e32 v61, 29, v61
	v_lshlrev_b32_e32 v59, v62, v59
	v_bfe_u32 v62, v25, 19, 4
	s_delay_alu instid0(VALU_DEP_2) | instskip(NEXT) | instid1(VALU_DEP_2)
	v_and_b32_e32 v59, 7, v59
	v_cmp_eq_u32_e32 vcc_lo, 0, v62
	v_cndmask_b32_e32 v61, v62, v61, vcc_lo
	s_delay_alu instid0(VALU_DEP_3) | instskip(SKIP_1) | instid1(VALU_DEP_3)
	v_cndmask_b32_e32 v59, v60, v59, vcc_lo
	v_and_b32_e32 v60, 0x80000000, v63
	v_lshl_add_u32 v61, v61, 23, 0x3b800000
	s_delay_alu instid0(VALU_DEP_3) | instskip(NEXT) | instid1(VALU_DEP_1)
	v_lshlrev_b32_e32 v59, 20, v59
	v_or3_b32 v60, v60, v61, v59
.LBB6_753:                              ;   in Loop: Header=BB6_393 Depth=4
	s_or_b32 exec_lo, exec_lo, s31
	s_delay_alu instid0(VALU_DEP_1) | instskip(NEXT) | instid1(VALU_DEP_1)
	v_add_f32_e32 v59, v58, v60
	v_and_b32_e32 v58, 0x7f800000, v59
	s_delay_alu instid0(VALU_DEP_1)
	v_cmp_ne_u32_e32 vcc_lo, 0x7f800000, v58
	v_mov_b32_e32 v58, 0x80
	s_and_saveexec_b32 s31, vcc_lo
	s_cbranch_execz .LBB6_761
; %bb.754:                              ;   in Loop: Header=BB6_393 Depth=4
	v_mov_b32_e32 v58, 0
	s_mov_b32 s34, exec_lo
	v_cmpx_ne_u32_e32 0, v59
	s_cbranch_execz .LBB6_760
; %bb.755:                              ;   in Loop: Header=BB6_393 Depth=4
	v_bfe_u32 v58, v59, 23, 8
	s_delay_alu instid0(VALU_DEP_1) | instskip(SKIP_1) | instid1(VALU_DEP_2)
	v_sub_nc_u32_e32 v61, 0x78, v58
	v_cmp_gt_u32_e32 vcc_lo, 0x79, v58
	v_dual_cndmask_b32 v61, 0, v61 :: v_dual_and_b32 v60, 0x7fffff, v59
	s_delay_alu instid0(VALU_DEP_1) | instskip(SKIP_2) | instid1(VALU_DEP_4)
	v_or_b32_e32 v62, 0x800000, v60
	v_cmp_eq_u32_e32 vcc_lo, 0, v58
	v_add_nc_u32_e32 v58, 0xffffff89, v58
	v_cndmask_b32_e64 v61, v61, 0x77, vcc_lo
	s_delay_alu instid0(VALU_DEP_2) | instskip(SKIP_1) | instid1(VALU_DEP_3)
	v_cndmask_b32_e64 v58, v58, 0xffffff8a, vcc_lo
	v_cndmask_b32_e32 v60, v62, v60, vcc_lo
	v_lshl_add_u32 v62, 0x100000, v61, -1
	v_lshlrev_b32_e64 v73, v61, 0x80000
	s_delay_alu instid0(VALU_DEP_3) | instskip(SKIP_1) | instid1(VALU_DEP_4)
	v_lshrrev_b32_e32 v63, v61, v60
	v_add_nc_u32_e32 v61, v61, v58
	v_and_b32_e32 v60, v62, v60
	s_delay_alu instid0(VALU_DEP_3) | instskip(NEXT) | instid1(VALU_DEP_2)
	v_bfe_u32 v72, v63, 20, 1
	v_cmp_eq_u32_e64 s13, v60, v73
	s_delay_alu instid0(VALU_DEP_2) | instskip(NEXT) | instid1(VALU_DEP_1)
	v_add_nc_u32_e32 v62, -1, v72
	v_cndmask_b32_e64 v60, 0, v62, s13
	v_lshrrev_b32_e32 v62, 23, v63
	s_mov_b32 s13, exec_lo
	s_delay_alu instid0(VALU_DEP_2) | instskip(NEXT) | instid1(VALU_DEP_2)
	v_add_nc_u32_e32 v60, v60, v63
	v_xor_b32_e32 v62, 1, v62
	s_delay_alu instid0(VALU_DEP_2) | instskip(NEXT) | instid1(VALU_DEP_1)
	v_and_b32_e32 v58, 0xfffff, v60
	v_add_nc_u32_e32 v60, v58, v63
                                        ; implicit-def: $vgpr58
	s_delay_alu instid0(VALU_DEP_3)
	v_cmpx_ne_u32_e64 v61, v62
	s_xor_b32 s13, exec_lo, s13
; %bb.756:                              ;   in Loop: Header=BB6_393 Depth=4
	s_delay_alu instid0(VALU_DEP_2) | instskip(SKIP_2) | instid1(VALU_DEP_2)
	v_cmp_lt_u32_e32 vcc_lo, 0xffffff, v60
	v_sub_nc_u32_e32 v58, v61, v62
	v_cndmask_b32_e64 v61, 0, 1, vcc_lo
	v_add_co_ci_u32_e32 v58, vcc_lo, 0, v58, vcc_lo
	s_delay_alu instid0(VALU_DEP_2)
	v_lshrrev_b32_e32 v60, v61, v60
; %bb.757:                              ;   in Loop: Header=BB6_393 Depth=4
	s_and_not1_saveexec_b32 s13, s13
; %bb.758:                              ;   in Loop: Header=BB6_393 Depth=4
	s_delay_alu instid0(VALU_DEP_1)
	v_bfe_u32 v58, v60, 23, 1
; %bb.759:                              ;   in Loop: Header=BB6_393 Depth=4
	s_or_b32 exec_lo, exec_lo, s13
	v_lshrrev_b32_e32 v60, 20, v60
	s_delay_alu instid0(VALU_DEP_2) | instskip(SKIP_2) | instid1(VALU_DEP_2)
	v_cmp_gt_i32_e32 vcc_lo, 16, v58
	v_min_i32_e32 v61, 15, v58
	v_lshrrev_b32_e32 v59, 24, v59
	v_dual_cndmask_b32 v60, 7, v60 :: v_dual_lshlrev_b32 v61, 3, v61
	s_delay_alu instid0(VALU_DEP_2) | instskip(NEXT) | instid1(VALU_DEP_2)
	v_and_b32_e32 v59, 0x80, v59
	v_or_b32_e32 v58, v58, v60
	v_and_b32_e32 v62, 7, v60
	s_delay_alu instid0(VALU_DEP_2) | instskip(SKIP_1) | instid1(VALU_DEP_1)
	v_cmp_ne_u32_e32 vcc_lo, 0, v58
	v_and_b32_e32 v61, 0xf8, v61
	v_or3_b32 v59, v61, v59, v62
	s_delay_alu instid0(VALU_DEP_1)
	v_cndmask_b32_e32 v58, 0, v59, vcc_lo
.LBB6_760:                              ;   in Loop: Header=BB6_393 Depth=4
	s_or_b32 exec_lo, exec_lo, s34
.LBB6_761:                              ;   in Loop: Header=BB6_393 Depth=4
	s_delay_alu instid0(SALU_CYCLE_1) | instskip(SKIP_3) | instid1(VALU_DEP_1)
	s_or_b32 exec_lo, exec_lo, s31
	v_lshrrev_b32_e32 v60, 24, v33
	s_mov_b32 s13, 0
	s_mov_b32 s34, exec_lo
                                        ; implicit-def: $sgpr31
	v_cmpx_lt_i16_e32 0x7f, v60
	s_xor_b32 s34, exec_lo, s34
	s_cbranch_execnz .LBB6_1599
; %bb.762:                              ;   in Loop: Header=BB6_393 Depth=4
	s_or_saveexec_b32 s34, s34
	v_mov_b32_e32 v59, s31
	s_xor_b32 exec_lo, exec_lo, s34
	s_cbranch_execnz .LBB6_1602
.LBB6_763:                              ;   in Loop: Header=BB6_393 Depth=4
	s_or_b32 exec_lo, exec_lo, s34
	s_and_saveexec_b32 s31, s13
	s_cbranch_execz .LBB6_765
.LBB6_764:                              ;   in Loop: Header=BB6_393 Depth=4
	v_bfe_u32 v59, v33, 24, 3
	s_delay_alu instid0(VALU_DEP_1) | instskip(NEXT) | instid1(VALU_DEP_1)
	v_clz_i32_u32_e32 v61, v59
	v_min_u32_e32 v61, 32, v61
	s_delay_alu instid0(VALU_DEP_1) | instskip(SKIP_1) | instid1(VALU_DEP_2)
	v_subrev_nc_u32_e32 v62, 28, v61
	v_sub_nc_u32_e32 v61, 29, v61
	v_lshlrev_b32_e32 v60, v62, v60
	v_bfe_u32 v62, v33, 27, 4
	v_and_b32_e32 v33, 0x80000000, v33
	s_delay_alu instid0(VALU_DEP_2) | instskip(NEXT) | instid1(VALU_DEP_4)
	v_cmp_eq_u32_e32 vcc_lo, 0, v62
	v_dual_cndmask_b32 v61, v62, v61 :: v_dual_and_b32 v60, 7, v60
	s_delay_alu instid0(VALU_DEP_1) | instskip(NEXT) | instid1(VALU_DEP_2)
	v_cndmask_b32_e32 v59, v59, v60, vcc_lo
	v_lshl_add_u32 v60, v61, 23, 0x3b800000
	s_delay_alu instid0(VALU_DEP_2) | instskip(NEXT) | instid1(VALU_DEP_1)
	v_lshlrev_b32_e32 v59, 20, v59
	v_or3_b32 v59, v33, v60, v59
.LBB6_765:                              ;   in Loop: Header=BB6_393 Depth=4
	s_or_b32 exec_lo, exec_lo, s31
	v_lshrrev_b32_e32 v33, 24, v25
	s_mov_b32 s13, 0
	s_mov_b32 s34, exec_lo
                                        ; implicit-def: $sgpr31
	s_delay_alu instid0(VALU_DEP_1)
	v_cmpx_lt_i16_e32 0x7f, v33
	s_xor_b32 s34, exec_lo, s34
	s_cbranch_execnz .LBB6_1603
; %bb.766:                              ;   in Loop: Header=BB6_393 Depth=4
	s_or_saveexec_b32 s34, s34
	v_mov_b32_e32 v60, s31
	s_xor_b32 exec_lo, exec_lo, s34
	s_cbranch_execnz .LBB6_1606
.LBB6_767:                              ;   in Loop: Header=BB6_393 Depth=4
	s_or_b32 exec_lo, exec_lo, s34
	s_and_saveexec_b32 s31, s13
	s_cbranch_execz .LBB6_769
.LBB6_768:                              ;   in Loop: Header=BB6_393 Depth=4
	v_bfe_u32 v60, v25, 24, 3
	s_delay_alu instid0(VALU_DEP_1) | instskip(NEXT) | instid1(VALU_DEP_1)
	v_clz_i32_u32_e32 v61, v60
	v_min_u32_e32 v61, 32, v61
	s_delay_alu instid0(VALU_DEP_1) | instskip(SKIP_1) | instid1(VALU_DEP_2)
	v_subrev_nc_u32_e32 v62, 28, v61
	v_sub_nc_u32_e32 v61, 29, v61
	v_lshlrev_b32_e32 v33, v62, v33
	v_bfe_u32 v62, v25, 27, 4
	v_and_b32_e32 v25, 0x80000000, v25
	s_delay_alu instid0(VALU_DEP_3) | instskip(NEXT) | instid1(VALU_DEP_3)
	v_and_b32_e32 v33, 7, v33
	v_cmp_eq_u32_e32 vcc_lo, 0, v62
	v_cndmask_b32_e32 v61, v62, v61, vcc_lo
	s_delay_alu instid0(VALU_DEP_3) | instskip(NEXT) | instid1(VALU_DEP_2)
	v_cndmask_b32_e32 v33, v60, v33, vcc_lo
	v_lshl_add_u32 v60, v61, 23, 0x3b800000
	s_delay_alu instid0(VALU_DEP_2) | instskip(NEXT) | instid1(VALU_DEP_1)
	v_lshlrev_b32_e32 v33, 20, v33
	v_or3_b32 v60, v25, v60, v33
.LBB6_769:                              ;   in Loop: Header=BB6_393 Depth=4
	s_or_b32 exec_lo, exec_lo, s31
	s_delay_alu instid0(VALU_DEP_1) | instskip(NEXT) | instid1(VALU_DEP_1)
	v_add_f32_e32 v33, v59, v60
	v_and_b32_e32 v25, 0x7f800000, v33
	s_delay_alu instid0(VALU_DEP_1)
	v_cmp_ne_u32_e32 vcc_lo, 0x7f800000, v25
	v_mov_b32_e32 v25, 0x8000
	s_and_saveexec_b32 s31, vcc_lo
	s_cbranch_execz .LBB6_777
; %bb.770:                              ;   in Loop: Header=BB6_393 Depth=4
	v_mov_b32_e32 v25, 0
	s_mov_b32 s34, exec_lo
	v_cmpx_ne_u32_e32 0, v33
	s_cbranch_execz .LBB6_776
; %bb.771:                              ;   in Loop: Header=BB6_393 Depth=4
	v_bfe_u32 v25, v33, 23, 8
	s_delay_alu instid0(VALU_DEP_1) | instskip(SKIP_1) | instid1(VALU_DEP_2)
	v_sub_nc_u32_e32 v60, 0x78, v25
	v_cmp_gt_u32_e32 vcc_lo, 0x79, v25
	v_dual_cndmask_b32 v60, 0, v60 :: v_dual_and_b32 v59, 0x7fffff, v33
	s_delay_alu instid0(VALU_DEP_1) | instskip(SKIP_2) | instid1(VALU_DEP_4)
	v_or_b32_e32 v61, 0x800000, v59
	v_cmp_eq_u32_e32 vcc_lo, 0, v25
	v_add_nc_u32_e32 v25, 0xffffff89, v25
	v_cndmask_b32_e64 v60, v60, 0x77, vcc_lo
	s_delay_alu instid0(VALU_DEP_2) | instskip(SKIP_1) | instid1(VALU_DEP_3)
	v_cndmask_b32_e64 v25, v25, 0xffffff8a, vcc_lo
	v_cndmask_b32_e32 v59, v61, v59, vcc_lo
	v_lshl_add_u32 v61, 0x100000, v60, -1
	v_lshlrev_b32_e64 v72, v60, 0x80000
	s_delay_alu instid0(VALU_DEP_3) | instskip(SKIP_1) | instid1(VALU_DEP_4)
	v_lshrrev_b32_e32 v62, v60, v59
	v_add_nc_u32_e32 v60, v60, v25
	v_and_b32_e32 v59, v61, v59
	s_delay_alu instid0(VALU_DEP_3) | instskip(NEXT) | instid1(VALU_DEP_2)
	v_bfe_u32 v63, v62, 20, 1
	v_cmp_eq_u32_e64 s13, v59, v72
	s_delay_alu instid0(VALU_DEP_2) | instskip(NEXT) | instid1(VALU_DEP_1)
	v_add_nc_u32_e32 v61, -1, v63
	v_cndmask_b32_e64 v59, 0, v61, s13
	v_lshrrev_b32_e32 v61, 23, v62
	s_mov_b32 s13, exec_lo
	s_delay_alu instid0(VALU_DEP_2) | instskip(NEXT) | instid1(VALU_DEP_2)
	v_add_nc_u32_e32 v59, v59, v62
	v_xor_b32_e32 v61, 1, v61
	s_delay_alu instid0(VALU_DEP_2) | instskip(NEXT) | instid1(VALU_DEP_1)
	v_and_b32_e32 v25, 0xfffff, v59
	v_add_nc_u32_e32 v59, v25, v62
                                        ; implicit-def: $vgpr25
	s_delay_alu instid0(VALU_DEP_3)
	v_cmpx_ne_u32_e64 v60, v61
	s_xor_b32 s13, exec_lo, s13
; %bb.772:                              ;   in Loop: Header=BB6_393 Depth=4
	s_delay_alu instid0(VALU_DEP_2) | instskip(SKIP_2) | instid1(VALU_DEP_2)
	v_cmp_lt_u32_e32 vcc_lo, 0xffffff, v59
	v_sub_nc_u32_e32 v25, v60, v61
	v_cndmask_b32_e64 v60, 0, 1, vcc_lo
	v_add_co_ci_u32_e32 v25, vcc_lo, 0, v25, vcc_lo
	s_delay_alu instid0(VALU_DEP_2)
	v_lshrrev_b32_e32 v59, v60, v59
; %bb.773:                              ;   in Loop: Header=BB6_393 Depth=4
	s_and_not1_saveexec_b32 s13, s13
; %bb.774:                              ;   in Loop: Header=BB6_393 Depth=4
	s_delay_alu instid0(VALU_DEP_1)
	v_bfe_u32 v25, v59, 23, 1
; %bb.775:                              ;   in Loop: Header=BB6_393 Depth=4
	s_or_b32 exec_lo, exec_lo, s13
	v_lshrrev_b32_e32 v59, 20, v59
	s_delay_alu instid0(VALU_DEP_2) | instskip(SKIP_2) | instid1(VALU_DEP_2)
	v_cmp_gt_i32_e32 vcc_lo, 16, v25
	v_min_i32_e32 v60, 15, v25
	v_lshrrev_b32_e32 v33, 24, v33
	v_dual_cndmask_b32 v59, 7, v59 :: v_dual_lshlrev_b32 v60, 3, v60
	s_delay_alu instid0(VALU_DEP_2) | instskip(NEXT) | instid1(VALU_DEP_2)
	v_and_b32_e32 v33, 0x80, v33
	v_or_b32_e32 v25, v25, v59
	v_and_b32_e32 v61, 7, v59
	s_delay_alu instid0(VALU_DEP_2) | instskip(SKIP_1) | instid1(VALU_DEP_1)
	v_cmp_ne_u32_e32 vcc_lo, 0, v25
	v_and_b32_e32 v60, 0xf8, v60
	v_or3_b32 v33, v33, v60, v61
	s_delay_alu instid0(VALU_DEP_1) | instskip(NEXT) | instid1(VALU_DEP_1)
	v_lshlrev_b32_e32 v33, 8, v33
	v_cndmask_b32_e32 v25, 0, v33, vcc_lo
.LBB6_776:                              ;   in Loop: Header=BB6_393 Depth=4
	s_or_b32 exec_lo, exec_lo, s34
.LBB6_777:                              ;   in Loop: Header=BB6_393 Depth=4
	s_delay_alu instid0(SALU_CYCLE_1) | instskip(SKIP_3) | instid1(VALU_DEP_1)
	s_or_b32 exec_lo, exec_lo, s31
	v_and_b32_e32 v59, 0xff, v34
	s_mov_b32 s13, 0
	s_mov_b32 s34, exec_lo
                                        ; implicit-def: $sgpr31
	v_cmpx_lt_i16_e32 0x7f, v59
	s_xor_b32 s34, exec_lo, s34
	s_cbranch_execnz .LBB6_1607
; %bb.778:                              ;   in Loop: Header=BB6_393 Depth=4
	s_or_saveexec_b32 s34, s34
	v_mov_b32_e32 v33, s31
	s_xor_b32 exec_lo, exec_lo, s34
	s_cbranch_execnz .LBB6_1610
.LBB6_779:                              ;   in Loop: Header=BB6_393 Depth=4
	s_or_b32 exec_lo, exec_lo, s34
	s_and_saveexec_b32 s31, s13
	s_cbranch_execz .LBB6_781
.LBB6_780:                              ;   in Loop: Header=BB6_393 Depth=4
	v_and_b32_e32 v33, 7, v34
	v_bfe_u32 v61, v34, 3, 4
	s_delay_alu instid0(VALU_DEP_2) | instskip(NEXT) | instid1(VALU_DEP_2)
	v_clz_i32_u32_e32 v59, v33
	v_cmp_eq_u32_e32 vcc_lo, 0, v61
	s_delay_alu instid0(VALU_DEP_2) | instskip(NEXT) | instid1(VALU_DEP_1)
	v_min_u32_e32 v59, 32, v59
	v_subrev_nc_u32_e32 v60, 28, v59
	v_sub_nc_u32_e32 v59, 29, v59
	s_delay_alu instid0(VALU_DEP_1) | instskip(NEXT) | instid1(VALU_DEP_1)
	v_dual_cndmask_b32 v59, v61, v59 :: v_dual_lshlrev_b32 v60, v60, v34
	v_and_b32_e32 v60, 7, v60
	v_lshlrev_b32_e32 v62, 24, v34
	s_delay_alu instid0(VALU_DEP_3) | instskip(NEXT) | instid1(VALU_DEP_2)
	v_lshl_add_u32 v59, v59, 23, 0x3b800000
	v_dual_cndmask_b32 v33, v33, v60 :: v_dual_and_b32 v60, 0x80000000, v62
	s_delay_alu instid0(VALU_DEP_1) | instskip(NEXT) | instid1(VALU_DEP_1)
	v_lshlrev_b32_e32 v33, 20, v33
	v_or3_b32 v33, v60, v59, v33
.LBB6_781:                              ;   in Loop: Header=BB6_393 Depth=4
	s_or_b32 exec_lo, exec_lo, s31
	v_and_b32_e32 v60, 0xff, v26
	s_mov_b32 s13, 0
	s_mov_b32 s34, exec_lo
                                        ; implicit-def: $sgpr31
	s_delay_alu instid0(VALU_DEP_1)
	v_cmpx_lt_i16_e32 0x7f, v60
	s_xor_b32 s34, exec_lo, s34
	s_cbranch_execnz .LBB6_1611
; %bb.782:                              ;   in Loop: Header=BB6_393 Depth=4
	s_or_saveexec_b32 s34, s34
	v_mov_b32_e32 v59, s31
	s_xor_b32 exec_lo, exec_lo, s34
	s_cbranch_execnz .LBB6_1614
.LBB6_783:                              ;   in Loop: Header=BB6_393 Depth=4
	s_or_b32 exec_lo, exec_lo, s34
	s_and_saveexec_b32 s31, s13
	s_cbranch_execz .LBB6_785
.LBB6_784:                              ;   in Loop: Header=BB6_393 Depth=4
	v_bfe_u32 v62, v26, 3, 4
	v_lshlrev_b32_e32 v63, 24, v26
	s_delay_alu instid0(VALU_DEP_2) | instskip(SKIP_1) | instid1(VALU_DEP_1)
	v_cmp_eq_u32_e32 vcc_lo, 0, v62
	v_and_b32_e32 v59, 7, v26
	v_clz_i32_u32_e32 v60, v59
	s_delay_alu instid0(VALU_DEP_1) | instskip(NEXT) | instid1(VALU_DEP_1)
	v_min_u32_e32 v60, 32, v60
	v_subrev_nc_u32_e32 v61, 28, v60
	v_sub_nc_u32_e32 v60, 29, v60
	s_delay_alu instid0(VALU_DEP_1) | instskip(NEXT) | instid1(VALU_DEP_1)
	v_dual_cndmask_b32 v60, v62, v60 :: v_dual_lshlrev_b32 v61, v61, v26
	v_and_b32_e32 v61, 7, v61
	s_delay_alu instid0(VALU_DEP_2) | instskip(NEXT) | instid1(VALU_DEP_2)
	v_lshl_add_u32 v60, v60, 23, 0x3b800000
	v_cndmask_b32_e32 v59, v59, v61, vcc_lo
	v_and_b32_e32 v61, 0x80000000, v63
	s_delay_alu instid0(VALU_DEP_2) | instskip(NEXT) | instid1(VALU_DEP_1)
	v_lshlrev_b32_e32 v59, 20, v59
	v_or3_b32 v59, v61, v60, v59
.LBB6_785:                              ;   in Loop: Header=BB6_393 Depth=4
	s_or_b32 exec_lo, exec_lo, s31
	s_delay_alu instid0(VALU_DEP_1) | instskip(NEXT) | instid1(VALU_DEP_1)
	v_add_f32_e32 v59, v33, v59
	v_and_b32_e32 v33, 0x7f800000, v59
	s_delay_alu instid0(VALU_DEP_1)
	v_cmp_ne_u32_e32 vcc_lo, 0x7f800000, v33
	v_mov_b32_e32 v33, 0x80
	s_and_saveexec_b32 s31, vcc_lo
	s_cbranch_execz .LBB6_793
; %bb.786:                              ;   in Loop: Header=BB6_393 Depth=4
	v_mov_b32_e32 v33, 0
	s_mov_b32 s34, exec_lo
	v_cmpx_ne_u32_e32 0, v59
	s_cbranch_execz .LBB6_792
; %bb.787:                              ;   in Loop: Header=BB6_393 Depth=4
	v_bfe_u32 v33, v59, 23, 8
	s_delay_alu instid0(VALU_DEP_1) | instskip(SKIP_1) | instid1(VALU_DEP_2)
	v_sub_nc_u32_e32 v61, 0x78, v33
	v_cmp_gt_u32_e32 vcc_lo, 0x79, v33
	v_dual_cndmask_b32 v61, 0, v61 :: v_dual_and_b32 v60, 0x7fffff, v59
	s_delay_alu instid0(VALU_DEP_1) | instskip(SKIP_2) | instid1(VALU_DEP_4)
	v_or_b32_e32 v62, 0x800000, v60
	v_cmp_eq_u32_e32 vcc_lo, 0, v33
	v_add_nc_u32_e32 v33, 0xffffff89, v33
	v_cndmask_b32_e64 v61, v61, 0x77, vcc_lo
	s_delay_alu instid0(VALU_DEP_4) | instskip(NEXT) | instid1(VALU_DEP_3)
	v_cndmask_b32_e32 v60, v62, v60, vcc_lo
	v_cndmask_b32_e64 v33, v33, 0xffffff8a, vcc_lo
	s_delay_alu instid0(VALU_DEP_3) | instskip(NEXT) | instid1(VALU_DEP_3)
	v_lshl_add_u32 v62, 0x100000, v61, -1
	v_lshrrev_b32_e32 v63, v61, v60
	v_lshlrev_b32_e64 v73, v61, 0x80000
	s_delay_alu instid0(VALU_DEP_4) | instskip(NEXT) | instid1(VALU_DEP_4)
	v_add_nc_u32_e32 v61, v61, v33
	v_and_b32_e32 v60, v62, v60
	s_delay_alu instid0(VALU_DEP_4) | instskip(NEXT) | instid1(VALU_DEP_2)
	v_bfe_u32 v72, v63, 20, 1
	v_cmp_eq_u32_e64 s13, v60, v73
	s_delay_alu instid0(VALU_DEP_2) | instskip(NEXT) | instid1(VALU_DEP_1)
	v_add_nc_u32_e32 v62, -1, v72
	v_cndmask_b32_e64 v60, 0, v62, s13
	v_lshrrev_b32_e32 v62, 23, v63
	s_mov_b32 s13, exec_lo
	s_delay_alu instid0(VALU_DEP_2) | instskip(NEXT) | instid1(VALU_DEP_2)
	v_add_nc_u32_e32 v60, v60, v63
	v_xor_b32_e32 v62, 1, v62
	s_delay_alu instid0(VALU_DEP_2) | instskip(NEXT) | instid1(VALU_DEP_1)
	v_and_b32_e32 v33, 0xfffff, v60
	v_add_nc_u32_e32 v60, v33, v63
                                        ; implicit-def: $vgpr33
	s_delay_alu instid0(VALU_DEP_3)
	v_cmpx_ne_u32_e64 v61, v62
	s_xor_b32 s13, exec_lo, s13
; %bb.788:                              ;   in Loop: Header=BB6_393 Depth=4
	s_delay_alu instid0(VALU_DEP_2) | instskip(SKIP_2) | instid1(VALU_DEP_2)
	v_cmp_lt_u32_e32 vcc_lo, 0xffffff, v60
	v_sub_nc_u32_e32 v33, v61, v62
	v_cndmask_b32_e64 v61, 0, 1, vcc_lo
	v_add_co_ci_u32_e32 v33, vcc_lo, 0, v33, vcc_lo
	s_delay_alu instid0(VALU_DEP_2)
	v_lshrrev_b32_e32 v60, v61, v60
; %bb.789:                              ;   in Loop: Header=BB6_393 Depth=4
	s_and_not1_saveexec_b32 s13, s13
; %bb.790:                              ;   in Loop: Header=BB6_393 Depth=4
	s_delay_alu instid0(VALU_DEP_1)
	v_bfe_u32 v33, v60, 23, 1
; %bb.791:                              ;   in Loop: Header=BB6_393 Depth=4
	s_or_b32 exec_lo, exec_lo, s13
	v_lshrrev_b32_e32 v60, 20, v60
	s_delay_alu instid0(VALU_DEP_2) | instskip(SKIP_2) | instid1(VALU_DEP_2)
	v_cmp_gt_i32_e32 vcc_lo, 16, v33
	v_lshrrev_b32_e32 v59, 24, v59
	v_min_i32_e32 v61, 15, v33
	v_dual_cndmask_b32 v60, 7, v60 :: v_dual_and_b32 v59, 0x80, v59
	s_delay_alu instid0(VALU_DEP_2) | instskip(NEXT) | instid1(VALU_DEP_2)
	v_lshlrev_b32_e32 v61, 3, v61
	v_or_b32_e32 v33, v33, v60
	s_delay_alu instid0(VALU_DEP_1) | instskip(SKIP_1) | instid1(VALU_DEP_1)
	v_cmp_ne_u32_e32 vcc_lo, 0, v33
	v_and_b32_e32 v62, 7, v60
	v_or3_b32 v59, v61, v59, v62
	s_delay_alu instid0(VALU_DEP_1)
	v_cndmask_b32_e32 v33, 0, v59, vcc_lo
.LBB6_792:                              ;   in Loop: Header=BB6_393 Depth=4
	s_or_b32 exec_lo, exec_lo, s34
.LBB6_793:                              ;   in Loop: Header=BB6_393 Depth=4
	s_delay_alu instid0(SALU_CYCLE_1) | instskip(SKIP_3) | instid1(VALU_DEP_1)
	s_or_b32 exec_lo, exec_lo, s31
	v_lshrrev_b16 v60, 8, v34
	s_mov_b32 s13, 0
	s_mov_b32 s34, exec_lo
                                        ; implicit-def: $sgpr31
	v_cmpx_lt_i16_e32 0x7f, v60
	s_xor_b32 s34, exec_lo, s34
	s_cbranch_execnz .LBB6_1615
; %bb.794:                              ;   in Loop: Header=BB6_393 Depth=4
	s_or_saveexec_b32 s34, s34
	v_mov_b32_e32 v59, s31
	s_xor_b32 exec_lo, exec_lo, s34
	s_cbranch_execnz .LBB6_1618
.LBB6_795:                              ;   in Loop: Header=BB6_393 Depth=4
	s_or_b32 exec_lo, exec_lo, s34
	s_and_saveexec_b32 s31, s13
	s_cbranch_execz .LBB6_797
.LBB6_796:                              ;   in Loop: Header=BB6_393 Depth=4
	v_and_b32_e32 v59, 0xffff, v60
	s_delay_alu instid0(VALU_DEP_1) | instskip(NEXT) | instid1(VALU_DEP_1)
	v_and_b32_e32 v61, 7, v59
	v_clz_i32_u32_e32 v62, v61
	s_delay_alu instid0(VALU_DEP_1) | instskip(NEXT) | instid1(VALU_DEP_1)
	v_min_u32_e32 v62, 32, v62
	v_subrev_nc_u32_e32 v63, 28, v62
	v_sub_nc_u32_e32 v62, 29, v62
	s_delay_alu instid0(VALU_DEP_2) | instskip(SKIP_1) | instid1(VALU_DEP_2)
	v_lshlrev_b32_e32 v63, v63, v59
	v_bfe_u32 v59, v59, 3, 4
	v_and_b32_e32 v63, 7, v63
	s_delay_alu instid0(VALU_DEP_2) | instskip(SKIP_1) | instid1(VALU_DEP_1)
	v_cmp_eq_u32_e32 vcc_lo, 0, v59
	v_dual_cndmask_b32 v59, v59, v62 :: v_dual_lshlrev_b32 v60, 24, v60
	v_dual_cndmask_b32 v61, v61, v63 :: v_dual_and_b32 v60, 0x80000000, v60
	s_delay_alu instid0(VALU_DEP_2) | instskip(NEXT) | instid1(VALU_DEP_2)
	v_lshl_add_u32 v59, v59, 23, 0x3b800000
	v_lshlrev_b32_e32 v61, 20, v61
	s_delay_alu instid0(VALU_DEP_1)
	v_or3_b32 v59, v60, v59, v61
.LBB6_797:                              ;   in Loop: Header=BB6_393 Depth=4
	s_or_b32 exec_lo, exec_lo, s31
	v_lshrrev_b16 v60, 8, v26
	s_mov_b32 s13, 0
	s_mov_b32 s34, exec_lo
                                        ; implicit-def: $sgpr31
	s_delay_alu instid0(VALU_DEP_1)
	v_cmpx_lt_i16_e32 0x7f, v60
	s_xor_b32 s34, exec_lo, s34
	s_cbranch_execnz .LBB6_1619
; %bb.798:                              ;   in Loop: Header=BB6_393 Depth=4
	s_or_saveexec_b32 s34, s34
	v_mov_b32_e32 v61, s31
	s_xor_b32 exec_lo, exec_lo, s34
	s_cbranch_execnz .LBB6_1622
.LBB6_799:                              ;   in Loop: Header=BB6_393 Depth=4
	s_or_b32 exec_lo, exec_lo, s34
	s_and_saveexec_b32 s31, s13
	s_cbranch_execz .LBB6_801
.LBB6_800:                              ;   in Loop: Header=BB6_393 Depth=4
	v_and_b32_e32 v61, 0xffff, v60
	v_lshlrev_b32_e32 v60, 24, v60
	s_delay_alu instid0(VALU_DEP_2) | instskip(NEXT) | instid1(VALU_DEP_2)
	v_and_b32_e32 v62, 7, v61
	v_and_b32_e32 v60, 0x80000000, v60
	s_delay_alu instid0(VALU_DEP_2) | instskip(NEXT) | instid1(VALU_DEP_1)
	v_clz_i32_u32_e32 v63, v62
	v_min_u32_e32 v63, 32, v63
	s_delay_alu instid0(VALU_DEP_1) | instskip(SKIP_1) | instid1(VALU_DEP_2)
	v_subrev_nc_u32_e32 v72, 28, v63
	v_sub_nc_u32_e32 v63, 29, v63
	v_lshlrev_b32_e32 v72, v72, v61
	v_bfe_u32 v61, v61, 3, 4
	s_delay_alu instid0(VALU_DEP_2) | instskip(NEXT) | instid1(VALU_DEP_2)
	v_and_b32_e32 v72, 7, v72
	v_cmp_eq_u32_e32 vcc_lo, 0, v61
	s_delay_alu instid0(VALU_DEP_2) | instskip(NEXT) | instid1(VALU_DEP_1)
	v_dual_cndmask_b32 v61, v61, v63 :: v_dual_cndmask_b32 v62, v62, v72
	v_lshl_add_u32 v61, v61, 23, 0x3b800000
	s_delay_alu instid0(VALU_DEP_2) | instskip(NEXT) | instid1(VALU_DEP_1)
	v_lshlrev_b32_e32 v62, 20, v62
	v_or3_b32 v61, v60, v61, v62
.LBB6_801:                              ;   in Loop: Header=BB6_393 Depth=4
	s_or_b32 exec_lo, exec_lo, s31
	s_delay_alu instid0(VALU_DEP_1) | instskip(NEXT) | instid1(VALU_DEP_1)
	v_add_f32_e32 v60, v59, v61
	v_and_b32_e32 v59, 0x7f800000, v60
	s_delay_alu instid0(VALU_DEP_1)
	v_cmp_ne_u32_e32 vcc_lo, 0x7f800000, v59
	v_mov_b32_e32 v59, 0x80
	s_and_saveexec_b32 s31, vcc_lo
	s_cbranch_execz .LBB6_809
; %bb.802:                              ;   in Loop: Header=BB6_393 Depth=4
	v_mov_b32_e32 v59, 0
	s_mov_b32 s34, exec_lo
	v_cmpx_ne_u32_e32 0, v60
	s_cbranch_execz .LBB6_808
; %bb.803:                              ;   in Loop: Header=BB6_393 Depth=4
	v_bfe_u32 v59, v60, 23, 8
	s_delay_alu instid0(VALU_DEP_1) | instskip(SKIP_1) | instid1(VALU_DEP_2)
	v_sub_nc_u32_e32 v62, 0x78, v59
	v_cmp_gt_u32_e32 vcc_lo, 0x79, v59
	v_dual_cndmask_b32 v62, 0, v62 :: v_dual_and_b32 v61, 0x7fffff, v60
	s_delay_alu instid0(VALU_DEP_1) | instskip(SKIP_2) | instid1(VALU_DEP_4)
	v_or_b32_e32 v63, 0x800000, v61
	v_cmp_eq_u32_e32 vcc_lo, 0, v59
	v_add_nc_u32_e32 v59, 0xffffff89, v59
	v_cndmask_b32_e64 v62, v62, 0x77, vcc_lo
	s_delay_alu instid0(VALU_DEP_2) | instskip(SKIP_1) | instid1(VALU_DEP_3)
	v_cndmask_b32_e64 v59, v59, 0xffffff8a, vcc_lo
	v_cndmask_b32_e32 v61, v63, v61, vcc_lo
	v_lshl_add_u32 v63, 0x100000, v62, -1
	v_lshlrev_b32_e64 v74, v62, 0x80000
	s_delay_alu instid0(VALU_DEP_3) | instskip(SKIP_1) | instid1(VALU_DEP_4)
	v_lshrrev_b32_e32 v72, v62, v61
	v_add_nc_u32_e32 v62, v62, v59
	v_and_b32_e32 v61, v63, v61
	s_delay_alu instid0(VALU_DEP_3) | instskip(NEXT) | instid1(VALU_DEP_2)
	v_bfe_u32 v73, v72, 20, 1
	v_cmp_eq_u32_e64 s13, v61, v74
	s_delay_alu instid0(VALU_DEP_2) | instskip(NEXT) | instid1(VALU_DEP_1)
	v_add_nc_u32_e32 v63, -1, v73
	v_cndmask_b32_e64 v61, 0, v63, s13
	v_lshrrev_b32_e32 v63, 23, v72
	s_mov_b32 s13, exec_lo
	s_delay_alu instid0(VALU_DEP_2) | instskip(NEXT) | instid1(VALU_DEP_2)
	v_add_nc_u32_e32 v61, v61, v72
	v_xor_b32_e32 v63, 1, v63
	s_delay_alu instid0(VALU_DEP_2) | instskip(NEXT) | instid1(VALU_DEP_1)
	v_and_b32_e32 v59, 0xfffff, v61
	v_add_nc_u32_e32 v61, v59, v72
                                        ; implicit-def: $vgpr59
	s_delay_alu instid0(VALU_DEP_3)
	v_cmpx_ne_u32_e64 v62, v63
	s_xor_b32 s13, exec_lo, s13
; %bb.804:                              ;   in Loop: Header=BB6_393 Depth=4
	s_delay_alu instid0(VALU_DEP_2) | instskip(SKIP_2) | instid1(VALU_DEP_2)
	v_cmp_lt_u32_e32 vcc_lo, 0xffffff, v61
	v_sub_nc_u32_e32 v59, v62, v63
	v_cndmask_b32_e64 v62, 0, 1, vcc_lo
	v_add_co_ci_u32_e32 v59, vcc_lo, 0, v59, vcc_lo
	s_delay_alu instid0(VALU_DEP_2)
	v_lshrrev_b32_e32 v61, v62, v61
; %bb.805:                              ;   in Loop: Header=BB6_393 Depth=4
	s_and_not1_saveexec_b32 s13, s13
; %bb.806:                              ;   in Loop: Header=BB6_393 Depth=4
	s_delay_alu instid0(VALU_DEP_1)
	v_bfe_u32 v59, v61, 23, 1
; %bb.807:                              ;   in Loop: Header=BB6_393 Depth=4
	s_or_b32 exec_lo, exec_lo, s13
	v_lshrrev_b32_e32 v61, 20, v61
	s_delay_alu instid0(VALU_DEP_2) | instskip(SKIP_2) | instid1(VALU_DEP_2)
	v_cmp_gt_i32_e32 vcc_lo, 16, v59
	v_lshrrev_b32_e32 v60, 24, v60
	v_min_i32_e32 v62, 15, v59
	v_dual_cndmask_b32 v61, 7, v61 :: v_dual_and_b32 v60, 0x80, v60
	s_delay_alu instid0(VALU_DEP_1) | instskip(SKIP_1) | instid1(VALU_DEP_2)
	v_or_b32_e32 v59, v59, v61
	v_and_b32_e32 v63, 7, v61
	v_cmp_ne_u32_e32 vcc_lo, 0, v59
	v_lshlrev_b32_e32 v62, 3, v62
	s_delay_alu instid0(VALU_DEP_1) | instskip(NEXT) | instid1(VALU_DEP_1)
	v_or3_b32 v60, v62, v60, v63
	v_cndmask_b32_e32 v59, 0, v60, vcc_lo
.LBB6_808:                              ;   in Loop: Header=BB6_393 Depth=4
	s_or_b32 exec_lo, exec_lo, s34
.LBB6_809:                              ;   in Loop: Header=BB6_393 Depth=4
	s_delay_alu instid0(SALU_CYCLE_1) | instskip(SKIP_3) | instid1(VALU_DEP_1)
	s_or_b32 exec_lo, exec_lo, s31
	v_lshrrev_b32_e32 v61, 16, v34
	s_mov_b32 s13, 0
	s_mov_b32 s34, exec_lo
                                        ; implicit-def: $sgpr31
	v_and_b32_e32 v62, 0xff, v61
	s_delay_alu instid0(VALU_DEP_1)
	v_cmpx_lt_i16_e32 0x7f, v62
	s_xor_b32 s34, exec_lo, s34
	s_cbranch_execnz .LBB6_1623
; %bb.810:                              ;   in Loop: Header=BB6_393 Depth=4
	s_or_saveexec_b32 s34, s34
	v_mov_b32_e32 v60, s31
	s_xor_b32 exec_lo, exec_lo, s34
	s_cbranch_execnz .LBB6_1626
.LBB6_811:                              ;   in Loop: Header=BB6_393 Depth=4
	s_or_b32 exec_lo, exec_lo, s34
	s_and_saveexec_b32 s31, s13
	s_cbranch_execz .LBB6_813
.LBB6_812:                              ;   in Loop: Header=BB6_393 Depth=4
	v_bfe_u32 v60, v34, 16, 3
	v_lshlrev_b32_e32 v72, 8, v34
	s_delay_alu instid0(VALU_DEP_2) | instskip(NEXT) | instid1(VALU_DEP_1)
	v_clz_i32_u32_e32 v62, v60
	v_min_u32_e32 v62, 32, v62
	s_delay_alu instid0(VALU_DEP_1) | instskip(SKIP_1) | instid1(VALU_DEP_2)
	v_subrev_nc_u32_e32 v63, 28, v62
	v_sub_nc_u32_e32 v62, 29, v62
	v_lshlrev_b32_e32 v61, v63, v61
	v_bfe_u32 v63, v34, 19, 4
	s_delay_alu instid0(VALU_DEP_1) | instskip(NEXT) | instid1(VALU_DEP_3)
	v_cmp_eq_u32_e32 vcc_lo, 0, v63
	v_dual_cndmask_b32 v62, v63, v62 :: v_dual_and_b32 v61, 7, v61
	s_delay_alu instid0(VALU_DEP_1) | instskip(NEXT) | instid1(VALU_DEP_2)
	v_dual_cndmask_b32 v60, v60, v61 :: v_dual_and_b32 v61, 0x80000000, v72
	v_lshl_add_u32 v62, v62, 23, 0x3b800000
	s_delay_alu instid0(VALU_DEP_2) | instskip(NEXT) | instid1(VALU_DEP_1)
	v_lshlrev_b32_e32 v60, 20, v60
	v_or3_b32 v60, v61, v62, v60
.LBB6_813:                              ;   in Loop: Header=BB6_393 Depth=4
	s_or_b32 exec_lo, exec_lo, s31
	v_lshrrev_b32_e32 v61, 16, v26
	s_mov_b32 s13, 0
	s_mov_b32 s34, exec_lo
                                        ; implicit-def: $sgpr31
	s_delay_alu instid0(VALU_DEP_1) | instskip(NEXT) | instid1(VALU_DEP_1)
	v_and_b32_e32 v63, 0xff, v61
	v_cmpx_lt_i16_e32 0x7f, v63
	s_xor_b32 s34, exec_lo, s34
	s_cbranch_execnz .LBB6_1627
; %bb.814:                              ;   in Loop: Header=BB6_393 Depth=4
	s_or_saveexec_b32 s34, s34
	v_mov_b32_e32 v62, s31
	s_xor_b32 exec_lo, exec_lo, s34
	s_cbranch_execnz .LBB6_1630
.LBB6_815:                              ;   in Loop: Header=BB6_393 Depth=4
	s_or_b32 exec_lo, exec_lo, s34
	s_and_saveexec_b32 s31, s13
	s_cbranch_execz .LBB6_817
.LBB6_816:                              ;   in Loop: Header=BB6_393 Depth=4
	v_bfe_u32 v62, v26, 16, 3
	v_lshlrev_b32_e32 v73, 8, v26
	s_delay_alu instid0(VALU_DEP_2) | instskip(NEXT) | instid1(VALU_DEP_1)
	v_clz_i32_u32_e32 v63, v62
	v_min_u32_e32 v63, 32, v63
	s_delay_alu instid0(VALU_DEP_1) | instskip(SKIP_1) | instid1(VALU_DEP_2)
	v_subrev_nc_u32_e32 v72, 28, v63
	v_sub_nc_u32_e32 v63, 29, v63
	v_lshlrev_b32_e32 v61, v72, v61
	v_bfe_u32 v72, v26, 19, 4
	s_delay_alu instid0(VALU_DEP_2) | instskip(NEXT) | instid1(VALU_DEP_2)
	v_and_b32_e32 v61, 7, v61
	v_cmp_eq_u32_e32 vcc_lo, 0, v72
	v_cndmask_b32_e32 v63, v72, v63, vcc_lo
	s_delay_alu instid0(VALU_DEP_3) | instskip(SKIP_1) | instid1(VALU_DEP_3)
	v_cndmask_b32_e32 v61, v62, v61, vcc_lo
	v_and_b32_e32 v62, 0x80000000, v73
	v_lshl_add_u32 v63, v63, 23, 0x3b800000
	s_delay_alu instid0(VALU_DEP_3) | instskip(NEXT) | instid1(VALU_DEP_1)
	v_lshlrev_b32_e32 v61, 20, v61
	v_or3_b32 v62, v62, v63, v61
.LBB6_817:                              ;   in Loop: Header=BB6_393 Depth=4
	s_or_b32 exec_lo, exec_lo, s31
	s_delay_alu instid0(VALU_DEP_1) | instskip(NEXT) | instid1(VALU_DEP_1)
	v_add_f32_e32 v61, v60, v62
	v_and_b32_e32 v60, 0x7f800000, v61
	s_delay_alu instid0(VALU_DEP_1)
	v_cmp_ne_u32_e32 vcc_lo, 0x7f800000, v60
	v_mov_b32_e32 v60, 0x80
	s_and_saveexec_b32 s31, vcc_lo
	s_cbranch_execz .LBB6_825
; %bb.818:                              ;   in Loop: Header=BB6_393 Depth=4
	v_mov_b32_e32 v60, 0
	s_mov_b32 s34, exec_lo
	v_cmpx_ne_u32_e32 0, v61
	s_cbranch_execz .LBB6_824
; %bb.819:                              ;   in Loop: Header=BB6_393 Depth=4
	v_bfe_u32 v60, v61, 23, 8
	s_delay_alu instid0(VALU_DEP_1) | instskip(SKIP_1) | instid1(VALU_DEP_2)
	v_sub_nc_u32_e32 v63, 0x78, v60
	v_cmp_gt_u32_e32 vcc_lo, 0x79, v60
	v_dual_cndmask_b32 v63, 0, v63 :: v_dual_and_b32 v62, 0x7fffff, v61
	s_delay_alu instid0(VALU_DEP_1) | instskip(SKIP_2) | instid1(VALU_DEP_4)
	v_or_b32_e32 v72, 0x800000, v62
	v_cmp_eq_u32_e32 vcc_lo, 0, v60
	v_add_nc_u32_e32 v60, 0xffffff89, v60
	v_cndmask_b32_e64 v63, v63, 0x77, vcc_lo
	s_delay_alu instid0(VALU_DEP_2) | instskip(SKIP_1) | instid1(VALU_DEP_3)
	v_cndmask_b32_e64 v60, v60, 0xffffff8a, vcc_lo
	v_cndmask_b32_e32 v62, v72, v62, vcc_lo
	v_lshl_add_u32 v72, 0x100000, v63, -1
	v_lshlrev_b32_e64 v75, v63, 0x80000
	s_delay_alu instid0(VALU_DEP_3) | instskip(SKIP_1) | instid1(VALU_DEP_4)
	v_lshrrev_b32_e32 v73, v63, v62
	v_add_nc_u32_e32 v63, v63, v60
	v_and_b32_e32 v62, v72, v62
	s_delay_alu instid0(VALU_DEP_3) | instskip(NEXT) | instid1(VALU_DEP_2)
	v_bfe_u32 v74, v73, 20, 1
	v_cmp_eq_u32_e64 s13, v62, v75
	s_delay_alu instid0(VALU_DEP_2) | instskip(NEXT) | instid1(VALU_DEP_1)
	v_add_nc_u32_e32 v72, -1, v74
	v_cndmask_b32_e64 v62, 0, v72, s13
	v_lshrrev_b32_e32 v72, 23, v73
	s_mov_b32 s13, exec_lo
	s_delay_alu instid0(VALU_DEP_2) | instskip(NEXT) | instid1(VALU_DEP_2)
	v_add_nc_u32_e32 v62, v62, v73
	v_xor_b32_e32 v72, 1, v72
	s_delay_alu instid0(VALU_DEP_2) | instskip(NEXT) | instid1(VALU_DEP_1)
	v_and_b32_e32 v60, 0xfffff, v62
	v_add_nc_u32_e32 v62, v60, v73
                                        ; implicit-def: $vgpr60
	s_delay_alu instid0(VALU_DEP_3)
	v_cmpx_ne_u32_e64 v63, v72
	s_xor_b32 s13, exec_lo, s13
; %bb.820:                              ;   in Loop: Header=BB6_393 Depth=4
	s_delay_alu instid0(VALU_DEP_2) | instskip(SKIP_2) | instid1(VALU_DEP_2)
	v_cmp_lt_u32_e32 vcc_lo, 0xffffff, v62
	v_sub_nc_u32_e32 v60, v63, v72
	v_cndmask_b32_e64 v63, 0, 1, vcc_lo
	v_add_co_ci_u32_e32 v60, vcc_lo, 0, v60, vcc_lo
	s_delay_alu instid0(VALU_DEP_2)
	v_lshrrev_b32_e32 v62, v63, v62
; %bb.821:                              ;   in Loop: Header=BB6_393 Depth=4
	s_and_not1_saveexec_b32 s13, s13
; %bb.822:                              ;   in Loop: Header=BB6_393 Depth=4
	s_delay_alu instid0(VALU_DEP_1)
	v_bfe_u32 v60, v62, 23, 1
; %bb.823:                              ;   in Loop: Header=BB6_393 Depth=4
	s_or_b32 exec_lo, exec_lo, s13
	v_lshrrev_b32_e32 v62, 20, v62
	s_delay_alu instid0(VALU_DEP_2) | instskip(SKIP_2) | instid1(VALU_DEP_2)
	v_cmp_gt_i32_e32 vcc_lo, 16, v60
	v_lshrrev_b32_e32 v61, 24, v61
	v_min_i32_e32 v63, 15, v60
	v_dual_cndmask_b32 v62, 7, v62 :: v_dual_and_b32 v61, 0x80, v61
	s_delay_alu instid0(VALU_DEP_1) | instskip(SKIP_1) | instid1(VALU_DEP_2)
	v_or_b32_e32 v60, v60, v62
	v_and_b32_e32 v72, 7, v62
	v_cmp_ne_u32_e32 vcc_lo, 0, v60
	v_lshlrev_b32_e32 v63, 3, v63
	s_delay_alu instid0(VALU_DEP_1) | instskip(NEXT) | instid1(VALU_DEP_1)
	v_or3_b32 v61, v63, v61, v72
	v_cndmask_b32_e32 v60, 0, v61, vcc_lo
.LBB6_824:                              ;   in Loop: Header=BB6_393 Depth=4
	s_or_b32 exec_lo, exec_lo, s34
.LBB6_825:                              ;   in Loop: Header=BB6_393 Depth=4
	s_delay_alu instid0(SALU_CYCLE_1) | instskip(SKIP_3) | instid1(VALU_DEP_1)
	s_or_b32 exec_lo, exec_lo, s31
	v_lshrrev_b32_e32 v62, 24, v34
	s_mov_b32 s13, 0
	s_mov_b32 s34, exec_lo
                                        ; implicit-def: $sgpr31
	v_cmpx_lt_i16_e32 0x7f, v62
	s_xor_b32 s34, exec_lo, s34
	s_cbranch_execnz .LBB6_1631
; %bb.826:                              ;   in Loop: Header=BB6_393 Depth=4
	s_or_saveexec_b32 s34, s34
	v_mov_b32_e32 v61, s31
	s_xor_b32 exec_lo, exec_lo, s34
	s_cbranch_execnz .LBB6_1634
.LBB6_827:                              ;   in Loop: Header=BB6_393 Depth=4
	s_or_b32 exec_lo, exec_lo, s34
	s_and_saveexec_b32 s31, s13
	s_cbranch_execz .LBB6_829
.LBB6_828:                              ;   in Loop: Header=BB6_393 Depth=4
	v_bfe_u32 v61, v34, 24, 3
	s_delay_alu instid0(VALU_DEP_1) | instskip(NEXT) | instid1(VALU_DEP_1)
	v_clz_i32_u32_e32 v63, v61
	v_min_u32_e32 v63, 32, v63
	s_delay_alu instid0(VALU_DEP_1) | instskip(SKIP_1) | instid1(VALU_DEP_2)
	v_subrev_nc_u32_e32 v72, 28, v63
	v_sub_nc_u32_e32 v63, 29, v63
	v_lshlrev_b32_e32 v62, v72, v62
	v_bfe_u32 v72, v34, 27, 4
	v_and_b32_e32 v34, 0x80000000, v34
	s_delay_alu instid0(VALU_DEP_2) | instskip(NEXT) | instid1(VALU_DEP_4)
	v_cmp_eq_u32_e32 vcc_lo, 0, v72
	v_dual_cndmask_b32 v63, v72, v63 :: v_dual_and_b32 v62, 7, v62
	s_delay_alu instid0(VALU_DEP_1) | instskip(NEXT) | instid1(VALU_DEP_2)
	v_cndmask_b32_e32 v61, v61, v62, vcc_lo
	v_lshl_add_u32 v62, v63, 23, 0x3b800000
	s_delay_alu instid0(VALU_DEP_2) | instskip(NEXT) | instid1(VALU_DEP_1)
	v_lshlrev_b32_e32 v61, 20, v61
	v_or3_b32 v61, v34, v62, v61
.LBB6_829:                              ;   in Loop: Header=BB6_393 Depth=4
	s_or_b32 exec_lo, exec_lo, s31
	v_lshrrev_b32_e32 v34, 24, v26
	s_mov_b32 s13, 0
	s_mov_b32 s34, exec_lo
                                        ; implicit-def: $sgpr31
	s_delay_alu instid0(VALU_DEP_1)
	v_cmpx_lt_i16_e32 0x7f, v34
	s_xor_b32 s34, exec_lo, s34
	s_cbranch_execnz .LBB6_1635
; %bb.830:                              ;   in Loop: Header=BB6_393 Depth=4
	s_or_saveexec_b32 s34, s34
	v_mov_b32_e32 v62, s31
	s_xor_b32 exec_lo, exec_lo, s34
	s_cbranch_execnz .LBB6_1638
.LBB6_831:                              ;   in Loop: Header=BB6_393 Depth=4
	s_or_b32 exec_lo, exec_lo, s34
	s_and_saveexec_b32 s31, s13
	s_cbranch_execz .LBB6_833
.LBB6_832:                              ;   in Loop: Header=BB6_393 Depth=4
	v_bfe_u32 v62, v26, 24, 3
	s_delay_alu instid0(VALU_DEP_1) | instskip(NEXT) | instid1(VALU_DEP_1)
	v_clz_i32_u32_e32 v63, v62
	v_min_u32_e32 v63, 32, v63
	s_delay_alu instid0(VALU_DEP_1) | instskip(SKIP_1) | instid1(VALU_DEP_2)
	v_subrev_nc_u32_e32 v72, 28, v63
	v_sub_nc_u32_e32 v63, 29, v63
	v_lshlrev_b32_e32 v34, v72, v34
	v_bfe_u32 v72, v26, 27, 4
	v_and_b32_e32 v26, 0x80000000, v26
	s_delay_alu instid0(VALU_DEP_2) | instskip(NEXT) | instid1(VALU_DEP_4)
	v_cmp_eq_u32_e32 vcc_lo, 0, v72
	v_dual_cndmask_b32 v63, v72, v63 :: v_dual_and_b32 v34, 7, v34
	s_delay_alu instid0(VALU_DEP_1) | instskip(NEXT) | instid1(VALU_DEP_2)
	v_cndmask_b32_e32 v34, v62, v34, vcc_lo
	v_lshl_add_u32 v62, v63, 23, 0x3b800000
	s_delay_alu instid0(VALU_DEP_2) | instskip(NEXT) | instid1(VALU_DEP_1)
	v_lshlrev_b32_e32 v34, 20, v34
	v_or3_b32 v62, v26, v62, v34
.LBB6_833:                              ;   in Loop: Header=BB6_393 Depth=4
	s_or_b32 exec_lo, exec_lo, s31
	s_delay_alu instid0(VALU_DEP_1) | instskip(NEXT) | instid1(VALU_DEP_1)
	v_add_f32_e32 v34, v61, v62
	v_and_b32_e32 v26, 0x7f800000, v34
	s_delay_alu instid0(VALU_DEP_1)
	v_cmp_ne_u32_e32 vcc_lo, 0x7f800000, v26
	v_mov_b32_e32 v26, 0x80
	s_and_saveexec_b32 s31, vcc_lo
	s_cbranch_execz .LBB6_841
; %bb.834:                              ;   in Loop: Header=BB6_393 Depth=4
	v_mov_b32_e32 v26, 0
	s_mov_b32 s34, exec_lo
	v_cmpx_ne_u32_e32 0, v34
	s_cbranch_execz .LBB6_840
; %bb.835:                              ;   in Loop: Header=BB6_393 Depth=4
	v_bfe_u32 v26, v34, 23, 8
	v_and_b32_e32 v61, 0x7fffff, v34
	s_delay_alu instid0(VALU_DEP_2) | instskip(SKIP_1) | instid1(VALU_DEP_3)
	v_sub_nc_u32_e32 v62, 0x78, v26
	v_cmp_gt_u32_e32 vcc_lo, 0x79, v26
	v_or_b32_e32 v63, 0x800000, v61
	s_delay_alu instid0(VALU_DEP_3) | instskip(SKIP_1) | instid1(VALU_DEP_3)
	v_cndmask_b32_e32 v62, 0, v62, vcc_lo
	v_cmp_eq_u32_e32 vcc_lo, 0, v26
	v_dual_cndmask_b32 v61, v63, v61 :: v_dual_add_nc_u32 v26, 0xffffff89, v26
	s_delay_alu instid0(VALU_DEP_3) | instskip(NEXT) | instid1(VALU_DEP_2)
	v_cndmask_b32_e64 v62, v62, 0x77, vcc_lo
	v_cndmask_b32_e64 v26, v26, 0xffffff8a, vcc_lo
	s_delay_alu instid0(VALU_DEP_2) | instskip(SKIP_2) | instid1(VALU_DEP_4)
	v_lshrrev_b32_e32 v72, v62, v61
	v_lshl_add_u32 v63, 0x100000, v62, -1
	v_lshlrev_b32_e64 v74, v62, 0x80000
	v_add_nc_u32_e32 v62, v62, v26
	s_delay_alu instid0(VALU_DEP_4) | instskip(NEXT) | instid1(VALU_DEP_4)
	v_bfe_u32 v73, v72, 20, 1
	v_and_b32_e32 v61, v63, v61
	s_delay_alu instid0(VALU_DEP_2) | instskip(NEXT) | instid1(VALU_DEP_2)
	v_add_nc_u32_e32 v63, -1, v73
	v_cmp_eq_u32_e64 s13, v61, v74
	s_delay_alu instid0(VALU_DEP_1) | instskip(SKIP_2) | instid1(VALU_DEP_2)
	v_cndmask_b32_e64 v61, 0, v63, s13
	v_lshrrev_b32_e32 v63, 23, v72
	s_mov_b32 s13, exec_lo
	v_add_nc_u32_e32 v61, v61, v72
	s_delay_alu instid0(VALU_DEP_2) | instskip(NEXT) | instid1(VALU_DEP_2)
	v_xor_b32_e32 v63, 1, v63
	v_and_b32_e32 v26, 0xfffff, v61
	s_delay_alu instid0(VALU_DEP_1) | instskip(NEXT) | instid1(VALU_DEP_3)
	v_add_nc_u32_e32 v61, v26, v72
                                        ; implicit-def: $vgpr26
	v_cmpx_ne_u32_e64 v62, v63
	s_xor_b32 s13, exec_lo, s13
; %bb.836:                              ;   in Loop: Header=BB6_393 Depth=4
	s_delay_alu instid0(VALU_DEP_2) | instskip(SKIP_2) | instid1(VALU_DEP_2)
	v_cmp_lt_u32_e32 vcc_lo, 0xffffff, v61
	v_sub_nc_u32_e32 v26, v62, v63
	v_cndmask_b32_e64 v62, 0, 1, vcc_lo
	v_add_co_ci_u32_e32 v26, vcc_lo, 0, v26, vcc_lo
	s_delay_alu instid0(VALU_DEP_2)
	v_lshrrev_b32_e32 v61, v62, v61
; %bb.837:                              ;   in Loop: Header=BB6_393 Depth=4
	s_and_not1_saveexec_b32 s13, s13
; %bb.838:                              ;   in Loop: Header=BB6_393 Depth=4
	s_delay_alu instid0(VALU_DEP_1)
	v_bfe_u32 v26, v61, 23, 1
; %bb.839:                              ;   in Loop: Header=BB6_393 Depth=4
	s_or_b32 exec_lo, exec_lo, s13
	v_lshrrev_b32_e32 v61, 20, v61
	s_delay_alu instid0(VALU_DEP_2) | instskip(SKIP_2) | instid1(VALU_DEP_2)
	v_cmp_gt_i32_e32 vcc_lo, 16, v26
	v_lshrrev_b32_e32 v34, 24, v34
	v_min_i32_e32 v62, 15, v26
	v_dual_cndmask_b32 v61, 7, v61 :: v_dual_and_b32 v34, 0x80, v34
	s_delay_alu instid0(VALU_DEP_2) | instskip(NEXT) | instid1(VALU_DEP_2)
	v_lshlrev_b32_e32 v62, 3, v62
	v_or_b32_e32 v26, v26, v61
	s_delay_alu instid0(VALU_DEP_1) | instskip(SKIP_1) | instid1(VALU_DEP_1)
	v_cmp_ne_u32_e32 vcc_lo, 0, v26
	v_and_b32_e32 v63, 7, v61
	v_or3_b32 v34, v62, v34, v63
	s_delay_alu instid0(VALU_DEP_1)
	v_cndmask_b32_e32 v26, 0, v34, vcc_lo
.LBB6_840:                              ;   in Loop: Header=BB6_393 Depth=4
	s_or_b32 exec_lo, exec_lo, s34
.LBB6_841:                              ;   in Loop: Header=BB6_393 Depth=4
	s_delay_alu instid0(SALU_CYCLE_1) | instskip(SKIP_3) | instid1(VALU_DEP_1)
	s_or_b32 exec_lo, exec_lo, s31
	v_and_b32_e32 v61, 0xff, v35
	s_mov_b32 s13, 0
	s_mov_b32 s34, exec_lo
                                        ; implicit-def: $sgpr31
	v_cmpx_lt_i16_e32 0x7f, v61
	s_xor_b32 s34, exec_lo, s34
	s_cbranch_execnz .LBB6_1639
; %bb.842:                              ;   in Loop: Header=BB6_393 Depth=4
	s_or_saveexec_b32 s34, s34
	v_mov_b32_e32 v34, s31
	s_xor_b32 exec_lo, exec_lo, s34
	s_cbranch_execnz .LBB6_1642
.LBB6_843:                              ;   in Loop: Header=BB6_393 Depth=4
	s_or_b32 exec_lo, exec_lo, s34
	s_and_saveexec_b32 s31, s13
	s_cbranch_execz .LBB6_845
.LBB6_844:                              ;   in Loop: Header=BB6_393 Depth=4
	v_bfe_u32 v63, v35, 3, 4
	v_lshlrev_b32_e32 v72, 24, v35
	s_delay_alu instid0(VALU_DEP_2) | instskip(SKIP_1) | instid1(VALU_DEP_1)
	v_cmp_eq_u32_e32 vcc_lo, 0, v63
	v_and_b32_e32 v34, 7, v35
	v_clz_i32_u32_e32 v61, v34
	s_delay_alu instid0(VALU_DEP_1) | instskip(NEXT) | instid1(VALU_DEP_1)
	v_min_u32_e32 v61, 32, v61
	v_subrev_nc_u32_e32 v62, 28, v61
	v_sub_nc_u32_e32 v61, 29, v61
	s_delay_alu instid0(VALU_DEP_1) | instskip(NEXT) | instid1(VALU_DEP_1)
	v_dual_cndmask_b32 v61, v63, v61 :: v_dual_lshlrev_b32 v62, v62, v35
	v_and_b32_e32 v62, 7, v62
	s_delay_alu instid0(VALU_DEP_2) | instskip(NEXT) | instid1(VALU_DEP_2)
	v_lshl_add_u32 v61, v61, 23, 0x3b800000
	v_cndmask_b32_e32 v34, v34, v62, vcc_lo
	v_and_b32_e32 v62, 0x80000000, v72
	s_delay_alu instid0(VALU_DEP_2) | instskip(NEXT) | instid1(VALU_DEP_1)
	v_lshlrev_b32_e32 v34, 20, v34
	v_or3_b32 v34, v62, v61, v34
.LBB6_845:                              ;   in Loop: Header=BB6_393 Depth=4
	s_or_b32 exec_lo, exec_lo, s31
	v_and_b32_e32 v62, 0xff, v27
	s_mov_b32 s13, 0
	s_mov_b32 s34, exec_lo
                                        ; implicit-def: $sgpr31
	s_delay_alu instid0(VALU_DEP_1)
	v_cmpx_lt_i16_e32 0x7f, v62
	s_xor_b32 s34, exec_lo, s34
	s_cbranch_execnz .LBB6_1643
; %bb.846:                              ;   in Loop: Header=BB6_393 Depth=4
	s_or_saveexec_b32 s34, s34
	v_mov_b32_e32 v61, s31
	s_xor_b32 exec_lo, exec_lo, s34
	s_cbranch_execnz .LBB6_1646
.LBB6_847:                              ;   in Loop: Header=BB6_393 Depth=4
	s_or_b32 exec_lo, exec_lo, s34
	s_and_saveexec_b32 s31, s13
	s_cbranch_execz .LBB6_849
.LBB6_848:                              ;   in Loop: Header=BB6_393 Depth=4
	v_bfe_u32 v72, v27, 3, 4
	v_lshlrev_b32_e32 v73, 24, v27
	s_delay_alu instid0(VALU_DEP_2) | instskip(SKIP_1) | instid1(VALU_DEP_1)
	v_cmp_eq_u32_e32 vcc_lo, 0, v72
	v_and_b32_e32 v61, 7, v27
	v_clz_i32_u32_e32 v62, v61
	s_delay_alu instid0(VALU_DEP_1) | instskip(NEXT) | instid1(VALU_DEP_1)
	v_min_u32_e32 v62, 32, v62
	v_subrev_nc_u32_e32 v63, 28, v62
	v_sub_nc_u32_e32 v62, 29, v62
	s_delay_alu instid0(VALU_DEP_1) | instskip(NEXT) | instid1(VALU_DEP_1)
	v_dual_cndmask_b32 v62, v72, v62 :: v_dual_lshlrev_b32 v63, v63, v27
	v_and_b32_e32 v63, 7, v63
	s_delay_alu instid0(VALU_DEP_2) | instskip(NEXT) | instid1(VALU_DEP_2)
	v_lshl_add_u32 v62, v62, 23, 0x3b800000
	v_cndmask_b32_e32 v61, v61, v63, vcc_lo
	v_and_b32_e32 v63, 0x80000000, v73
	s_delay_alu instid0(VALU_DEP_2) | instskip(NEXT) | instid1(VALU_DEP_1)
	v_lshlrev_b32_e32 v61, 20, v61
	v_or3_b32 v61, v63, v62, v61
.LBB6_849:                              ;   in Loop: Header=BB6_393 Depth=4
	s_or_b32 exec_lo, exec_lo, s31
	s_delay_alu instid0(VALU_DEP_1) | instskip(NEXT) | instid1(VALU_DEP_1)
	v_add_f32_e32 v61, v34, v61
	v_and_b32_e32 v34, 0x7f800000, v61
	s_delay_alu instid0(VALU_DEP_1)
	v_cmp_ne_u32_e32 vcc_lo, 0x7f800000, v34
	v_mov_b32_e32 v34, 0x80
	s_and_saveexec_b32 s31, vcc_lo
	s_cbranch_execz .LBB6_857
; %bb.850:                              ;   in Loop: Header=BB6_393 Depth=4
	v_mov_b32_e32 v34, 0
	s_mov_b32 s34, exec_lo
	v_cmpx_ne_u32_e32 0, v61
	s_cbranch_execz .LBB6_856
; %bb.851:                              ;   in Loop: Header=BB6_393 Depth=4
	v_bfe_u32 v34, v61, 23, 8
	s_delay_alu instid0(VALU_DEP_1) | instskip(SKIP_1) | instid1(VALU_DEP_2)
	v_sub_nc_u32_e32 v63, 0x78, v34
	v_cmp_gt_u32_e32 vcc_lo, 0x79, v34
	v_dual_cndmask_b32 v63, 0, v63 :: v_dual_and_b32 v62, 0x7fffff, v61
	s_delay_alu instid0(VALU_DEP_1) | instskip(SKIP_2) | instid1(VALU_DEP_4)
	v_or_b32_e32 v72, 0x800000, v62
	v_cmp_eq_u32_e32 vcc_lo, 0, v34
	v_add_nc_u32_e32 v34, 0xffffff89, v34
	v_cndmask_b32_e64 v63, v63, 0x77, vcc_lo
	s_delay_alu instid0(VALU_DEP_4) | instskip(NEXT) | instid1(VALU_DEP_3)
	v_cndmask_b32_e32 v62, v72, v62, vcc_lo
	v_cndmask_b32_e64 v34, v34, 0xffffff8a, vcc_lo
	s_delay_alu instid0(VALU_DEP_3) | instskip(NEXT) | instid1(VALU_DEP_3)
	v_lshl_add_u32 v72, 0x100000, v63, -1
	v_lshrrev_b32_e32 v73, v63, v62
	v_lshlrev_b32_e64 v75, v63, 0x80000
	s_delay_alu instid0(VALU_DEP_4) | instskip(NEXT) | instid1(VALU_DEP_4)
	v_add_nc_u32_e32 v63, v63, v34
	v_and_b32_e32 v62, v72, v62
	s_delay_alu instid0(VALU_DEP_4) | instskip(NEXT) | instid1(VALU_DEP_2)
	v_bfe_u32 v74, v73, 20, 1
	v_cmp_eq_u32_e64 s13, v62, v75
	s_delay_alu instid0(VALU_DEP_2) | instskip(NEXT) | instid1(VALU_DEP_1)
	v_add_nc_u32_e32 v72, -1, v74
	v_cndmask_b32_e64 v62, 0, v72, s13
	v_lshrrev_b32_e32 v72, 23, v73
	s_mov_b32 s13, exec_lo
	s_delay_alu instid0(VALU_DEP_2) | instskip(NEXT) | instid1(VALU_DEP_2)
	v_add_nc_u32_e32 v62, v62, v73
	v_xor_b32_e32 v72, 1, v72
	s_delay_alu instid0(VALU_DEP_2) | instskip(NEXT) | instid1(VALU_DEP_1)
	v_and_b32_e32 v34, 0xfffff, v62
	v_add_nc_u32_e32 v62, v34, v73
                                        ; implicit-def: $vgpr34
	s_delay_alu instid0(VALU_DEP_3)
	v_cmpx_ne_u32_e64 v63, v72
	s_xor_b32 s13, exec_lo, s13
; %bb.852:                              ;   in Loop: Header=BB6_393 Depth=4
	s_delay_alu instid0(VALU_DEP_2) | instskip(SKIP_2) | instid1(VALU_DEP_2)
	v_cmp_lt_u32_e32 vcc_lo, 0xffffff, v62
	v_sub_nc_u32_e32 v34, v63, v72
	v_cndmask_b32_e64 v63, 0, 1, vcc_lo
	v_add_co_ci_u32_e32 v34, vcc_lo, 0, v34, vcc_lo
	s_delay_alu instid0(VALU_DEP_2)
	v_lshrrev_b32_e32 v62, v63, v62
; %bb.853:                              ;   in Loop: Header=BB6_393 Depth=4
	s_and_not1_saveexec_b32 s13, s13
; %bb.854:                              ;   in Loop: Header=BB6_393 Depth=4
	s_delay_alu instid0(VALU_DEP_1)
	v_bfe_u32 v34, v62, 23, 1
; %bb.855:                              ;   in Loop: Header=BB6_393 Depth=4
	s_or_b32 exec_lo, exec_lo, s13
	v_lshrrev_b32_e32 v62, 20, v62
	s_delay_alu instid0(VALU_DEP_2) | instskip(SKIP_2) | instid1(VALU_DEP_2)
	v_cmp_gt_i32_e32 vcc_lo, 16, v34
	v_lshrrev_b32_e32 v61, 24, v61
	v_min_i32_e32 v63, 15, v34
	v_dual_cndmask_b32 v62, 7, v62 :: v_dual_and_b32 v61, 0x80, v61
	s_delay_alu instid0(VALU_DEP_1) | instskip(SKIP_1) | instid1(VALU_DEP_2)
	v_or_b32_e32 v34, v34, v62
	v_and_b32_e32 v72, 7, v62
	v_cmp_ne_u32_e32 vcc_lo, 0, v34
	v_lshlrev_b32_e32 v63, 3, v63
	s_delay_alu instid0(VALU_DEP_1) | instskip(NEXT) | instid1(VALU_DEP_1)
	v_or3_b32 v61, v63, v61, v72
	v_cndmask_b32_e32 v34, 0, v61, vcc_lo
.LBB6_856:                              ;   in Loop: Header=BB6_393 Depth=4
	s_or_b32 exec_lo, exec_lo, s34
.LBB6_857:                              ;   in Loop: Header=BB6_393 Depth=4
	s_delay_alu instid0(SALU_CYCLE_1) | instskip(SKIP_3) | instid1(VALU_DEP_1)
	s_or_b32 exec_lo, exec_lo, s31
	v_lshrrev_b16 v62, 8, v35
	s_mov_b32 s13, 0
	s_mov_b32 s34, exec_lo
                                        ; implicit-def: $sgpr31
	v_cmpx_lt_i16_e32 0x7f, v62
	s_xor_b32 s34, exec_lo, s34
	s_cbranch_execnz .LBB6_1647
; %bb.858:                              ;   in Loop: Header=BB6_393 Depth=4
	s_or_saveexec_b32 s34, s34
	v_mov_b32_e32 v61, s31
	s_xor_b32 exec_lo, exec_lo, s34
	s_cbranch_execnz .LBB6_1650
.LBB6_859:                              ;   in Loop: Header=BB6_393 Depth=4
	s_or_b32 exec_lo, exec_lo, s34
	s_and_saveexec_b32 s31, s13
	s_cbranch_execz .LBB6_861
.LBB6_860:                              ;   in Loop: Header=BB6_393 Depth=4
	v_and_b32_e32 v61, 0xffff, v62
	s_delay_alu instid0(VALU_DEP_1) | instskip(NEXT) | instid1(VALU_DEP_1)
	v_and_b32_e32 v63, 7, v61
	v_clz_i32_u32_e32 v72, v63
	s_delay_alu instid0(VALU_DEP_1) | instskip(NEXT) | instid1(VALU_DEP_1)
	v_min_u32_e32 v72, 32, v72
	v_subrev_nc_u32_e32 v73, 28, v72
	v_sub_nc_u32_e32 v72, 29, v72
	s_delay_alu instid0(VALU_DEP_2) | instskip(SKIP_1) | instid1(VALU_DEP_2)
	v_lshlrev_b32_e32 v73, v73, v61
	v_bfe_u32 v61, v61, 3, 4
	v_and_b32_e32 v73, 7, v73
	s_delay_alu instid0(VALU_DEP_2) | instskip(SKIP_1) | instid1(VALU_DEP_1)
	v_cmp_eq_u32_e32 vcc_lo, 0, v61
	v_dual_cndmask_b32 v61, v61, v72 :: v_dual_lshlrev_b32 v62, 24, v62
	v_dual_cndmask_b32 v63, v63, v73 :: v_dual_and_b32 v62, 0x80000000, v62
	s_delay_alu instid0(VALU_DEP_2) | instskip(NEXT) | instid1(VALU_DEP_2)
	v_lshl_add_u32 v61, v61, 23, 0x3b800000
	v_lshlrev_b32_e32 v63, 20, v63
	s_delay_alu instid0(VALU_DEP_1)
	v_or3_b32 v61, v62, v61, v63
.LBB6_861:                              ;   in Loop: Header=BB6_393 Depth=4
	s_or_b32 exec_lo, exec_lo, s31
	v_lshrrev_b16 v62, 8, v27
	s_mov_b32 s13, 0
	s_mov_b32 s34, exec_lo
                                        ; implicit-def: $sgpr31
	s_delay_alu instid0(VALU_DEP_1)
	v_cmpx_lt_i16_e32 0x7f, v62
	s_xor_b32 s34, exec_lo, s34
	s_cbranch_execnz .LBB6_1651
; %bb.862:                              ;   in Loop: Header=BB6_393 Depth=4
	s_or_saveexec_b32 s34, s34
	v_mov_b32_e32 v63, s31
	s_xor_b32 exec_lo, exec_lo, s34
	s_cbranch_execnz .LBB6_1654
.LBB6_863:                              ;   in Loop: Header=BB6_393 Depth=4
	s_or_b32 exec_lo, exec_lo, s34
	s_and_saveexec_b32 s31, s13
	s_cbranch_execz .LBB6_865
.LBB6_864:                              ;   in Loop: Header=BB6_393 Depth=4
	v_and_b32_e32 v63, 0xffff, v62
	v_lshlrev_b32_e32 v62, 24, v62
	s_delay_alu instid0(VALU_DEP_2) | instskip(NEXT) | instid1(VALU_DEP_2)
	v_and_b32_e32 v72, 7, v63
	v_and_b32_e32 v62, 0x80000000, v62
	s_delay_alu instid0(VALU_DEP_2) | instskip(NEXT) | instid1(VALU_DEP_1)
	v_clz_i32_u32_e32 v73, v72
	v_min_u32_e32 v73, 32, v73
	s_delay_alu instid0(VALU_DEP_1) | instskip(SKIP_1) | instid1(VALU_DEP_2)
	v_subrev_nc_u32_e32 v74, 28, v73
	v_sub_nc_u32_e32 v73, 29, v73
	v_lshlrev_b32_e32 v74, v74, v63
	v_bfe_u32 v63, v63, 3, 4
	s_delay_alu instid0(VALU_DEP_2) | instskip(NEXT) | instid1(VALU_DEP_2)
	v_and_b32_e32 v74, 7, v74
	v_cmp_eq_u32_e32 vcc_lo, 0, v63
	s_delay_alu instid0(VALU_DEP_2) | instskip(NEXT) | instid1(VALU_DEP_1)
	v_dual_cndmask_b32 v63, v63, v73 :: v_dual_cndmask_b32 v72, v72, v74
	v_lshl_add_u32 v63, v63, 23, 0x3b800000
	s_delay_alu instid0(VALU_DEP_2) | instskip(NEXT) | instid1(VALU_DEP_1)
	v_lshlrev_b32_e32 v72, 20, v72
	v_or3_b32 v63, v62, v63, v72
.LBB6_865:                              ;   in Loop: Header=BB6_393 Depth=4
	s_or_b32 exec_lo, exec_lo, s31
	s_delay_alu instid0(VALU_DEP_1) | instskip(NEXT) | instid1(VALU_DEP_1)
	v_add_f32_e32 v62, v61, v63
	v_and_b32_e32 v61, 0x7f800000, v62
	s_delay_alu instid0(VALU_DEP_1)
	v_cmp_ne_u32_e32 vcc_lo, 0x7f800000, v61
	v_mov_b32_e32 v61, 0x8000
	s_and_saveexec_b32 s31, vcc_lo
	s_cbranch_execz .LBB6_873
; %bb.866:                              ;   in Loop: Header=BB6_393 Depth=4
	v_mov_b32_e32 v61, 0
	s_mov_b32 s34, exec_lo
	v_cmpx_ne_u32_e32 0, v62
	s_cbranch_execz .LBB6_872
; %bb.867:                              ;   in Loop: Header=BB6_393 Depth=4
	v_bfe_u32 v61, v62, 23, 8
	s_delay_alu instid0(VALU_DEP_1) | instskip(SKIP_1) | instid1(VALU_DEP_2)
	v_sub_nc_u32_e32 v72, 0x78, v61
	v_cmp_gt_u32_e32 vcc_lo, 0x79, v61
	v_dual_cndmask_b32 v72, 0, v72 :: v_dual_and_b32 v63, 0x7fffff, v62
	s_delay_alu instid0(VALU_DEP_1) | instskip(SKIP_2) | instid1(VALU_DEP_4)
	v_or_b32_e32 v73, 0x800000, v63
	v_cmp_eq_u32_e32 vcc_lo, 0, v61
	v_add_nc_u32_e32 v61, 0xffffff89, v61
	v_cndmask_b32_e64 v72, v72, 0x77, vcc_lo
	s_delay_alu instid0(VALU_DEP_2) | instskip(SKIP_1) | instid1(VALU_DEP_3)
	v_cndmask_b32_e64 v61, v61, 0xffffff8a, vcc_lo
	v_cndmask_b32_e32 v63, v73, v63, vcc_lo
	v_lshl_add_u32 v73, 0x100000, v72, -1
	v_lshlrev_b32_e64 v76, v72, 0x80000
	s_delay_alu instid0(VALU_DEP_3) | instskip(SKIP_1) | instid1(VALU_DEP_4)
	v_lshrrev_b32_e32 v74, v72, v63
	v_add_nc_u32_e32 v72, v72, v61
	v_and_b32_e32 v63, v73, v63
	s_delay_alu instid0(VALU_DEP_3) | instskip(NEXT) | instid1(VALU_DEP_2)
	v_bfe_u32 v75, v74, 20, 1
	v_cmp_eq_u32_e64 s13, v63, v76
	s_delay_alu instid0(VALU_DEP_2) | instskip(NEXT) | instid1(VALU_DEP_1)
	v_add_nc_u32_e32 v73, -1, v75
	v_cndmask_b32_e64 v63, 0, v73, s13
	v_lshrrev_b32_e32 v73, 23, v74
	s_mov_b32 s13, exec_lo
	s_delay_alu instid0(VALU_DEP_2) | instskip(NEXT) | instid1(VALU_DEP_2)
	v_add_nc_u32_e32 v63, v63, v74
	v_xor_b32_e32 v73, 1, v73
	s_delay_alu instid0(VALU_DEP_2) | instskip(NEXT) | instid1(VALU_DEP_1)
	v_and_b32_e32 v61, 0xfffff, v63
	v_add_nc_u32_e32 v63, v61, v74
                                        ; implicit-def: $vgpr61
	s_delay_alu instid0(VALU_DEP_3)
	v_cmpx_ne_u32_e64 v72, v73
	s_xor_b32 s13, exec_lo, s13
; %bb.868:                              ;   in Loop: Header=BB6_393 Depth=4
	s_delay_alu instid0(VALU_DEP_2) | instskip(SKIP_2) | instid1(VALU_DEP_2)
	v_cmp_lt_u32_e32 vcc_lo, 0xffffff, v63
	v_sub_nc_u32_e32 v61, v72, v73
	v_cndmask_b32_e64 v72, 0, 1, vcc_lo
	v_add_co_ci_u32_e32 v61, vcc_lo, 0, v61, vcc_lo
	s_delay_alu instid0(VALU_DEP_2)
	v_lshrrev_b32_e32 v63, v72, v63
; %bb.869:                              ;   in Loop: Header=BB6_393 Depth=4
	s_and_not1_saveexec_b32 s13, s13
; %bb.870:                              ;   in Loop: Header=BB6_393 Depth=4
	s_delay_alu instid0(VALU_DEP_1)
	v_bfe_u32 v61, v63, 23, 1
; %bb.871:                              ;   in Loop: Header=BB6_393 Depth=4
	s_or_b32 exec_lo, exec_lo, s13
	v_lshrrev_b32_e32 v63, 20, v63
	s_delay_alu instid0(VALU_DEP_2) | instskip(SKIP_2) | instid1(VALU_DEP_2)
	v_cmp_gt_i32_e32 vcc_lo, 16, v61
	v_min_i32_e32 v72, 15, v61
	v_lshrrev_b32_e32 v62, 24, v62
	v_dual_cndmask_b32 v63, 7, v63 :: v_dual_lshlrev_b32 v72, 3, v72
	s_delay_alu instid0(VALU_DEP_2) | instskip(NEXT) | instid1(VALU_DEP_2)
	v_and_b32_e32 v62, 0x80, v62
	v_or_b32_e32 v61, v61, v63
	v_and_b32_e32 v73, 7, v63
	s_delay_alu instid0(VALU_DEP_2) | instskip(SKIP_1) | instid1(VALU_DEP_1)
	v_cmp_ne_u32_e32 vcc_lo, 0, v61
	v_and_b32_e32 v72, 0xf8, v72
	v_or3_b32 v62, v62, v72, v73
	s_delay_alu instid0(VALU_DEP_1) | instskip(NEXT) | instid1(VALU_DEP_1)
	v_lshlrev_b32_e32 v62, 8, v62
	v_cndmask_b32_e32 v61, 0, v62, vcc_lo
.LBB6_872:                              ;   in Loop: Header=BB6_393 Depth=4
	s_or_b32 exec_lo, exec_lo, s34
.LBB6_873:                              ;   in Loop: Header=BB6_393 Depth=4
	s_delay_alu instid0(SALU_CYCLE_1) | instskip(SKIP_3) | instid1(VALU_DEP_1)
	s_or_b32 exec_lo, exec_lo, s31
	v_lshrrev_b32_e32 v63, 16, v35
	s_mov_b32 s13, 0
	s_mov_b32 s34, exec_lo
                                        ; implicit-def: $sgpr31
	v_and_b32_e32 v72, 0xff, v63
	s_delay_alu instid0(VALU_DEP_1)
	v_cmpx_lt_i16_e32 0x7f, v72
	s_xor_b32 s34, exec_lo, s34
	s_cbranch_execnz .LBB6_1655
; %bb.874:                              ;   in Loop: Header=BB6_393 Depth=4
	s_or_saveexec_b32 s34, s34
	v_mov_b32_e32 v62, s31
	s_xor_b32 exec_lo, exec_lo, s34
	s_cbranch_execnz .LBB6_1658
.LBB6_875:                              ;   in Loop: Header=BB6_393 Depth=4
	s_or_b32 exec_lo, exec_lo, s34
	s_and_saveexec_b32 s31, s13
	s_cbranch_execz .LBB6_877
.LBB6_876:                              ;   in Loop: Header=BB6_393 Depth=4
	v_bfe_u32 v62, v35, 16, 3
	v_lshlrev_b32_e32 v74, 8, v35
	s_delay_alu instid0(VALU_DEP_2) | instskip(NEXT) | instid1(VALU_DEP_1)
	v_clz_i32_u32_e32 v72, v62
	v_min_u32_e32 v72, 32, v72
	s_delay_alu instid0(VALU_DEP_1) | instskip(SKIP_1) | instid1(VALU_DEP_2)
	v_subrev_nc_u32_e32 v73, 28, v72
	v_sub_nc_u32_e32 v72, 29, v72
	v_lshlrev_b32_e32 v63, v73, v63
	v_bfe_u32 v73, v35, 19, 4
	s_delay_alu instid0(VALU_DEP_1) | instskip(NEXT) | instid1(VALU_DEP_3)
	v_cmp_eq_u32_e32 vcc_lo, 0, v73
	v_dual_cndmask_b32 v72, v73, v72 :: v_dual_and_b32 v63, 7, v63
	s_delay_alu instid0(VALU_DEP_1) | instskip(NEXT) | instid1(VALU_DEP_2)
	v_dual_cndmask_b32 v62, v62, v63 :: v_dual_and_b32 v63, 0x80000000, v74
	v_lshl_add_u32 v72, v72, 23, 0x3b800000
	s_delay_alu instid0(VALU_DEP_2) | instskip(NEXT) | instid1(VALU_DEP_1)
	v_lshlrev_b32_e32 v62, 20, v62
	v_or3_b32 v62, v63, v72, v62
.LBB6_877:                              ;   in Loop: Header=BB6_393 Depth=4
	s_or_b32 exec_lo, exec_lo, s31
	v_lshrrev_b32_e32 v63, 16, v27
	s_mov_b32 s13, 0
	s_mov_b32 s34, exec_lo
                                        ; implicit-def: $sgpr31
	s_delay_alu instid0(VALU_DEP_1) | instskip(NEXT) | instid1(VALU_DEP_1)
	v_and_b32_e32 v73, 0xff, v63
	v_cmpx_lt_i16_e32 0x7f, v73
	s_xor_b32 s34, exec_lo, s34
	s_cbranch_execnz .LBB6_1659
; %bb.878:                              ;   in Loop: Header=BB6_393 Depth=4
	s_or_saveexec_b32 s34, s34
	v_mov_b32_e32 v72, s31
	s_xor_b32 exec_lo, exec_lo, s34
	s_cbranch_execnz .LBB6_1662
.LBB6_879:                              ;   in Loop: Header=BB6_393 Depth=4
	s_or_b32 exec_lo, exec_lo, s34
	s_and_saveexec_b32 s31, s13
	s_cbranch_execz .LBB6_881
.LBB6_880:                              ;   in Loop: Header=BB6_393 Depth=4
	v_bfe_u32 v72, v27, 16, 3
	v_lshlrev_b32_e32 v75, 8, v27
	s_delay_alu instid0(VALU_DEP_2) | instskip(NEXT) | instid1(VALU_DEP_1)
	v_clz_i32_u32_e32 v73, v72
	v_min_u32_e32 v73, 32, v73
	s_delay_alu instid0(VALU_DEP_1) | instskip(SKIP_1) | instid1(VALU_DEP_2)
	v_subrev_nc_u32_e32 v74, 28, v73
	v_sub_nc_u32_e32 v73, 29, v73
	v_lshlrev_b32_e32 v63, v74, v63
	v_bfe_u32 v74, v27, 19, 4
	s_delay_alu instid0(VALU_DEP_2) | instskip(NEXT) | instid1(VALU_DEP_2)
	v_and_b32_e32 v63, 7, v63
	v_cmp_eq_u32_e32 vcc_lo, 0, v74
	v_cndmask_b32_e32 v73, v74, v73, vcc_lo
	s_delay_alu instid0(VALU_DEP_3) | instskip(SKIP_1) | instid1(VALU_DEP_3)
	v_cndmask_b32_e32 v63, v72, v63, vcc_lo
	v_and_b32_e32 v72, 0x80000000, v75
	v_lshl_add_u32 v73, v73, 23, 0x3b800000
	s_delay_alu instid0(VALU_DEP_3) | instskip(NEXT) | instid1(VALU_DEP_1)
	v_lshlrev_b32_e32 v63, 20, v63
	v_or3_b32 v72, v72, v73, v63
.LBB6_881:                              ;   in Loop: Header=BB6_393 Depth=4
	s_or_b32 exec_lo, exec_lo, s31
	s_delay_alu instid0(VALU_DEP_1) | instskip(NEXT) | instid1(VALU_DEP_1)
	v_add_f32_e32 v63, v62, v72
	v_and_b32_e32 v62, 0x7f800000, v63
	s_delay_alu instid0(VALU_DEP_1)
	v_cmp_ne_u32_e32 vcc_lo, 0x7f800000, v62
	v_mov_b32_e32 v62, 0x80
	s_and_saveexec_b32 s31, vcc_lo
	s_cbranch_execz .LBB6_889
; %bb.882:                              ;   in Loop: Header=BB6_393 Depth=4
	v_mov_b32_e32 v62, 0
	s_mov_b32 s34, exec_lo
	v_cmpx_ne_u32_e32 0, v63
	s_cbranch_execz .LBB6_888
; %bb.883:                              ;   in Loop: Header=BB6_393 Depth=4
	v_bfe_u32 v62, v63, 23, 8
	s_delay_alu instid0(VALU_DEP_1) | instskip(SKIP_1) | instid1(VALU_DEP_2)
	v_sub_nc_u32_e32 v73, 0x78, v62
	v_cmp_gt_u32_e32 vcc_lo, 0x79, v62
	v_dual_cndmask_b32 v73, 0, v73 :: v_dual_and_b32 v72, 0x7fffff, v63
	s_delay_alu instid0(VALU_DEP_1) | instskip(SKIP_2) | instid1(VALU_DEP_4)
	v_or_b32_e32 v74, 0x800000, v72
	v_cmp_eq_u32_e32 vcc_lo, 0, v62
	v_add_nc_u32_e32 v62, 0xffffff89, v62
	v_cndmask_b32_e64 v73, v73, 0x77, vcc_lo
	s_delay_alu instid0(VALU_DEP_2) | instskip(SKIP_1) | instid1(VALU_DEP_3)
	v_cndmask_b32_e64 v62, v62, 0xffffff8a, vcc_lo
	v_cndmask_b32_e32 v72, v74, v72, vcc_lo
	v_lshl_add_u32 v74, 0x100000, v73, -1
	v_lshlrev_b32_e64 v77, v73, 0x80000
	s_delay_alu instid0(VALU_DEP_3) | instskip(SKIP_1) | instid1(VALU_DEP_4)
	v_lshrrev_b32_e32 v75, v73, v72
	v_add_nc_u32_e32 v73, v73, v62
	v_and_b32_e32 v72, v74, v72
	s_delay_alu instid0(VALU_DEP_3) | instskip(NEXT) | instid1(VALU_DEP_2)
	v_bfe_u32 v76, v75, 20, 1
	v_cmp_eq_u32_e64 s13, v72, v77
	s_delay_alu instid0(VALU_DEP_2) | instskip(NEXT) | instid1(VALU_DEP_1)
	v_add_nc_u32_e32 v74, -1, v76
	v_cndmask_b32_e64 v72, 0, v74, s13
	v_lshrrev_b32_e32 v74, 23, v75
	s_mov_b32 s13, exec_lo
	s_delay_alu instid0(VALU_DEP_2) | instskip(NEXT) | instid1(VALU_DEP_2)
	v_add_nc_u32_e32 v72, v72, v75
	v_xor_b32_e32 v74, 1, v74
	s_delay_alu instid0(VALU_DEP_2) | instskip(NEXT) | instid1(VALU_DEP_1)
	v_and_b32_e32 v62, 0xfffff, v72
	v_add_nc_u32_e32 v72, v62, v75
                                        ; implicit-def: $vgpr62
	s_delay_alu instid0(VALU_DEP_3)
	v_cmpx_ne_u32_e64 v73, v74
	s_xor_b32 s13, exec_lo, s13
; %bb.884:                              ;   in Loop: Header=BB6_393 Depth=4
	s_delay_alu instid0(VALU_DEP_2) | instskip(SKIP_2) | instid1(VALU_DEP_2)
	v_cmp_lt_u32_e32 vcc_lo, 0xffffff, v72
	v_sub_nc_u32_e32 v62, v73, v74
	v_cndmask_b32_e64 v73, 0, 1, vcc_lo
	v_add_co_ci_u32_e32 v62, vcc_lo, 0, v62, vcc_lo
	s_delay_alu instid0(VALU_DEP_2)
	v_lshrrev_b32_e32 v72, v73, v72
; %bb.885:                              ;   in Loop: Header=BB6_393 Depth=4
	s_and_not1_saveexec_b32 s13, s13
; %bb.886:                              ;   in Loop: Header=BB6_393 Depth=4
	s_delay_alu instid0(VALU_DEP_1)
	v_bfe_u32 v62, v72, 23, 1
; %bb.887:                              ;   in Loop: Header=BB6_393 Depth=4
	s_or_b32 exec_lo, exec_lo, s13
	v_lshrrev_b32_e32 v72, 20, v72
	s_delay_alu instid0(VALU_DEP_2) | instskip(SKIP_2) | instid1(VALU_DEP_2)
	v_cmp_gt_i32_e32 vcc_lo, 16, v62
	v_min_i32_e32 v73, 15, v62
	v_lshrrev_b32_e32 v63, 24, v63
	v_dual_cndmask_b32 v72, 7, v72 :: v_dual_lshlrev_b32 v73, 3, v73
	s_delay_alu instid0(VALU_DEP_2) | instskip(NEXT) | instid1(VALU_DEP_2)
	v_and_b32_e32 v63, 0x80, v63
	v_or_b32_e32 v62, v62, v72
	v_and_b32_e32 v74, 7, v72
	s_delay_alu instid0(VALU_DEP_2) | instskip(SKIP_1) | instid1(VALU_DEP_1)
	v_cmp_ne_u32_e32 vcc_lo, 0, v62
	v_and_b32_e32 v73, 0xf8, v73
	v_or3_b32 v63, v73, v63, v74
	s_delay_alu instid0(VALU_DEP_1)
	v_cndmask_b32_e32 v62, 0, v63, vcc_lo
.LBB6_888:                              ;   in Loop: Header=BB6_393 Depth=4
	s_or_b32 exec_lo, exec_lo, s34
.LBB6_889:                              ;   in Loop: Header=BB6_393 Depth=4
	s_delay_alu instid0(SALU_CYCLE_1) | instskip(SKIP_3) | instid1(VALU_DEP_1)
	s_or_b32 exec_lo, exec_lo, s31
	v_lshrrev_b32_e32 v72, 24, v35
	s_mov_b32 s13, 0
	s_mov_b32 s34, exec_lo
                                        ; implicit-def: $sgpr31
	v_cmpx_lt_i16_e32 0x7f, v72
	s_xor_b32 s34, exec_lo, s34
	s_cbranch_execnz .LBB6_1663
; %bb.890:                              ;   in Loop: Header=BB6_393 Depth=4
	s_or_saveexec_b32 s34, s34
	v_mov_b32_e32 v63, s31
	s_xor_b32 exec_lo, exec_lo, s34
	s_cbranch_execnz .LBB6_1666
.LBB6_891:                              ;   in Loop: Header=BB6_393 Depth=4
	s_or_b32 exec_lo, exec_lo, s34
	s_and_saveexec_b32 s31, s13
	s_cbranch_execz .LBB6_893
.LBB6_892:                              ;   in Loop: Header=BB6_393 Depth=4
	v_bfe_u32 v63, v35, 24, 3
	s_delay_alu instid0(VALU_DEP_1) | instskip(NEXT) | instid1(VALU_DEP_1)
	v_clz_i32_u32_e32 v73, v63
	v_min_u32_e32 v73, 32, v73
	s_delay_alu instid0(VALU_DEP_1) | instskip(SKIP_1) | instid1(VALU_DEP_2)
	v_subrev_nc_u32_e32 v74, 28, v73
	v_sub_nc_u32_e32 v73, 29, v73
	v_lshlrev_b32_e32 v72, v74, v72
	v_bfe_u32 v74, v35, 27, 4
	v_and_b32_e32 v35, 0x80000000, v35
	s_delay_alu instid0(VALU_DEP_2) | instskip(NEXT) | instid1(VALU_DEP_4)
	v_cmp_eq_u32_e32 vcc_lo, 0, v74
	v_dual_cndmask_b32 v73, v74, v73 :: v_dual_and_b32 v72, 7, v72
	s_delay_alu instid0(VALU_DEP_1) | instskip(NEXT) | instid1(VALU_DEP_2)
	v_cndmask_b32_e32 v63, v63, v72, vcc_lo
	v_lshl_add_u32 v72, v73, 23, 0x3b800000
	s_delay_alu instid0(VALU_DEP_2) | instskip(NEXT) | instid1(VALU_DEP_1)
	v_lshlrev_b32_e32 v63, 20, v63
	v_or3_b32 v63, v35, v72, v63
.LBB6_893:                              ;   in Loop: Header=BB6_393 Depth=4
	s_or_b32 exec_lo, exec_lo, s31
	v_lshrrev_b32_e32 v35, 24, v27
	s_mov_b32 s13, 0
	s_mov_b32 s34, exec_lo
                                        ; implicit-def: $sgpr31
	s_delay_alu instid0(VALU_DEP_1)
	v_cmpx_lt_i16_e32 0x7f, v35
	s_xor_b32 s34, exec_lo, s34
	s_cbranch_execnz .LBB6_1667
; %bb.894:                              ;   in Loop: Header=BB6_393 Depth=4
	s_or_saveexec_b32 s34, s34
	v_mov_b32_e32 v72, s31
	s_xor_b32 exec_lo, exec_lo, s34
	s_cbranch_execnz .LBB6_1670
.LBB6_895:                              ;   in Loop: Header=BB6_393 Depth=4
	s_or_b32 exec_lo, exec_lo, s34
	s_and_saveexec_b32 s31, s13
	s_cbranch_execz .LBB6_897
.LBB6_896:                              ;   in Loop: Header=BB6_393 Depth=4
	v_bfe_u32 v72, v27, 24, 3
	s_delay_alu instid0(VALU_DEP_1) | instskip(NEXT) | instid1(VALU_DEP_1)
	v_clz_i32_u32_e32 v73, v72
	v_min_u32_e32 v73, 32, v73
	s_delay_alu instid0(VALU_DEP_1) | instskip(SKIP_1) | instid1(VALU_DEP_2)
	v_subrev_nc_u32_e32 v74, 28, v73
	v_sub_nc_u32_e32 v73, 29, v73
	v_lshlrev_b32_e32 v35, v74, v35
	v_bfe_u32 v74, v27, 27, 4
	v_and_b32_e32 v27, 0x80000000, v27
	s_delay_alu instid0(VALU_DEP_3) | instskip(NEXT) | instid1(VALU_DEP_3)
	v_and_b32_e32 v35, 7, v35
	v_cmp_eq_u32_e32 vcc_lo, 0, v74
	v_cndmask_b32_e32 v73, v74, v73, vcc_lo
	s_delay_alu instid0(VALU_DEP_3) | instskip(NEXT) | instid1(VALU_DEP_2)
	v_cndmask_b32_e32 v35, v72, v35, vcc_lo
	v_lshl_add_u32 v72, v73, 23, 0x3b800000
	s_delay_alu instid0(VALU_DEP_2) | instskip(NEXT) | instid1(VALU_DEP_1)
	v_lshlrev_b32_e32 v35, 20, v35
	v_or3_b32 v72, v27, v72, v35
.LBB6_897:                              ;   in Loop: Header=BB6_393 Depth=4
	s_or_b32 exec_lo, exec_lo, s31
	s_delay_alu instid0(VALU_DEP_1) | instskip(NEXT) | instid1(VALU_DEP_1)
	v_add_f32_e32 v35, v63, v72
	v_and_b32_e32 v27, 0x7f800000, v35
	s_delay_alu instid0(VALU_DEP_1)
	v_cmp_ne_u32_e32 vcc_lo, 0x7f800000, v27
	v_mov_b32_e32 v27, 0x8000
	s_and_saveexec_b32 s31, vcc_lo
	s_cbranch_execz .LBB6_905
; %bb.898:                              ;   in Loop: Header=BB6_393 Depth=4
	v_mov_b32_e32 v27, 0
	s_mov_b32 s34, exec_lo
	v_cmpx_ne_u32_e32 0, v35
	s_cbranch_execz .LBB6_904
; %bb.899:                              ;   in Loop: Header=BB6_393 Depth=4
	v_bfe_u32 v27, v35, 23, 8
	s_delay_alu instid0(VALU_DEP_1) | instskip(SKIP_1) | instid1(VALU_DEP_2)
	v_sub_nc_u32_e32 v72, 0x78, v27
	v_cmp_gt_u32_e32 vcc_lo, 0x79, v27
	v_dual_cndmask_b32 v72, 0, v72 :: v_dual_and_b32 v63, 0x7fffff, v35
	s_delay_alu instid0(VALU_DEP_1) | instskip(SKIP_2) | instid1(VALU_DEP_4)
	v_or_b32_e32 v73, 0x800000, v63
	v_cmp_eq_u32_e32 vcc_lo, 0, v27
	v_add_nc_u32_e32 v27, 0xffffff89, v27
	v_cndmask_b32_e64 v72, v72, 0x77, vcc_lo
	s_delay_alu instid0(VALU_DEP_4) | instskip(NEXT) | instid1(VALU_DEP_3)
	v_cndmask_b32_e32 v63, v73, v63, vcc_lo
	v_cndmask_b32_e64 v27, v27, 0xffffff8a, vcc_lo
	s_delay_alu instid0(VALU_DEP_3) | instskip(NEXT) | instid1(VALU_DEP_3)
	v_lshl_add_u32 v73, 0x100000, v72, -1
	v_lshrrev_b32_e32 v74, v72, v63
	v_lshlrev_b32_e64 v76, v72, 0x80000
	s_delay_alu instid0(VALU_DEP_4) | instskip(NEXT) | instid1(VALU_DEP_4)
	v_add_nc_u32_e32 v72, v72, v27
	v_and_b32_e32 v63, v73, v63
	s_delay_alu instid0(VALU_DEP_4) | instskip(NEXT) | instid1(VALU_DEP_2)
	v_bfe_u32 v75, v74, 20, 1
	v_cmp_eq_u32_e64 s13, v63, v76
	s_delay_alu instid0(VALU_DEP_2) | instskip(NEXT) | instid1(VALU_DEP_1)
	v_add_nc_u32_e32 v73, -1, v75
	v_cndmask_b32_e64 v63, 0, v73, s13
	v_lshrrev_b32_e32 v73, 23, v74
	s_mov_b32 s13, exec_lo
	s_delay_alu instid0(VALU_DEP_2) | instskip(NEXT) | instid1(VALU_DEP_2)
	v_add_nc_u32_e32 v63, v63, v74
	v_xor_b32_e32 v73, 1, v73
	s_delay_alu instid0(VALU_DEP_2) | instskip(NEXT) | instid1(VALU_DEP_1)
	v_and_b32_e32 v27, 0xfffff, v63
	v_add_nc_u32_e32 v63, v27, v74
                                        ; implicit-def: $vgpr27
	s_delay_alu instid0(VALU_DEP_3)
	v_cmpx_ne_u32_e64 v72, v73
	s_xor_b32 s13, exec_lo, s13
; %bb.900:                              ;   in Loop: Header=BB6_393 Depth=4
	s_delay_alu instid0(VALU_DEP_2) | instskip(SKIP_2) | instid1(VALU_DEP_2)
	v_cmp_lt_u32_e32 vcc_lo, 0xffffff, v63
	v_sub_nc_u32_e32 v27, v72, v73
	v_cndmask_b32_e64 v72, 0, 1, vcc_lo
	v_add_co_ci_u32_e32 v27, vcc_lo, 0, v27, vcc_lo
	s_delay_alu instid0(VALU_DEP_2)
	v_lshrrev_b32_e32 v63, v72, v63
; %bb.901:                              ;   in Loop: Header=BB6_393 Depth=4
	s_and_not1_saveexec_b32 s13, s13
; %bb.902:                              ;   in Loop: Header=BB6_393 Depth=4
	s_delay_alu instid0(VALU_DEP_1)
	v_bfe_u32 v27, v63, 23, 1
; %bb.903:                              ;   in Loop: Header=BB6_393 Depth=4
	s_or_b32 exec_lo, exec_lo, s13
	v_lshrrev_b32_e32 v63, 20, v63
	s_delay_alu instid0(VALU_DEP_2) | instskip(SKIP_2) | instid1(VALU_DEP_2)
	v_cmp_gt_i32_e32 vcc_lo, 16, v27
	v_min_i32_e32 v72, 15, v27
	v_lshrrev_b32_e32 v35, 24, v35
	v_dual_cndmask_b32 v63, 7, v63 :: v_dual_lshlrev_b32 v72, 3, v72
	s_delay_alu instid0(VALU_DEP_2) | instskip(NEXT) | instid1(VALU_DEP_2)
	v_and_b32_e32 v35, 0x80, v35
	v_or_b32_e32 v27, v27, v63
	v_and_b32_e32 v73, 7, v63
	s_delay_alu instid0(VALU_DEP_2) | instskip(SKIP_1) | instid1(VALU_DEP_1)
	v_cmp_ne_u32_e32 vcc_lo, 0, v27
	v_and_b32_e32 v72, 0xf8, v72
	v_or3_b32 v35, v35, v72, v73
	s_delay_alu instid0(VALU_DEP_1) | instskip(NEXT) | instid1(VALU_DEP_1)
	v_lshlrev_b32_e32 v35, 8, v35
	v_cndmask_b32_e32 v27, 0, v35, vcc_lo
.LBB6_904:                              ;   in Loop: Header=BB6_393 Depth=4
	s_or_b32 exec_lo, exec_lo, s34
.LBB6_905:                              ;   in Loop: Header=BB6_393 Depth=4
	s_delay_alu instid0(SALU_CYCLE_1) | instskip(SKIP_3) | instid1(VALU_DEP_1)
	s_or_b32 exec_lo, exec_lo, s31
	v_and_b32_e32 v63, 0xff, v20
	s_mov_b32 s13, 0
	s_mov_b32 s34, exec_lo
                                        ; implicit-def: $sgpr31
	v_cmpx_lt_i16_e32 0x7f, v63
	s_xor_b32 s34, exec_lo, s34
	s_cbranch_execnz .LBB6_1671
; %bb.906:                              ;   in Loop: Header=BB6_393 Depth=4
	s_or_saveexec_b32 s34, s34
	v_mov_b32_e32 v35, s31
	s_xor_b32 exec_lo, exec_lo, s34
	s_cbranch_execnz .LBB6_1674
.LBB6_907:                              ;   in Loop: Header=BB6_393 Depth=4
	s_or_b32 exec_lo, exec_lo, s34
	s_and_saveexec_b32 s31, s13
	s_cbranch_execz .LBB6_909
.LBB6_908:                              ;   in Loop: Header=BB6_393 Depth=4
	v_and_b32_e32 v35, 7, v20
	v_bfe_u32 v73, v20, 3, 4
	v_lshlrev_b32_e32 v74, 24, v20
	s_delay_alu instid0(VALU_DEP_3) | instskip(NEXT) | instid1(VALU_DEP_3)
	v_clz_i32_u32_e32 v63, v35
	v_cmp_eq_u32_e32 vcc_lo, 0, v73
	s_delay_alu instid0(VALU_DEP_2) | instskip(NEXT) | instid1(VALU_DEP_1)
	v_min_u32_e32 v63, 32, v63
	v_subrev_nc_u32_e32 v72, 28, v63
	v_sub_nc_u32_e32 v63, 29, v63
	s_delay_alu instid0(VALU_DEP_1) | instskip(NEXT) | instid1(VALU_DEP_1)
	v_dual_cndmask_b32 v63, v73, v63 :: v_dual_lshlrev_b32 v72, v72, v20
	v_and_b32_e32 v72, 7, v72
	s_delay_alu instid0(VALU_DEP_2) | instskip(NEXT) | instid1(VALU_DEP_2)
	v_lshl_add_u32 v63, v63, 23, 0x3b800000
	v_dual_cndmask_b32 v35, v35, v72 :: v_dual_and_b32 v72, 0x80000000, v74
	s_delay_alu instid0(VALU_DEP_1) | instskip(NEXT) | instid1(VALU_DEP_1)
	v_lshlrev_b32_e32 v35, 20, v35
	v_or3_b32 v35, v72, v63, v35
.LBB6_909:                              ;   in Loop: Header=BB6_393 Depth=4
	s_or_b32 exec_lo, exec_lo, s31
	s_waitcnt vmcnt(1)
	v_and_b32_e32 v72, 0xff, v16
	s_mov_b32 s13, 0
	s_mov_b32 s34, exec_lo
                                        ; implicit-def: $sgpr31
	s_delay_alu instid0(VALU_DEP_1)
	v_cmpx_lt_i16_e32 0x7f, v72
	s_xor_b32 s34, exec_lo, s34
	s_cbranch_execnz .LBB6_1675
; %bb.910:                              ;   in Loop: Header=BB6_393 Depth=4
	s_or_saveexec_b32 s34, s34
	v_mov_b32_e32 v63, s31
	s_xor_b32 exec_lo, exec_lo, s34
	s_cbranch_execnz .LBB6_1678
.LBB6_911:                              ;   in Loop: Header=BB6_393 Depth=4
	s_or_b32 exec_lo, exec_lo, s34
	s_and_saveexec_b32 s31, s13
	s_cbranch_execz .LBB6_913
.LBB6_912:                              ;   in Loop: Header=BB6_393 Depth=4
	v_and_b32_e32 v63, 7, v16
	v_bfe_u32 v74, v16, 3, 4
	v_lshlrev_b32_e32 v75, 24, v16
	s_delay_alu instid0(VALU_DEP_3) | instskip(NEXT) | instid1(VALU_DEP_3)
	v_clz_i32_u32_e32 v72, v63
	v_cmp_eq_u32_e32 vcc_lo, 0, v74
	s_delay_alu instid0(VALU_DEP_2) | instskip(NEXT) | instid1(VALU_DEP_1)
	v_min_u32_e32 v72, 32, v72
	v_subrev_nc_u32_e32 v73, 28, v72
	v_sub_nc_u32_e32 v72, 29, v72
	s_delay_alu instid0(VALU_DEP_2) | instskip(NEXT) | instid1(VALU_DEP_1)
	v_lshlrev_b32_e32 v73, v73, v16
	v_dual_cndmask_b32 v72, v74, v72 :: v_dual_and_b32 v73, 7, v73
	s_delay_alu instid0(VALU_DEP_1) | instskip(NEXT) | instid1(VALU_DEP_2)
	v_lshl_add_u32 v72, v72, 23, 0x3b800000
	v_cndmask_b32_e32 v63, v63, v73, vcc_lo
	v_and_b32_e32 v73, 0x80000000, v75
	s_delay_alu instid0(VALU_DEP_2) | instskip(NEXT) | instid1(VALU_DEP_1)
	v_lshlrev_b32_e32 v63, 20, v63
	v_or3_b32 v63, v73, v72, v63
.LBB6_913:                              ;   in Loop: Header=BB6_393 Depth=4
	s_or_b32 exec_lo, exec_lo, s31
	s_delay_alu instid0(VALU_DEP_1) | instskip(NEXT) | instid1(VALU_DEP_1)
	v_add_f32_e32 v63, v35, v63
	v_and_b32_e32 v35, 0x7f800000, v63
	s_delay_alu instid0(VALU_DEP_1)
	v_cmp_ne_u32_e32 vcc_lo, 0x7f800000, v35
	v_mov_b32_e32 v35, 0x80
	s_and_saveexec_b32 s31, vcc_lo
	s_cbranch_execz .LBB6_921
; %bb.914:                              ;   in Loop: Header=BB6_393 Depth=4
	v_mov_b32_e32 v35, 0
	s_mov_b32 s34, exec_lo
	v_cmpx_ne_u32_e32 0, v63
	s_cbranch_execz .LBB6_920
; %bb.915:                              ;   in Loop: Header=BB6_393 Depth=4
	v_bfe_u32 v35, v63, 23, 8
	s_delay_alu instid0(VALU_DEP_1) | instskip(SKIP_1) | instid1(VALU_DEP_2)
	v_sub_nc_u32_e32 v73, 0x78, v35
	v_cmp_gt_u32_e32 vcc_lo, 0x79, v35
	v_dual_cndmask_b32 v73, 0, v73 :: v_dual_and_b32 v72, 0x7fffff, v63
	s_delay_alu instid0(VALU_DEP_1) | instskip(SKIP_2) | instid1(VALU_DEP_4)
	v_or_b32_e32 v74, 0x800000, v72
	v_cmp_eq_u32_e32 vcc_lo, 0, v35
	v_add_nc_u32_e32 v35, 0xffffff89, v35
	v_cndmask_b32_e64 v73, v73, 0x77, vcc_lo
	s_delay_alu instid0(VALU_DEP_4) | instskip(NEXT) | instid1(VALU_DEP_3)
	v_cndmask_b32_e32 v72, v74, v72, vcc_lo
	v_cndmask_b32_e64 v35, v35, 0xffffff8a, vcc_lo
	s_delay_alu instid0(VALU_DEP_3) | instskip(NEXT) | instid1(VALU_DEP_3)
	v_lshl_add_u32 v74, 0x100000, v73, -1
	v_lshrrev_b32_e32 v75, v73, v72
	v_lshlrev_b32_e64 v77, v73, 0x80000
	s_delay_alu instid0(VALU_DEP_4) | instskip(NEXT) | instid1(VALU_DEP_4)
	v_add_nc_u32_e32 v73, v73, v35
	v_and_b32_e32 v72, v74, v72
	s_delay_alu instid0(VALU_DEP_4) | instskip(NEXT) | instid1(VALU_DEP_2)
	v_bfe_u32 v76, v75, 20, 1
	v_cmp_eq_u32_e64 s13, v72, v77
	s_delay_alu instid0(VALU_DEP_2) | instskip(NEXT) | instid1(VALU_DEP_1)
	v_add_nc_u32_e32 v74, -1, v76
	v_cndmask_b32_e64 v72, 0, v74, s13
	v_lshrrev_b32_e32 v74, 23, v75
	s_mov_b32 s13, exec_lo
	s_delay_alu instid0(VALU_DEP_2) | instskip(NEXT) | instid1(VALU_DEP_2)
	v_add_nc_u32_e32 v72, v72, v75
	v_xor_b32_e32 v74, 1, v74
	s_delay_alu instid0(VALU_DEP_2) | instskip(NEXT) | instid1(VALU_DEP_1)
	v_and_b32_e32 v35, 0xfffff, v72
	v_add_nc_u32_e32 v72, v35, v75
                                        ; implicit-def: $vgpr35
	s_delay_alu instid0(VALU_DEP_3)
	v_cmpx_ne_u32_e64 v73, v74
	s_xor_b32 s13, exec_lo, s13
; %bb.916:                              ;   in Loop: Header=BB6_393 Depth=4
	s_delay_alu instid0(VALU_DEP_2) | instskip(SKIP_2) | instid1(VALU_DEP_2)
	v_cmp_lt_u32_e32 vcc_lo, 0xffffff, v72
	v_sub_nc_u32_e32 v35, v73, v74
	v_cndmask_b32_e64 v73, 0, 1, vcc_lo
	v_add_co_ci_u32_e32 v35, vcc_lo, 0, v35, vcc_lo
	s_delay_alu instid0(VALU_DEP_2)
	v_lshrrev_b32_e32 v72, v73, v72
; %bb.917:                              ;   in Loop: Header=BB6_393 Depth=4
	s_and_not1_saveexec_b32 s13, s13
; %bb.918:                              ;   in Loop: Header=BB6_393 Depth=4
	s_delay_alu instid0(VALU_DEP_1)
	v_bfe_u32 v35, v72, 23, 1
; %bb.919:                              ;   in Loop: Header=BB6_393 Depth=4
	s_or_b32 exec_lo, exec_lo, s13
	v_lshrrev_b32_e32 v72, 20, v72
	s_delay_alu instid0(VALU_DEP_2) | instskip(SKIP_2) | instid1(VALU_DEP_2)
	v_cmp_gt_i32_e32 vcc_lo, 16, v35
	v_lshrrev_b32_e32 v63, 24, v63
	v_min_i32_e32 v73, 15, v35
	v_dual_cndmask_b32 v72, 7, v72 :: v_dual_and_b32 v63, 0x80, v63
	s_delay_alu instid0(VALU_DEP_2) | instskip(NEXT) | instid1(VALU_DEP_2)
	v_lshlrev_b32_e32 v73, 3, v73
	v_or_b32_e32 v35, v35, v72
	s_delay_alu instid0(VALU_DEP_1) | instskip(SKIP_1) | instid1(VALU_DEP_1)
	v_cmp_ne_u32_e32 vcc_lo, 0, v35
	v_and_b32_e32 v74, 7, v72
	v_or3_b32 v63, v73, v63, v74
	s_delay_alu instid0(VALU_DEP_1)
	v_cndmask_b32_e32 v35, 0, v63, vcc_lo
.LBB6_920:                              ;   in Loop: Header=BB6_393 Depth=4
	s_or_b32 exec_lo, exec_lo, s34
.LBB6_921:                              ;   in Loop: Header=BB6_393 Depth=4
	s_delay_alu instid0(SALU_CYCLE_1) | instskip(SKIP_3) | instid1(VALU_DEP_1)
	s_or_b32 exec_lo, exec_lo, s31
	v_lshrrev_b16 v72, 8, v20
	s_mov_b32 s13, 0
	s_mov_b32 s34, exec_lo
                                        ; implicit-def: $sgpr31
	v_cmpx_lt_i16_e32 0x7f, v72
	s_xor_b32 s34, exec_lo, s34
	s_cbranch_execnz .LBB6_1679
; %bb.922:                              ;   in Loop: Header=BB6_393 Depth=4
	s_or_saveexec_b32 s34, s34
	v_mov_b32_e32 v63, s31
	s_xor_b32 exec_lo, exec_lo, s34
	s_cbranch_execnz .LBB6_1682
.LBB6_923:                              ;   in Loop: Header=BB6_393 Depth=4
	s_or_b32 exec_lo, exec_lo, s34
	s_and_saveexec_b32 s31, s13
	s_cbranch_execz .LBB6_925
.LBB6_924:                              ;   in Loop: Header=BB6_393 Depth=4
	v_and_b32_e32 v63, 0xffff, v72
	s_delay_alu instid0(VALU_DEP_1) | instskip(NEXT) | instid1(VALU_DEP_1)
	v_and_b32_e32 v73, 7, v63
	v_clz_i32_u32_e32 v74, v73
	s_delay_alu instid0(VALU_DEP_1) | instskip(NEXT) | instid1(VALU_DEP_1)
	v_min_u32_e32 v74, 32, v74
	v_subrev_nc_u32_e32 v75, 28, v74
	v_sub_nc_u32_e32 v74, 29, v74
	s_delay_alu instid0(VALU_DEP_2) | instskip(SKIP_1) | instid1(VALU_DEP_2)
	v_lshlrev_b32_e32 v75, v75, v63
	v_bfe_u32 v63, v63, 3, 4
	v_and_b32_e32 v75, 7, v75
	s_delay_alu instid0(VALU_DEP_2) | instskip(SKIP_1) | instid1(VALU_DEP_1)
	v_cmp_eq_u32_e32 vcc_lo, 0, v63
	v_dual_cndmask_b32 v63, v63, v74 :: v_dual_lshlrev_b32 v72, 24, v72
	v_dual_cndmask_b32 v73, v73, v75 :: v_dual_and_b32 v72, 0x80000000, v72
	s_delay_alu instid0(VALU_DEP_2) | instskip(NEXT) | instid1(VALU_DEP_2)
	v_lshl_add_u32 v63, v63, 23, 0x3b800000
	v_lshlrev_b32_e32 v73, 20, v73
	s_delay_alu instid0(VALU_DEP_1)
	v_or3_b32 v63, v72, v63, v73
.LBB6_925:                              ;   in Loop: Header=BB6_393 Depth=4
	s_or_b32 exec_lo, exec_lo, s31
	v_lshrrev_b16 v72, 8, v16
	s_mov_b32 s13, 0
	s_mov_b32 s34, exec_lo
                                        ; implicit-def: $sgpr31
	s_delay_alu instid0(VALU_DEP_1)
	v_cmpx_lt_i16_e32 0x7f, v72
	s_xor_b32 s34, exec_lo, s34
	s_cbranch_execnz .LBB6_1683
; %bb.926:                              ;   in Loop: Header=BB6_393 Depth=4
	s_or_saveexec_b32 s34, s34
	v_mov_b32_e32 v73, s31
	s_xor_b32 exec_lo, exec_lo, s34
	s_cbranch_execnz .LBB6_1686
.LBB6_927:                              ;   in Loop: Header=BB6_393 Depth=4
	s_or_b32 exec_lo, exec_lo, s34
	s_and_saveexec_b32 s31, s13
	s_cbranch_execz .LBB6_929
.LBB6_928:                              ;   in Loop: Header=BB6_393 Depth=4
	v_and_b32_e32 v73, 0xffff, v72
	v_lshlrev_b32_e32 v72, 24, v72
	s_delay_alu instid0(VALU_DEP_2) | instskip(NEXT) | instid1(VALU_DEP_2)
	v_and_b32_e32 v74, 7, v73
	v_and_b32_e32 v72, 0x80000000, v72
	s_delay_alu instid0(VALU_DEP_2) | instskip(NEXT) | instid1(VALU_DEP_1)
	v_clz_i32_u32_e32 v75, v74
	v_min_u32_e32 v75, 32, v75
	s_delay_alu instid0(VALU_DEP_1) | instskip(SKIP_1) | instid1(VALU_DEP_2)
	v_subrev_nc_u32_e32 v76, 28, v75
	v_sub_nc_u32_e32 v75, 29, v75
	v_lshlrev_b32_e32 v76, v76, v73
	v_bfe_u32 v73, v73, 3, 4
	s_delay_alu instid0(VALU_DEP_2) | instskip(NEXT) | instid1(VALU_DEP_2)
	v_and_b32_e32 v76, 7, v76
	v_cmp_eq_u32_e32 vcc_lo, 0, v73
	s_delay_alu instid0(VALU_DEP_2) | instskip(NEXT) | instid1(VALU_DEP_1)
	v_dual_cndmask_b32 v73, v73, v75 :: v_dual_cndmask_b32 v74, v74, v76
	v_lshl_add_u32 v73, v73, 23, 0x3b800000
	s_delay_alu instid0(VALU_DEP_2) | instskip(NEXT) | instid1(VALU_DEP_1)
	v_lshlrev_b32_e32 v74, 20, v74
	v_or3_b32 v73, v72, v73, v74
.LBB6_929:                              ;   in Loop: Header=BB6_393 Depth=4
	s_or_b32 exec_lo, exec_lo, s31
	s_delay_alu instid0(VALU_DEP_1) | instskip(NEXT) | instid1(VALU_DEP_1)
	v_add_f32_e32 v72, v63, v73
	v_and_b32_e32 v63, 0x7f800000, v72
	s_delay_alu instid0(VALU_DEP_1)
	v_cmp_ne_u32_e32 vcc_lo, 0x7f800000, v63
	v_mov_b32_e32 v63, 0x80
	s_and_saveexec_b32 s31, vcc_lo
	s_cbranch_execz .LBB6_937
; %bb.930:                              ;   in Loop: Header=BB6_393 Depth=4
	v_mov_b32_e32 v63, 0
	s_mov_b32 s34, exec_lo
	v_cmpx_ne_u32_e32 0, v72
	s_cbranch_execz .LBB6_936
; %bb.931:                              ;   in Loop: Header=BB6_393 Depth=4
	v_bfe_u32 v63, v72, 23, 8
	s_delay_alu instid0(VALU_DEP_1) | instskip(SKIP_1) | instid1(VALU_DEP_2)
	v_sub_nc_u32_e32 v74, 0x78, v63
	v_cmp_gt_u32_e32 vcc_lo, 0x79, v63
	v_dual_cndmask_b32 v74, 0, v74 :: v_dual_and_b32 v73, 0x7fffff, v72
	s_delay_alu instid0(VALU_DEP_1) | instskip(SKIP_2) | instid1(VALU_DEP_4)
	v_or_b32_e32 v75, 0x800000, v73
	v_cmp_eq_u32_e32 vcc_lo, 0, v63
	v_add_nc_u32_e32 v63, 0xffffff89, v63
	v_cndmask_b32_e64 v74, v74, 0x77, vcc_lo
	s_delay_alu instid0(VALU_DEP_2) | instskip(SKIP_1) | instid1(VALU_DEP_3)
	v_cndmask_b32_e64 v63, v63, 0xffffff8a, vcc_lo
	v_cndmask_b32_e32 v73, v75, v73, vcc_lo
	v_lshl_add_u32 v75, 0x100000, v74, -1
	v_lshlrev_b32_e64 v78, v74, 0x80000
	s_delay_alu instid0(VALU_DEP_3) | instskip(SKIP_1) | instid1(VALU_DEP_4)
	v_lshrrev_b32_e32 v76, v74, v73
	v_add_nc_u32_e32 v74, v74, v63
	v_and_b32_e32 v73, v75, v73
	s_delay_alu instid0(VALU_DEP_3) | instskip(NEXT) | instid1(VALU_DEP_2)
	v_bfe_u32 v77, v76, 20, 1
	v_cmp_eq_u32_e64 s13, v73, v78
	s_delay_alu instid0(VALU_DEP_2) | instskip(NEXT) | instid1(VALU_DEP_1)
	v_add_nc_u32_e32 v75, -1, v77
	v_cndmask_b32_e64 v73, 0, v75, s13
	v_lshrrev_b32_e32 v75, 23, v76
	s_mov_b32 s13, exec_lo
	s_delay_alu instid0(VALU_DEP_2) | instskip(NEXT) | instid1(VALU_DEP_2)
	v_add_nc_u32_e32 v73, v73, v76
	v_xor_b32_e32 v75, 1, v75
	s_delay_alu instid0(VALU_DEP_2) | instskip(NEXT) | instid1(VALU_DEP_1)
	v_and_b32_e32 v63, 0xfffff, v73
	v_add_nc_u32_e32 v73, v63, v76
                                        ; implicit-def: $vgpr63
	s_delay_alu instid0(VALU_DEP_3)
	v_cmpx_ne_u32_e64 v74, v75
	s_xor_b32 s13, exec_lo, s13
; %bb.932:                              ;   in Loop: Header=BB6_393 Depth=4
	s_delay_alu instid0(VALU_DEP_2) | instskip(SKIP_2) | instid1(VALU_DEP_2)
	v_cmp_lt_u32_e32 vcc_lo, 0xffffff, v73
	v_sub_nc_u32_e32 v63, v74, v75
	v_cndmask_b32_e64 v74, 0, 1, vcc_lo
	v_add_co_ci_u32_e32 v63, vcc_lo, 0, v63, vcc_lo
	s_delay_alu instid0(VALU_DEP_2)
	v_lshrrev_b32_e32 v73, v74, v73
; %bb.933:                              ;   in Loop: Header=BB6_393 Depth=4
	s_and_not1_saveexec_b32 s13, s13
; %bb.934:                              ;   in Loop: Header=BB6_393 Depth=4
	s_delay_alu instid0(VALU_DEP_1)
	v_bfe_u32 v63, v73, 23, 1
; %bb.935:                              ;   in Loop: Header=BB6_393 Depth=4
	s_or_b32 exec_lo, exec_lo, s13
	v_lshrrev_b32_e32 v73, 20, v73
	s_delay_alu instid0(VALU_DEP_2) | instskip(SKIP_2) | instid1(VALU_DEP_2)
	v_cmp_gt_i32_e32 vcc_lo, 16, v63
	v_lshrrev_b32_e32 v72, 24, v72
	v_min_i32_e32 v74, 15, v63
	v_dual_cndmask_b32 v73, 7, v73 :: v_dual_and_b32 v72, 0x80, v72
	s_delay_alu instid0(VALU_DEP_1) | instskip(SKIP_1) | instid1(VALU_DEP_2)
	v_or_b32_e32 v63, v63, v73
	v_and_b32_e32 v75, 7, v73
	v_cmp_ne_u32_e32 vcc_lo, 0, v63
	v_lshlrev_b32_e32 v74, 3, v74
	s_delay_alu instid0(VALU_DEP_1) | instskip(NEXT) | instid1(VALU_DEP_1)
	v_or3_b32 v72, v74, v72, v75
	v_cndmask_b32_e32 v63, 0, v72, vcc_lo
.LBB6_936:                              ;   in Loop: Header=BB6_393 Depth=4
	s_or_b32 exec_lo, exec_lo, s34
.LBB6_937:                              ;   in Loop: Header=BB6_393 Depth=4
	s_delay_alu instid0(SALU_CYCLE_1) | instskip(SKIP_3) | instid1(VALU_DEP_1)
	s_or_b32 exec_lo, exec_lo, s31
	v_lshrrev_b32_e32 v73, 16, v20
	s_mov_b32 s13, 0
	s_mov_b32 s34, exec_lo
                                        ; implicit-def: $sgpr31
	v_and_b32_e32 v74, 0xff, v73
	s_delay_alu instid0(VALU_DEP_1)
	v_cmpx_lt_i16_e32 0x7f, v74
	s_xor_b32 s34, exec_lo, s34
	s_cbranch_execnz .LBB6_1687
; %bb.938:                              ;   in Loop: Header=BB6_393 Depth=4
	s_or_saveexec_b32 s34, s34
	v_mov_b32_e32 v72, s31
	s_xor_b32 exec_lo, exec_lo, s34
	s_cbranch_execnz .LBB6_1690
.LBB6_939:                              ;   in Loop: Header=BB6_393 Depth=4
	s_or_b32 exec_lo, exec_lo, s34
	s_and_saveexec_b32 s31, s13
	s_cbranch_execz .LBB6_941
.LBB6_940:                              ;   in Loop: Header=BB6_393 Depth=4
	v_bfe_u32 v72, v20, 16, 3
	v_lshlrev_b32_e32 v76, 8, v20
	s_delay_alu instid0(VALU_DEP_2) | instskip(NEXT) | instid1(VALU_DEP_1)
	v_clz_i32_u32_e32 v74, v72
	v_min_u32_e32 v74, 32, v74
	s_delay_alu instid0(VALU_DEP_1) | instskip(SKIP_1) | instid1(VALU_DEP_2)
	v_subrev_nc_u32_e32 v75, 28, v74
	v_sub_nc_u32_e32 v74, 29, v74
	v_lshlrev_b32_e32 v73, v75, v73
	v_bfe_u32 v75, v20, 19, 4
	s_delay_alu instid0(VALU_DEP_1) | instskip(NEXT) | instid1(VALU_DEP_3)
	v_cmp_eq_u32_e32 vcc_lo, 0, v75
	v_dual_cndmask_b32 v74, v75, v74 :: v_dual_and_b32 v73, 7, v73
	s_delay_alu instid0(VALU_DEP_1) | instskip(NEXT) | instid1(VALU_DEP_2)
	v_dual_cndmask_b32 v72, v72, v73 :: v_dual_and_b32 v73, 0x80000000, v76
	v_lshl_add_u32 v74, v74, 23, 0x3b800000
	s_delay_alu instid0(VALU_DEP_2) | instskip(NEXT) | instid1(VALU_DEP_1)
	v_lshlrev_b32_e32 v72, 20, v72
	v_or3_b32 v72, v73, v74, v72
.LBB6_941:                              ;   in Loop: Header=BB6_393 Depth=4
	s_or_b32 exec_lo, exec_lo, s31
	v_lshrrev_b32_e32 v73, 16, v16
	s_mov_b32 s13, 0
	s_mov_b32 s34, exec_lo
                                        ; implicit-def: $sgpr31
	s_delay_alu instid0(VALU_DEP_1) | instskip(NEXT) | instid1(VALU_DEP_1)
	v_and_b32_e32 v75, 0xff, v73
	v_cmpx_lt_i16_e32 0x7f, v75
	s_xor_b32 s34, exec_lo, s34
	s_cbranch_execnz .LBB6_1691
; %bb.942:                              ;   in Loop: Header=BB6_393 Depth=4
	s_or_saveexec_b32 s34, s34
	v_mov_b32_e32 v74, s31
	s_xor_b32 exec_lo, exec_lo, s34
	s_cbranch_execnz .LBB6_1694
.LBB6_943:                              ;   in Loop: Header=BB6_393 Depth=4
	s_or_b32 exec_lo, exec_lo, s34
	s_and_saveexec_b32 s31, s13
	s_cbranch_execz .LBB6_945
.LBB6_944:                              ;   in Loop: Header=BB6_393 Depth=4
	v_bfe_u32 v74, v16, 16, 3
	v_lshlrev_b32_e32 v77, 8, v16
	s_delay_alu instid0(VALU_DEP_2) | instskip(NEXT) | instid1(VALU_DEP_1)
	v_clz_i32_u32_e32 v75, v74
	v_min_u32_e32 v75, 32, v75
	s_delay_alu instid0(VALU_DEP_1) | instskip(SKIP_1) | instid1(VALU_DEP_2)
	v_subrev_nc_u32_e32 v76, 28, v75
	v_sub_nc_u32_e32 v75, 29, v75
	v_lshlrev_b32_e32 v73, v76, v73
	v_bfe_u32 v76, v16, 19, 4
	s_delay_alu instid0(VALU_DEP_2) | instskip(NEXT) | instid1(VALU_DEP_2)
	v_and_b32_e32 v73, 7, v73
	v_cmp_eq_u32_e32 vcc_lo, 0, v76
	v_cndmask_b32_e32 v75, v76, v75, vcc_lo
	s_delay_alu instid0(VALU_DEP_3) | instskip(SKIP_1) | instid1(VALU_DEP_3)
	v_cndmask_b32_e32 v73, v74, v73, vcc_lo
	v_and_b32_e32 v74, 0x80000000, v77
	v_lshl_add_u32 v75, v75, 23, 0x3b800000
	s_delay_alu instid0(VALU_DEP_3) | instskip(NEXT) | instid1(VALU_DEP_1)
	v_lshlrev_b32_e32 v73, 20, v73
	v_or3_b32 v74, v74, v75, v73
.LBB6_945:                              ;   in Loop: Header=BB6_393 Depth=4
	s_or_b32 exec_lo, exec_lo, s31
	s_delay_alu instid0(VALU_DEP_1) | instskip(NEXT) | instid1(VALU_DEP_1)
	v_add_f32_e32 v73, v72, v74
	v_and_b32_e32 v72, 0x7f800000, v73
	s_delay_alu instid0(VALU_DEP_1)
	v_cmp_ne_u32_e32 vcc_lo, 0x7f800000, v72
	v_mov_b32_e32 v72, 0x80
	s_and_saveexec_b32 s31, vcc_lo
	s_cbranch_execz .LBB6_953
; %bb.946:                              ;   in Loop: Header=BB6_393 Depth=4
	v_mov_b32_e32 v72, 0
	s_mov_b32 s34, exec_lo
	v_cmpx_ne_u32_e32 0, v73
	s_cbranch_execz .LBB6_952
; %bb.947:                              ;   in Loop: Header=BB6_393 Depth=4
	v_bfe_u32 v72, v73, 23, 8
	s_delay_alu instid0(VALU_DEP_1) | instskip(SKIP_1) | instid1(VALU_DEP_2)
	v_sub_nc_u32_e32 v75, 0x78, v72
	v_cmp_gt_u32_e32 vcc_lo, 0x79, v72
	v_dual_cndmask_b32 v75, 0, v75 :: v_dual_and_b32 v74, 0x7fffff, v73
	s_delay_alu instid0(VALU_DEP_1) | instskip(SKIP_2) | instid1(VALU_DEP_4)
	v_or_b32_e32 v76, 0x800000, v74
	v_cmp_eq_u32_e32 vcc_lo, 0, v72
	v_add_nc_u32_e32 v72, 0xffffff89, v72
	v_cndmask_b32_e64 v75, v75, 0x77, vcc_lo
	s_delay_alu instid0(VALU_DEP_2) | instskip(SKIP_1) | instid1(VALU_DEP_3)
	v_cndmask_b32_e64 v72, v72, 0xffffff8a, vcc_lo
	v_cndmask_b32_e32 v74, v76, v74, vcc_lo
	v_lshl_add_u32 v76, 0x100000, v75, -1
	v_lshlrev_b32_e64 v79, v75, 0x80000
	s_delay_alu instid0(VALU_DEP_3) | instskip(SKIP_1) | instid1(VALU_DEP_4)
	v_lshrrev_b32_e32 v77, v75, v74
	v_add_nc_u32_e32 v75, v75, v72
	v_and_b32_e32 v74, v76, v74
	s_delay_alu instid0(VALU_DEP_3) | instskip(NEXT) | instid1(VALU_DEP_2)
	v_bfe_u32 v78, v77, 20, 1
	v_cmp_eq_u32_e64 s13, v74, v79
	s_delay_alu instid0(VALU_DEP_2) | instskip(NEXT) | instid1(VALU_DEP_1)
	v_add_nc_u32_e32 v76, -1, v78
	v_cndmask_b32_e64 v74, 0, v76, s13
	v_lshrrev_b32_e32 v76, 23, v77
	s_mov_b32 s13, exec_lo
	s_delay_alu instid0(VALU_DEP_2) | instskip(NEXT) | instid1(VALU_DEP_2)
	v_add_nc_u32_e32 v74, v74, v77
	v_xor_b32_e32 v76, 1, v76
	s_delay_alu instid0(VALU_DEP_2) | instskip(NEXT) | instid1(VALU_DEP_1)
	v_and_b32_e32 v72, 0xfffff, v74
	v_add_nc_u32_e32 v74, v72, v77
                                        ; implicit-def: $vgpr72
	s_delay_alu instid0(VALU_DEP_3)
	v_cmpx_ne_u32_e64 v75, v76
	s_xor_b32 s13, exec_lo, s13
; %bb.948:                              ;   in Loop: Header=BB6_393 Depth=4
	s_delay_alu instid0(VALU_DEP_2) | instskip(SKIP_2) | instid1(VALU_DEP_2)
	v_cmp_lt_u32_e32 vcc_lo, 0xffffff, v74
	v_sub_nc_u32_e32 v72, v75, v76
	v_cndmask_b32_e64 v75, 0, 1, vcc_lo
	v_add_co_ci_u32_e32 v72, vcc_lo, 0, v72, vcc_lo
	s_delay_alu instid0(VALU_DEP_2)
	v_lshrrev_b32_e32 v74, v75, v74
; %bb.949:                              ;   in Loop: Header=BB6_393 Depth=4
	s_and_not1_saveexec_b32 s13, s13
; %bb.950:                              ;   in Loop: Header=BB6_393 Depth=4
	s_delay_alu instid0(VALU_DEP_1)
	v_bfe_u32 v72, v74, 23, 1
; %bb.951:                              ;   in Loop: Header=BB6_393 Depth=4
	s_or_b32 exec_lo, exec_lo, s13
	v_lshrrev_b32_e32 v74, 20, v74
	s_delay_alu instid0(VALU_DEP_2) | instskip(SKIP_2) | instid1(VALU_DEP_2)
	v_cmp_gt_i32_e32 vcc_lo, 16, v72
	v_lshrrev_b32_e32 v73, 24, v73
	v_min_i32_e32 v75, 15, v72
	v_dual_cndmask_b32 v74, 7, v74 :: v_dual_and_b32 v73, 0x80, v73
	s_delay_alu instid0(VALU_DEP_1) | instskip(SKIP_1) | instid1(VALU_DEP_2)
	v_or_b32_e32 v72, v72, v74
	v_and_b32_e32 v76, 7, v74
	v_cmp_ne_u32_e32 vcc_lo, 0, v72
	v_lshlrev_b32_e32 v75, 3, v75
	s_delay_alu instid0(VALU_DEP_1) | instskip(NEXT) | instid1(VALU_DEP_1)
	v_or3_b32 v73, v75, v73, v76
	v_cndmask_b32_e32 v72, 0, v73, vcc_lo
.LBB6_952:                              ;   in Loop: Header=BB6_393 Depth=4
	s_or_b32 exec_lo, exec_lo, s34
.LBB6_953:                              ;   in Loop: Header=BB6_393 Depth=4
	s_delay_alu instid0(SALU_CYCLE_1) | instskip(SKIP_3) | instid1(VALU_DEP_1)
	s_or_b32 exec_lo, exec_lo, s31
	v_lshrrev_b32_e32 v74, 24, v20
	s_mov_b32 s13, 0
	s_mov_b32 s34, exec_lo
                                        ; implicit-def: $sgpr31
	v_cmpx_lt_i16_e32 0x7f, v74
	s_xor_b32 s34, exec_lo, s34
	s_cbranch_execnz .LBB6_1695
; %bb.954:                              ;   in Loop: Header=BB6_393 Depth=4
	s_or_saveexec_b32 s34, s34
	v_mov_b32_e32 v73, s31
	s_xor_b32 exec_lo, exec_lo, s34
	s_cbranch_execnz .LBB6_1698
.LBB6_955:                              ;   in Loop: Header=BB6_393 Depth=4
	s_or_b32 exec_lo, exec_lo, s34
	s_and_saveexec_b32 s31, s13
	s_cbranch_execz .LBB6_957
.LBB6_956:                              ;   in Loop: Header=BB6_393 Depth=4
	v_bfe_u32 v73, v20, 24, 3
	s_delay_alu instid0(VALU_DEP_1) | instskip(NEXT) | instid1(VALU_DEP_1)
	v_clz_i32_u32_e32 v75, v73
	v_min_u32_e32 v75, 32, v75
	s_delay_alu instid0(VALU_DEP_1) | instskip(SKIP_1) | instid1(VALU_DEP_2)
	v_subrev_nc_u32_e32 v76, 28, v75
	v_sub_nc_u32_e32 v75, 29, v75
	v_lshlrev_b32_e32 v74, v76, v74
	v_bfe_u32 v76, v20, 27, 4
	v_and_b32_e32 v20, 0x80000000, v20
	s_delay_alu instid0(VALU_DEP_2) | instskip(NEXT) | instid1(VALU_DEP_4)
	v_cmp_eq_u32_e32 vcc_lo, 0, v76
	v_dual_cndmask_b32 v75, v76, v75 :: v_dual_and_b32 v74, 7, v74
	s_delay_alu instid0(VALU_DEP_1) | instskip(NEXT) | instid1(VALU_DEP_2)
	v_cndmask_b32_e32 v73, v73, v74, vcc_lo
	v_lshl_add_u32 v74, v75, 23, 0x3b800000
	s_delay_alu instid0(VALU_DEP_2) | instskip(NEXT) | instid1(VALU_DEP_1)
	v_lshlrev_b32_e32 v73, 20, v73
	v_or3_b32 v73, v20, v74, v73
.LBB6_957:                              ;   in Loop: Header=BB6_393 Depth=4
	s_or_b32 exec_lo, exec_lo, s31
	v_lshrrev_b32_e32 v20, 24, v16
	s_mov_b32 s13, 0
	s_mov_b32 s34, exec_lo
                                        ; implicit-def: $sgpr31
	s_delay_alu instid0(VALU_DEP_1)
	v_cmpx_lt_i16_e32 0x7f, v20
	s_xor_b32 s34, exec_lo, s34
	s_cbranch_execnz .LBB6_1699
; %bb.958:                              ;   in Loop: Header=BB6_393 Depth=4
	s_or_saveexec_b32 s34, s34
	v_mov_b32_e32 v74, s31
	s_xor_b32 exec_lo, exec_lo, s34
	s_cbranch_execnz .LBB6_1702
.LBB6_959:                              ;   in Loop: Header=BB6_393 Depth=4
	s_or_b32 exec_lo, exec_lo, s34
	s_and_saveexec_b32 s31, s13
	s_cbranch_execz .LBB6_961
.LBB6_960:                              ;   in Loop: Header=BB6_393 Depth=4
	v_bfe_u32 v74, v16, 24, 3
	s_delay_alu instid0(VALU_DEP_1) | instskip(NEXT) | instid1(VALU_DEP_1)
	v_clz_i32_u32_e32 v75, v74
	v_min_u32_e32 v75, 32, v75
	s_delay_alu instid0(VALU_DEP_1) | instskip(SKIP_1) | instid1(VALU_DEP_2)
	v_subrev_nc_u32_e32 v76, 28, v75
	v_sub_nc_u32_e32 v75, 29, v75
	v_lshlrev_b32_e32 v20, v76, v20
	v_bfe_u32 v76, v16, 27, 4
	v_and_b32_e32 v16, 0x80000000, v16
	s_delay_alu instid0(VALU_DEP_2) | instskip(NEXT) | instid1(VALU_DEP_4)
	v_cmp_eq_u32_e32 vcc_lo, 0, v76
	v_dual_cndmask_b32 v75, v76, v75 :: v_dual_and_b32 v20, 7, v20
	s_delay_alu instid0(VALU_DEP_1) | instskip(NEXT) | instid1(VALU_DEP_2)
	v_cndmask_b32_e32 v20, v74, v20, vcc_lo
	v_lshl_add_u32 v74, v75, 23, 0x3b800000
	s_delay_alu instid0(VALU_DEP_2) | instskip(NEXT) | instid1(VALU_DEP_1)
	v_lshlrev_b32_e32 v20, 20, v20
	v_or3_b32 v74, v16, v74, v20
.LBB6_961:                              ;   in Loop: Header=BB6_393 Depth=4
	s_or_b32 exec_lo, exec_lo, s31
	s_delay_alu instid0(VALU_DEP_1) | instskip(NEXT) | instid1(VALU_DEP_1)
	v_add_f32_e32 v20, v73, v74
	v_and_b32_e32 v16, 0x7f800000, v20
	s_delay_alu instid0(VALU_DEP_1)
	v_cmp_ne_u32_e32 vcc_lo, 0x7f800000, v16
	v_mov_b32_e32 v16, 0x80
	s_and_saveexec_b32 s31, vcc_lo
	s_cbranch_execz .LBB6_969
; %bb.962:                              ;   in Loop: Header=BB6_393 Depth=4
	v_mov_b32_e32 v16, 0
	s_mov_b32 s34, exec_lo
	v_cmpx_ne_u32_e32 0, v20
	s_cbranch_execz .LBB6_968
; %bb.963:                              ;   in Loop: Header=BB6_393 Depth=4
	v_bfe_u32 v16, v20, 23, 8
	s_delay_alu instid0(VALU_DEP_1) | instskip(SKIP_1) | instid1(VALU_DEP_2)
	v_sub_nc_u32_e32 v74, 0x78, v16
	v_cmp_gt_u32_e32 vcc_lo, 0x79, v16
	v_dual_cndmask_b32 v74, 0, v74 :: v_dual_and_b32 v73, 0x7fffff, v20
	s_delay_alu instid0(VALU_DEP_1) | instskip(SKIP_2) | instid1(VALU_DEP_4)
	v_or_b32_e32 v75, 0x800000, v73
	v_cmp_eq_u32_e32 vcc_lo, 0, v16
	v_add_nc_u32_e32 v16, 0xffffff89, v16
	v_cndmask_b32_e64 v74, v74, 0x77, vcc_lo
	s_delay_alu instid0(VALU_DEP_4) | instskip(NEXT) | instid1(VALU_DEP_3)
	v_cndmask_b32_e32 v73, v75, v73, vcc_lo
	v_cndmask_b32_e64 v16, v16, 0xffffff8a, vcc_lo
	s_delay_alu instid0(VALU_DEP_3) | instskip(NEXT) | instid1(VALU_DEP_3)
	v_lshl_add_u32 v75, 0x100000, v74, -1
	v_lshrrev_b32_e32 v76, v74, v73
	v_lshlrev_b32_e64 v78, v74, 0x80000
	s_delay_alu instid0(VALU_DEP_4) | instskip(NEXT) | instid1(VALU_DEP_4)
	v_add_nc_u32_e32 v74, v74, v16
	v_and_b32_e32 v73, v75, v73
	s_delay_alu instid0(VALU_DEP_4) | instskip(NEXT) | instid1(VALU_DEP_2)
	v_bfe_u32 v77, v76, 20, 1
	v_cmp_eq_u32_e64 s13, v73, v78
	s_delay_alu instid0(VALU_DEP_2) | instskip(NEXT) | instid1(VALU_DEP_1)
	v_add_nc_u32_e32 v75, -1, v77
	v_cndmask_b32_e64 v73, 0, v75, s13
	v_lshrrev_b32_e32 v75, 23, v76
	s_mov_b32 s13, exec_lo
	s_delay_alu instid0(VALU_DEP_2) | instskip(NEXT) | instid1(VALU_DEP_2)
	v_add_nc_u32_e32 v73, v73, v76
	v_xor_b32_e32 v75, 1, v75
	s_delay_alu instid0(VALU_DEP_2) | instskip(NEXT) | instid1(VALU_DEP_1)
	v_and_b32_e32 v16, 0xfffff, v73
	v_add_nc_u32_e32 v73, v16, v76
                                        ; implicit-def: $vgpr16
	s_delay_alu instid0(VALU_DEP_3)
	v_cmpx_ne_u32_e64 v74, v75
	s_xor_b32 s13, exec_lo, s13
; %bb.964:                              ;   in Loop: Header=BB6_393 Depth=4
	s_delay_alu instid0(VALU_DEP_2) | instskip(SKIP_2) | instid1(VALU_DEP_2)
	v_cmp_lt_u32_e32 vcc_lo, 0xffffff, v73
	v_sub_nc_u32_e32 v16, v74, v75
	v_cndmask_b32_e64 v74, 0, 1, vcc_lo
	v_add_co_ci_u32_e32 v16, vcc_lo, 0, v16, vcc_lo
	s_delay_alu instid0(VALU_DEP_2)
	v_lshrrev_b32_e32 v73, v74, v73
; %bb.965:                              ;   in Loop: Header=BB6_393 Depth=4
	s_and_not1_saveexec_b32 s13, s13
; %bb.966:                              ;   in Loop: Header=BB6_393 Depth=4
	s_delay_alu instid0(VALU_DEP_1)
	v_bfe_u32 v16, v73, 23, 1
; %bb.967:                              ;   in Loop: Header=BB6_393 Depth=4
	s_or_b32 exec_lo, exec_lo, s13
	v_lshrrev_b32_e32 v73, 20, v73
	s_delay_alu instid0(VALU_DEP_2) | instskip(SKIP_2) | instid1(VALU_DEP_2)
	v_cmp_gt_i32_e32 vcc_lo, 16, v16
	v_lshrrev_b32_e32 v20, 24, v20
	v_min_i32_e32 v74, 15, v16
	v_dual_cndmask_b32 v73, 7, v73 :: v_dual_and_b32 v20, 0x80, v20
	s_delay_alu instid0(VALU_DEP_2) | instskip(NEXT) | instid1(VALU_DEP_2)
	v_lshlrev_b32_e32 v74, 3, v74
	v_or_b32_e32 v16, v16, v73
	s_delay_alu instid0(VALU_DEP_1) | instskip(SKIP_1) | instid1(VALU_DEP_1)
	v_cmp_ne_u32_e32 vcc_lo, 0, v16
	v_and_b32_e32 v75, 7, v73
	v_or3_b32 v20, v74, v20, v75
	s_delay_alu instid0(VALU_DEP_1)
	v_cndmask_b32_e32 v16, 0, v20, vcc_lo
.LBB6_968:                              ;   in Loop: Header=BB6_393 Depth=4
	s_or_b32 exec_lo, exec_lo, s34
.LBB6_969:                              ;   in Loop: Header=BB6_393 Depth=4
	s_delay_alu instid0(SALU_CYCLE_1) | instskip(SKIP_3) | instid1(VALU_DEP_1)
	s_or_b32 exec_lo, exec_lo, s31
	v_and_b32_e32 v73, 0xff, v21
	s_mov_b32 s13, 0
	s_mov_b32 s34, exec_lo
                                        ; implicit-def: $sgpr31
	v_cmpx_lt_i16_e32 0x7f, v73
	s_xor_b32 s34, exec_lo, s34
	s_cbranch_execnz .LBB6_1703
; %bb.970:                              ;   in Loop: Header=BB6_393 Depth=4
	s_or_saveexec_b32 s34, s34
	v_mov_b32_e32 v20, s31
	s_xor_b32 exec_lo, exec_lo, s34
	s_cbranch_execnz .LBB6_1706
.LBB6_971:                              ;   in Loop: Header=BB6_393 Depth=4
	s_or_b32 exec_lo, exec_lo, s34
	s_and_saveexec_b32 s31, s13
	s_cbranch_execz .LBB6_973
.LBB6_972:                              ;   in Loop: Header=BB6_393 Depth=4
	v_and_b32_e32 v20, 7, v21
	v_bfe_u32 v75, v21, 3, 4
	v_lshlrev_b32_e32 v76, 24, v21
	s_delay_alu instid0(VALU_DEP_3) | instskip(NEXT) | instid1(VALU_DEP_3)
	v_clz_i32_u32_e32 v73, v20
	v_cmp_eq_u32_e32 vcc_lo, 0, v75
	s_delay_alu instid0(VALU_DEP_2) | instskip(NEXT) | instid1(VALU_DEP_1)
	v_min_u32_e32 v73, 32, v73
	v_subrev_nc_u32_e32 v74, 28, v73
	v_sub_nc_u32_e32 v73, 29, v73
	s_delay_alu instid0(VALU_DEP_2) | instskip(NEXT) | instid1(VALU_DEP_1)
	v_lshlrev_b32_e32 v74, v74, v21
	v_dual_cndmask_b32 v73, v75, v73 :: v_dual_and_b32 v74, 7, v74
	s_delay_alu instid0(VALU_DEP_1) | instskip(NEXT) | instid1(VALU_DEP_2)
	v_lshl_add_u32 v73, v73, 23, 0x3b800000
	v_cndmask_b32_e32 v20, v20, v74, vcc_lo
	v_and_b32_e32 v74, 0x80000000, v76
	s_delay_alu instid0(VALU_DEP_2) | instskip(NEXT) | instid1(VALU_DEP_1)
	v_lshlrev_b32_e32 v20, 20, v20
	v_or3_b32 v20, v74, v73, v20
.LBB6_973:                              ;   in Loop: Header=BB6_393 Depth=4
	s_or_b32 exec_lo, exec_lo, s31
	v_and_b32_e32 v74, 0xff, v17
	s_mov_b32 s13, 0
	s_mov_b32 s34, exec_lo
                                        ; implicit-def: $sgpr31
	s_delay_alu instid0(VALU_DEP_1)
	v_cmpx_lt_i16_e32 0x7f, v74
	s_xor_b32 s34, exec_lo, s34
	s_cbranch_execnz .LBB6_1707
; %bb.974:                              ;   in Loop: Header=BB6_393 Depth=4
	s_or_saveexec_b32 s34, s34
	v_mov_b32_e32 v73, s31
	s_xor_b32 exec_lo, exec_lo, s34
	s_cbranch_execnz .LBB6_1710
.LBB6_975:                              ;   in Loop: Header=BB6_393 Depth=4
	s_or_b32 exec_lo, exec_lo, s34
	s_and_saveexec_b32 s31, s13
	s_cbranch_execz .LBB6_977
.LBB6_976:                              ;   in Loop: Header=BB6_393 Depth=4
	v_bfe_u32 v76, v17, 3, 4
	v_lshlrev_b32_e32 v77, 24, v17
	s_delay_alu instid0(VALU_DEP_2) | instskip(SKIP_1) | instid1(VALU_DEP_1)
	v_cmp_eq_u32_e32 vcc_lo, 0, v76
	v_and_b32_e32 v73, 7, v17
	v_clz_i32_u32_e32 v74, v73
	s_delay_alu instid0(VALU_DEP_1) | instskip(NEXT) | instid1(VALU_DEP_1)
	v_min_u32_e32 v74, 32, v74
	v_subrev_nc_u32_e32 v75, 28, v74
	v_sub_nc_u32_e32 v74, 29, v74
	s_delay_alu instid0(VALU_DEP_1) | instskip(NEXT) | instid1(VALU_DEP_1)
	v_dual_cndmask_b32 v74, v76, v74 :: v_dual_lshlrev_b32 v75, v75, v17
	v_and_b32_e32 v75, 7, v75
	s_delay_alu instid0(VALU_DEP_2) | instskip(NEXT) | instid1(VALU_DEP_2)
	v_lshl_add_u32 v74, v74, 23, 0x3b800000
	v_cndmask_b32_e32 v73, v73, v75, vcc_lo
	v_and_b32_e32 v75, 0x80000000, v77
	s_delay_alu instid0(VALU_DEP_2) | instskip(NEXT) | instid1(VALU_DEP_1)
	v_lshlrev_b32_e32 v73, 20, v73
	v_or3_b32 v73, v75, v74, v73
.LBB6_977:                              ;   in Loop: Header=BB6_393 Depth=4
	s_or_b32 exec_lo, exec_lo, s31
	s_delay_alu instid0(VALU_DEP_1) | instskip(NEXT) | instid1(VALU_DEP_1)
	v_add_f32_e32 v73, v20, v73
	v_and_b32_e32 v20, 0x7f800000, v73
	s_delay_alu instid0(VALU_DEP_1)
	v_cmp_ne_u32_e32 vcc_lo, 0x7f800000, v20
	v_mov_b32_e32 v20, 0x80
	s_and_saveexec_b32 s31, vcc_lo
	s_cbranch_execz .LBB6_985
; %bb.978:                              ;   in Loop: Header=BB6_393 Depth=4
	v_mov_b32_e32 v20, 0
	s_mov_b32 s34, exec_lo
	v_cmpx_ne_u32_e32 0, v73
	s_cbranch_execz .LBB6_984
; %bb.979:                              ;   in Loop: Header=BB6_393 Depth=4
	v_bfe_u32 v20, v73, 23, 8
	s_delay_alu instid0(VALU_DEP_1) | instskip(SKIP_1) | instid1(VALU_DEP_2)
	v_sub_nc_u32_e32 v75, 0x78, v20
	v_cmp_gt_u32_e32 vcc_lo, 0x79, v20
	v_dual_cndmask_b32 v75, 0, v75 :: v_dual_and_b32 v74, 0x7fffff, v73
	s_delay_alu instid0(VALU_DEP_1) | instskip(SKIP_2) | instid1(VALU_DEP_4)
	v_or_b32_e32 v76, 0x800000, v74
	v_cmp_eq_u32_e32 vcc_lo, 0, v20
	v_add_nc_u32_e32 v20, 0xffffff89, v20
	v_cndmask_b32_e64 v75, v75, 0x77, vcc_lo
	s_delay_alu instid0(VALU_DEP_2) | instskip(SKIP_1) | instid1(VALU_DEP_3)
	v_cndmask_b32_e64 v20, v20, 0xffffff8a, vcc_lo
	v_cndmask_b32_e32 v74, v76, v74, vcc_lo
	v_lshl_add_u32 v76, 0x100000, v75, -1
	v_lshlrev_b32_e64 v79, v75, 0x80000
	s_delay_alu instid0(VALU_DEP_3) | instskip(SKIP_1) | instid1(VALU_DEP_4)
	v_lshrrev_b32_e32 v77, v75, v74
	v_add_nc_u32_e32 v75, v75, v20
	v_and_b32_e32 v74, v76, v74
	s_delay_alu instid0(VALU_DEP_3) | instskip(NEXT) | instid1(VALU_DEP_2)
	v_bfe_u32 v78, v77, 20, 1
	v_cmp_eq_u32_e64 s13, v74, v79
	s_delay_alu instid0(VALU_DEP_2) | instskip(NEXT) | instid1(VALU_DEP_1)
	v_add_nc_u32_e32 v76, -1, v78
	v_cndmask_b32_e64 v74, 0, v76, s13
	v_lshrrev_b32_e32 v76, 23, v77
	s_mov_b32 s13, exec_lo
	s_delay_alu instid0(VALU_DEP_2) | instskip(NEXT) | instid1(VALU_DEP_2)
	v_add_nc_u32_e32 v74, v74, v77
	v_xor_b32_e32 v76, 1, v76
	s_delay_alu instid0(VALU_DEP_2) | instskip(NEXT) | instid1(VALU_DEP_1)
	v_and_b32_e32 v20, 0xfffff, v74
	v_add_nc_u32_e32 v74, v20, v77
                                        ; implicit-def: $vgpr20
	s_delay_alu instid0(VALU_DEP_3)
	v_cmpx_ne_u32_e64 v75, v76
	s_xor_b32 s13, exec_lo, s13
; %bb.980:                              ;   in Loop: Header=BB6_393 Depth=4
	s_delay_alu instid0(VALU_DEP_2) | instskip(SKIP_2) | instid1(VALU_DEP_2)
	v_cmp_lt_u32_e32 vcc_lo, 0xffffff, v74
	v_sub_nc_u32_e32 v20, v75, v76
	v_cndmask_b32_e64 v75, 0, 1, vcc_lo
	v_add_co_ci_u32_e32 v20, vcc_lo, 0, v20, vcc_lo
	s_delay_alu instid0(VALU_DEP_2)
	v_lshrrev_b32_e32 v74, v75, v74
; %bb.981:                              ;   in Loop: Header=BB6_393 Depth=4
	s_and_not1_saveexec_b32 s13, s13
; %bb.982:                              ;   in Loop: Header=BB6_393 Depth=4
	s_delay_alu instid0(VALU_DEP_1)
	v_bfe_u32 v20, v74, 23, 1
; %bb.983:                              ;   in Loop: Header=BB6_393 Depth=4
	s_or_b32 exec_lo, exec_lo, s13
	v_lshrrev_b32_e32 v74, 20, v74
	s_delay_alu instid0(VALU_DEP_2) | instskip(SKIP_2) | instid1(VALU_DEP_2)
	v_cmp_gt_i32_e32 vcc_lo, 16, v20
	v_lshrrev_b32_e32 v73, 24, v73
	v_min_i32_e32 v75, 15, v20
	v_dual_cndmask_b32 v74, 7, v74 :: v_dual_and_b32 v73, 0x80, v73
	s_delay_alu instid0(VALU_DEP_1) | instskip(SKIP_1) | instid1(VALU_DEP_2)
	v_or_b32_e32 v20, v20, v74
	v_and_b32_e32 v76, 7, v74
	v_cmp_ne_u32_e32 vcc_lo, 0, v20
	v_lshlrev_b32_e32 v75, 3, v75
	s_delay_alu instid0(VALU_DEP_1) | instskip(NEXT) | instid1(VALU_DEP_1)
	v_or3_b32 v73, v75, v73, v76
	v_cndmask_b32_e32 v20, 0, v73, vcc_lo
.LBB6_984:                              ;   in Loop: Header=BB6_393 Depth=4
	s_or_b32 exec_lo, exec_lo, s34
.LBB6_985:                              ;   in Loop: Header=BB6_393 Depth=4
	s_delay_alu instid0(SALU_CYCLE_1) | instskip(SKIP_3) | instid1(VALU_DEP_1)
	s_or_b32 exec_lo, exec_lo, s31
	v_lshrrev_b16 v74, 8, v21
	s_mov_b32 s13, 0
	s_mov_b32 s34, exec_lo
                                        ; implicit-def: $sgpr31
	v_cmpx_lt_i16_e32 0x7f, v74
	s_xor_b32 s34, exec_lo, s34
	s_cbranch_execnz .LBB6_1711
; %bb.986:                              ;   in Loop: Header=BB6_393 Depth=4
	s_or_saveexec_b32 s34, s34
	v_mov_b32_e32 v73, s31
	s_xor_b32 exec_lo, exec_lo, s34
	s_cbranch_execnz .LBB6_1714
.LBB6_987:                              ;   in Loop: Header=BB6_393 Depth=4
	s_or_b32 exec_lo, exec_lo, s34
	s_and_saveexec_b32 s31, s13
	s_cbranch_execz .LBB6_989
.LBB6_988:                              ;   in Loop: Header=BB6_393 Depth=4
	v_and_b32_e32 v73, 0xffff, v74
	s_delay_alu instid0(VALU_DEP_1) | instskip(NEXT) | instid1(VALU_DEP_1)
	v_and_b32_e32 v75, 7, v73
	v_clz_i32_u32_e32 v76, v75
	s_delay_alu instid0(VALU_DEP_1) | instskip(NEXT) | instid1(VALU_DEP_1)
	v_min_u32_e32 v76, 32, v76
	v_subrev_nc_u32_e32 v77, 28, v76
	v_sub_nc_u32_e32 v76, 29, v76
	s_delay_alu instid0(VALU_DEP_2) | instskip(SKIP_1) | instid1(VALU_DEP_2)
	v_lshlrev_b32_e32 v77, v77, v73
	v_bfe_u32 v73, v73, 3, 4
	v_and_b32_e32 v77, 7, v77
	s_delay_alu instid0(VALU_DEP_2) | instskip(SKIP_1) | instid1(VALU_DEP_1)
	v_cmp_eq_u32_e32 vcc_lo, 0, v73
	v_dual_cndmask_b32 v73, v73, v76 :: v_dual_lshlrev_b32 v74, 24, v74
	v_dual_cndmask_b32 v75, v75, v77 :: v_dual_and_b32 v74, 0x80000000, v74
	s_delay_alu instid0(VALU_DEP_2) | instskip(NEXT) | instid1(VALU_DEP_2)
	v_lshl_add_u32 v73, v73, 23, 0x3b800000
	v_lshlrev_b32_e32 v75, 20, v75
	s_delay_alu instid0(VALU_DEP_1)
	v_or3_b32 v73, v74, v73, v75
.LBB6_989:                              ;   in Loop: Header=BB6_393 Depth=4
	s_or_b32 exec_lo, exec_lo, s31
	v_lshrrev_b16 v74, 8, v17
	s_mov_b32 s13, 0
	s_mov_b32 s34, exec_lo
                                        ; implicit-def: $sgpr31
	s_delay_alu instid0(VALU_DEP_1)
	v_cmpx_lt_i16_e32 0x7f, v74
	s_xor_b32 s34, exec_lo, s34
	s_cbranch_execnz .LBB6_1715
; %bb.990:                              ;   in Loop: Header=BB6_393 Depth=4
	s_or_saveexec_b32 s34, s34
	v_mov_b32_e32 v75, s31
	s_xor_b32 exec_lo, exec_lo, s34
	s_cbranch_execnz .LBB6_1718
.LBB6_991:                              ;   in Loop: Header=BB6_393 Depth=4
	s_or_b32 exec_lo, exec_lo, s34
	s_and_saveexec_b32 s31, s13
	s_cbranch_execz .LBB6_993
.LBB6_992:                              ;   in Loop: Header=BB6_393 Depth=4
	v_and_b32_e32 v75, 0xffff, v74
	v_lshlrev_b32_e32 v74, 24, v74
	s_delay_alu instid0(VALU_DEP_2) | instskip(NEXT) | instid1(VALU_DEP_2)
	v_and_b32_e32 v76, 7, v75
	v_and_b32_e32 v74, 0x80000000, v74
	s_delay_alu instid0(VALU_DEP_2) | instskip(NEXT) | instid1(VALU_DEP_1)
	v_clz_i32_u32_e32 v77, v76
	v_min_u32_e32 v77, 32, v77
	s_delay_alu instid0(VALU_DEP_1) | instskip(SKIP_1) | instid1(VALU_DEP_2)
	v_subrev_nc_u32_e32 v78, 28, v77
	v_sub_nc_u32_e32 v77, 29, v77
	v_lshlrev_b32_e32 v78, v78, v75
	v_bfe_u32 v75, v75, 3, 4
	s_delay_alu instid0(VALU_DEP_2) | instskip(NEXT) | instid1(VALU_DEP_2)
	v_and_b32_e32 v78, 7, v78
	v_cmp_eq_u32_e32 vcc_lo, 0, v75
	s_delay_alu instid0(VALU_DEP_2) | instskip(NEXT) | instid1(VALU_DEP_1)
	v_dual_cndmask_b32 v75, v75, v77 :: v_dual_cndmask_b32 v76, v76, v78
	v_lshl_add_u32 v75, v75, 23, 0x3b800000
	s_delay_alu instid0(VALU_DEP_2) | instskip(NEXT) | instid1(VALU_DEP_1)
	v_lshlrev_b32_e32 v76, 20, v76
	v_or3_b32 v75, v74, v75, v76
.LBB6_993:                              ;   in Loop: Header=BB6_393 Depth=4
	s_or_b32 exec_lo, exec_lo, s31
	s_delay_alu instid0(VALU_DEP_1) | instskip(NEXT) | instid1(VALU_DEP_1)
	v_add_f32_e32 v74, v73, v75
	v_and_b32_e32 v73, 0x7f800000, v74
	s_delay_alu instid0(VALU_DEP_1)
	v_cmp_ne_u32_e32 vcc_lo, 0x7f800000, v73
	v_mov_b32_e32 v73, 0x8000
	s_and_saveexec_b32 s31, vcc_lo
	s_cbranch_execz .LBB6_1001
; %bb.994:                              ;   in Loop: Header=BB6_393 Depth=4
	v_mov_b32_e32 v73, 0
	s_mov_b32 s34, exec_lo
	v_cmpx_ne_u32_e32 0, v74
	s_cbranch_execz .LBB6_1000
; %bb.995:                              ;   in Loop: Header=BB6_393 Depth=4
	v_bfe_u32 v73, v74, 23, 8
	s_delay_alu instid0(VALU_DEP_1) | instskip(SKIP_1) | instid1(VALU_DEP_2)
	v_sub_nc_u32_e32 v76, 0x78, v73
	v_cmp_gt_u32_e32 vcc_lo, 0x79, v73
	v_dual_cndmask_b32 v76, 0, v76 :: v_dual_and_b32 v75, 0x7fffff, v74
	s_delay_alu instid0(VALU_DEP_1) | instskip(SKIP_2) | instid1(VALU_DEP_4)
	v_or_b32_e32 v77, 0x800000, v75
	v_cmp_eq_u32_e32 vcc_lo, 0, v73
	v_add_nc_u32_e32 v73, 0xffffff89, v73
	v_cndmask_b32_e64 v76, v76, 0x77, vcc_lo
	s_delay_alu instid0(VALU_DEP_2) | instskip(SKIP_1) | instid1(VALU_DEP_3)
	v_cndmask_b32_e64 v73, v73, 0xffffff8a, vcc_lo
	v_cndmask_b32_e32 v75, v77, v75, vcc_lo
	v_lshl_add_u32 v77, 0x100000, v76, -1
	v_lshlrev_b32_e64 v88, v76, 0x80000
	s_delay_alu instid0(VALU_DEP_3) | instskip(SKIP_1) | instid1(VALU_DEP_4)
	v_lshrrev_b32_e32 v78, v76, v75
	v_add_nc_u32_e32 v76, v76, v73
	v_and_b32_e32 v75, v77, v75
	s_delay_alu instid0(VALU_DEP_3) | instskip(NEXT) | instid1(VALU_DEP_2)
	v_bfe_u32 v79, v78, 20, 1
	v_cmp_eq_u32_e64 s13, v75, v88
	s_delay_alu instid0(VALU_DEP_2) | instskip(NEXT) | instid1(VALU_DEP_1)
	v_add_nc_u32_e32 v77, -1, v79
	v_cndmask_b32_e64 v75, 0, v77, s13
	v_lshrrev_b32_e32 v77, 23, v78
	s_mov_b32 s13, exec_lo
	s_delay_alu instid0(VALU_DEP_2) | instskip(NEXT) | instid1(VALU_DEP_2)
	v_add_nc_u32_e32 v75, v75, v78
	v_xor_b32_e32 v77, 1, v77
	s_delay_alu instid0(VALU_DEP_2) | instskip(NEXT) | instid1(VALU_DEP_1)
	v_and_b32_e32 v73, 0xfffff, v75
	v_add_nc_u32_e32 v75, v73, v78
                                        ; implicit-def: $vgpr73
	s_delay_alu instid0(VALU_DEP_3)
	v_cmpx_ne_u32_e64 v76, v77
	s_xor_b32 s13, exec_lo, s13
; %bb.996:                              ;   in Loop: Header=BB6_393 Depth=4
	s_delay_alu instid0(VALU_DEP_2) | instskip(SKIP_2) | instid1(VALU_DEP_2)
	v_cmp_lt_u32_e32 vcc_lo, 0xffffff, v75
	v_sub_nc_u32_e32 v73, v76, v77
	v_cndmask_b32_e64 v76, 0, 1, vcc_lo
	v_add_co_ci_u32_e32 v73, vcc_lo, 0, v73, vcc_lo
	s_delay_alu instid0(VALU_DEP_2)
	v_lshrrev_b32_e32 v75, v76, v75
; %bb.997:                              ;   in Loop: Header=BB6_393 Depth=4
	s_and_not1_saveexec_b32 s13, s13
; %bb.998:                              ;   in Loop: Header=BB6_393 Depth=4
	s_delay_alu instid0(VALU_DEP_1)
	v_bfe_u32 v73, v75, 23, 1
; %bb.999:                              ;   in Loop: Header=BB6_393 Depth=4
	s_or_b32 exec_lo, exec_lo, s13
	v_lshrrev_b32_e32 v75, 20, v75
	s_delay_alu instid0(VALU_DEP_2) | instskip(SKIP_2) | instid1(VALU_DEP_2)
	v_cmp_gt_i32_e32 vcc_lo, 16, v73
	v_min_i32_e32 v76, 15, v73
	v_lshrrev_b32_e32 v74, 24, v74
	v_dual_cndmask_b32 v75, 7, v75 :: v_dual_lshlrev_b32 v76, 3, v76
	s_delay_alu instid0(VALU_DEP_2) | instskip(NEXT) | instid1(VALU_DEP_2)
	v_and_b32_e32 v74, 0x80, v74
	v_or_b32_e32 v73, v73, v75
	v_and_b32_e32 v77, 7, v75
	s_delay_alu instid0(VALU_DEP_2) | instskip(SKIP_1) | instid1(VALU_DEP_1)
	v_cmp_ne_u32_e32 vcc_lo, 0, v73
	v_and_b32_e32 v76, 0xf8, v76
	v_or3_b32 v74, v74, v76, v77
	s_delay_alu instid0(VALU_DEP_1) | instskip(NEXT) | instid1(VALU_DEP_1)
	v_lshlrev_b32_e32 v74, 8, v74
	v_cndmask_b32_e32 v73, 0, v74, vcc_lo
.LBB6_1000:                             ;   in Loop: Header=BB6_393 Depth=4
	s_or_b32 exec_lo, exec_lo, s34
.LBB6_1001:                             ;   in Loop: Header=BB6_393 Depth=4
	s_delay_alu instid0(SALU_CYCLE_1) | instskip(SKIP_3) | instid1(VALU_DEP_1)
	s_or_b32 exec_lo, exec_lo, s31
	v_lshrrev_b32_e32 v75, 16, v21
	s_mov_b32 s13, 0
	s_mov_b32 s34, exec_lo
                                        ; implicit-def: $sgpr31
	v_and_b32_e32 v76, 0xff, v75
	s_delay_alu instid0(VALU_DEP_1)
	v_cmpx_lt_i16_e32 0x7f, v76
	s_xor_b32 s34, exec_lo, s34
	s_cbranch_execnz .LBB6_1719
; %bb.1002:                             ;   in Loop: Header=BB6_393 Depth=4
	s_or_saveexec_b32 s34, s34
	v_mov_b32_e32 v74, s31
	s_xor_b32 exec_lo, exec_lo, s34
	s_cbranch_execnz .LBB6_1722
.LBB6_1003:                             ;   in Loop: Header=BB6_393 Depth=4
	s_or_b32 exec_lo, exec_lo, s34
	s_and_saveexec_b32 s31, s13
	s_cbranch_execz .LBB6_1005
.LBB6_1004:                             ;   in Loop: Header=BB6_393 Depth=4
	v_bfe_u32 v74, v21, 16, 3
	v_lshlrev_b32_e32 v78, 8, v21
	s_delay_alu instid0(VALU_DEP_2) | instskip(NEXT) | instid1(VALU_DEP_1)
	v_clz_i32_u32_e32 v76, v74
	v_min_u32_e32 v76, 32, v76
	s_delay_alu instid0(VALU_DEP_1) | instskip(SKIP_1) | instid1(VALU_DEP_2)
	v_subrev_nc_u32_e32 v77, 28, v76
	v_sub_nc_u32_e32 v76, 29, v76
	v_lshlrev_b32_e32 v75, v77, v75
	v_bfe_u32 v77, v21, 19, 4
	s_delay_alu instid0(VALU_DEP_1) | instskip(NEXT) | instid1(VALU_DEP_3)
	v_cmp_eq_u32_e32 vcc_lo, 0, v77
	v_dual_cndmask_b32 v76, v77, v76 :: v_dual_and_b32 v75, 7, v75
	s_delay_alu instid0(VALU_DEP_1) | instskip(NEXT) | instid1(VALU_DEP_2)
	v_dual_cndmask_b32 v74, v74, v75 :: v_dual_and_b32 v75, 0x80000000, v78
	v_lshl_add_u32 v76, v76, 23, 0x3b800000
	s_delay_alu instid0(VALU_DEP_2) | instskip(NEXT) | instid1(VALU_DEP_1)
	v_lshlrev_b32_e32 v74, 20, v74
	v_or3_b32 v74, v75, v76, v74
.LBB6_1005:                             ;   in Loop: Header=BB6_393 Depth=4
	s_or_b32 exec_lo, exec_lo, s31
	v_lshrrev_b32_e32 v75, 16, v17
	s_mov_b32 s13, 0
	s_mov_b32 s34, exec_lo
                                        ; implicit-def: $sgpr31
	s_delay_alu instid0(VALU_DEP_1) | instskip(NEXT) | instid1(VALU_DEP_1)
	v_and_b32_e32 v77, 0xff, v75
	v_cmpx_lt_i16_e32 0x7f, v77
	s_xor_b32 s34, exec_lo, s34
	s_cbranch_execnz .LBB6_1723
; %bb.1006:                             ;   in Loop: Header=BB6_393 Depth=4
	s_or_saveexec_b32 s34, s34
	v_mov_b32_e32 v76, s31
	s_xor_b32 exec_lo, exec_lo, s34
	s_cbranch_execnz .LBB6_1726
.LBB6_1007:                             ;   in Loop: Header=BB6_393 Depth=4
	s_or_b32 exec_lo, exec_lo, s34
	s_and_saveexec_b32 s31, s13
	s_cbranch_execz .LBB6_1009
.LBB6_1008:                             ;   in Loop: Header=BB6_393 Depth=4
	v_bfe_u32 v76, v17, 16, 3
	v_lshlrev_b32_e32 v79, 8, v17
	s_delay_alu instid0(VALU_DEP_2) | instskip(NEXT) | instid1(VALU_DEP_1)
	v_clz_i32_u32_e32 v77, v76
	v_min_u32_e32 v77, 32, v77
	s_delay_alu instid0(VALU_DEP_1) | instskip(SKIP_1) | instid1(VALU_DEP_2)
	v_subrev_nc_u32_e32 v78, 28, v77
	v_sub_nc_u32_e32 v77, 29, v77
	v_lshlrev_b32_e32 v75, v78, v75
	v_bfe_u32 v78, v17, 19, 4
	s_delay_alu instid0(VALU_DEP_2) | instskip(NEXT) | instid1(VALU_DEP_2)
	v_and_b32_e32 v75, 7, v75
	v_cmp_eq_u32_e32 vcc_lo, 0, v78
	v_cndmask_b32_e32 v77, v78, v77, vcc_lo
	s_delay_alu instid0(VALU_DEP_3) | instskip(SKIP_1) | instid1(VALU_DEP_3)
	v_cndmask_b32_e32 v75, v76, v75, vcc_lo
	v_and_b32_e32 v76, 0x80000000, v79
	v_lshl_add_u32 v77, v77, 23, 0x3b800000
	s_delay_alu instid0(VALU_DEP_3) | instskip(NEXT) | instid1(VALU_DEP_1)
	v_lshlrev_b32_e32 v75, 20, v75
	v_or3_b32 v76, v76, v77, v75
.LBB6_1009:                             ;   in Loop: Header=BB6_393 Depth=4
	s_or_b32 exec_lo, exec_lo, s31
	s_delay_alu instid0(VALU_DEP_1) | instskip(NEXT) | instid1(VALU_DEP_1)
	v_add_f32_e32 v75, v74, v76
	v_and_b32_e32 v74, 0x7f800000, v75
	s_delay_alu instid0(VALU_DEP_1)
	v_cmp_ne_u32_e32 vcc_lo, 0x7f800000, v74
	v_mov_b32_e32 v74, 0x80
	s_and_saveexec_b32 s31, vcc_lo
	s_cbranch_execz .LBB6_1017
; %bb.1010:                             ;   in Loop: Header=BB6_393 Depth=4
	v_mov_b32_e32 v74, 0
	s_mov_b32 s34, exec_lo
	v_cmpx_ne_u32_e32 0, v75
	s_cbranch_execz .LBB6_1016
; %bb.1011:                             ;   in Loop: Header=BB6_393 Depth=4
	v_bfe_u32 v74, v75, 23, 8
	s_delay_alu instid0(VALU_DEP_1) | instskip(SKIP_1) | instid1(VALU_DEP_2)
	v_sub_nc_u32_e32 v77, 0x78, v74
	v_cmp_gt_u32_e32 vcc_lo, 0x79, v74
	v_dual_cndmask_b32 v77, 0, v77 :: v_dual_and_b32 v76, 0x7fffff, v75
	s_delay_alu instid0(VALU_DEP_1) | instskip(SKIP_2) | instid1(VALU_DEP_4)
	v_or_b32_e32 v78, 0x800000, v76
	v_cmp_eq_u32_e32 vcc_lo, 0, v74
	v_add_nc_u32_e32 v74, 0xffffff89, v74
	v_cndmask_b32_e64 v77, v77, 0x77, vcc_lo
	s_delay_alu instid0(VALU_DEP_2) | instskip(SKIP_1) | instid1(VALU_DEP_3)
	v_cndmask_b32_e64 v74, v74, 0xffffff8a, vcc_lo
	v_cndmask_b32_e32 v76, v78, v76, vcc_lo
	v_lshl_add_u32 v78, 0x100000, v77, -1
	v_lshlrev_b32_e64 v89, v77, 0x80000
	s_delay_alu instid0(VALU_DEP_3) | instskip(SKIP_1) | instid1(VALU_DEP_4)
	v_lshrrev_b32_e32 v79, v77, v76
	v_add_nc_u32_e32 v77, v77, v74
	v_and_b32_e32 v76, v78, v76
	s_delay_alu instid0(VALU_DEP_3) | instskip(NEXT) | instid1(VALU_DEP_2)
	v_bfe_u32 v88, v79, 20, 1
	v_cmp_eq_u32_e64 s13, v76, v89
	s_delay_alu instid0(VALU_DEP_2) | instskip(NEXT) | instid1(VALU_DEP_1)
	v_add_nc_u32_e32 v78, -1, v88
	v_cndmask_b32_e64 v76, 0, v78, s13
	v_lshrrev_b32_e32 v78, 23, v79
	s_mov_b32 s13, exec_lo
	s_delay_alu instid0(VALU_DEP_2) | instskip(NEXT) | instid1(VALU_DEP_2)
	v_add_nc_u32_e32 v76, v76, v79
	v_xor_b32_e32 v78, 1, v78
	s_delay_alu instid0(VALU_DEP_2) | instskip(NEXT) | instid1(VALU_DEP_1)
	v_and_b32_e32 v74, 0xfffff, v76
	v_add_nc_u32_e32 v76, v74, v79
                                        ; implicit-def: $vgpr74
	s_delay_alu instid0(VALU_DEP_3)
	v_cmpx_ne_u32_e64 v77, v78
	s_xor_b32 s13, exec_lo, s13
; %bb.1012:                             ;   in Loop: Header=BB6_393 Depth=4
	s_delay_alu instid0(VALU_DEP_2) | instskip(SKIP_2) | instid1(VALU_DEP_2)
	v_cmp_lt_u32_e32 vcc_lo, 0xffffff, v76
	v_sub_nc_u32_e32 v74, v77, v78
	v_cndmask_b32_e64 v77, 0, 1, vcc_lo
	v_add_co_ci_u32_e32 v74, vcc_lo, 0, v74, vcc_lo
	s_delay_alu instid0(VALU_DEP_2)
	v_lshrrev_b32_e32 v76, v77, v76
; %bb.1013:                             ;   in Loop: Header=BB6_393 Depth=4
	s_and_not1_saveexec_b32 s13, s13
; %bb.1014:                             ;   in Loop: Header=BB6_393 Depth=4
	s_delay_alu instid0(VALU_DEP_1)
	v_bfe_u32 v74, v76, 23, 1
; %bb.1015:                             ;   in Loop: Header=BB6_393 Depth=4
	s_or_b32 exec_lo, exec_lo, s13
	v_lshrrev_b32_e32 v76, 20, v76
	s_delay_alu instid0(VALU_DEP_2) | instskip(SKIP_2) | instid1(VALU_DEP_2)
	v_cmp_gt_i32_e32 vcc_lo, 16, v74
	v_min_i32_e32 v77, 15, v74
	v_lshrrev_b32_e32 v75, 24, v75
	v_dual_cndmask_b32 v76, 7, v76 :: v_dual_lshlrev_b32 v77, 3, v77
	s_delay_alu instid0(VALU_DEP_2) | instskip(NEXT) | instid1(VALU_DEP_2)
	v_and_b32_e32 v75, 0x80, v75
	v_or_b32_e32 v74, v74, v76
	v_and_b32_e32 v78, 7, v76
	s_delay_alu instid0(VALU_DEP_2) | instskip(SKIP_1) | instid1(VALU_DEP_1)
	v_cmp_ne_u32_e32 vcc_lo, 0, v74
	v_and_b32_e32 v77, 0xf8, v77
	v_or3_b32 v75, v77, v75, v78
	s_delay_alu instid0(VALU_DEP_1)
	v_cndmask_b32_e32 v74, 0, v75, vcc_lo
.LBB6_1016:                             ;   in Loop: Header=BB6_393 Depth=4
	s_or_b32 exec_lo, exec_lo, s34
.LBB6_1017:                             ;   in Loop: Header=BB6_393 Depth=4
	s_delay_alu instid0(SALU_CYCLE_1) | instskip(SKIP_3) | instid1(VALU_DEP_1)
	s_or_b32 exec_lo, exec_lo, s31
	v_lshrrev_b32_e32 v76, 24, v21
	s_mov_b32 s13, 0
	s_mov_b32 s34, exec_lo
                                        ; implicit-def: $sgpr31
	v_cmpx_lt_i16_e32 0x7f, v76
	s_xor_b32 s34, exec_lo, s34
	s_cbranch_execnz .LBB6_1727
; %bb.1018:                             ;   in Loop: Header=BB6_393 Depth=4
	s_or_saveexec_b32 s34, s34
	v_mov_b32_e32 v75, s31
	s_xor_b32 exec_lo, exec_lo, s34
	s_cbranch_execnz .LBB6_1730
.LBB6_1019:                             ;   in Loop: Header=BB6_393 Depth=4
	s_or_b32 exec_lo, exec_lo, s34
	s_and_saveexec_b32 s31, s13
	s_cbranch_execz .LBB6_1021
.LBB6_1020:                             ;   in Loop: Header=BB6_393 Depth=4
	v_bfe_u32 v75, v21, 24, 3
	s_delay_alu instid0(VALU_DEP_1) | instskip(NEXT) | instid1(VALU_DEP_1)
	v_clz_i32_u32_e32 v77, v75
	v_min_u32_e32 v77, 32, v77
	s_delay_alu instid0(VALU_DEP_1) | instskip(SKIP_1) | instid1(VALU_DEP_2)
	v_subrev_nc_u32_e32 v78, 28, v77
	v_sub_nc_u32_e32 v77, 29, v77
	v_lshlrev_b32_e32 v76, v78, v76
	v_bfe_u32 v78, v21, 27, 4
	v_and_b32_e32 v21, 0x80000000, v21
	s_delay_alu instid0(VALU_DEP_2) | instskip(NEXT) | instid1(VALU_DEP_4)
	v_cmp_eq_u32_e32 vcc_lo, 0, v78
	v_dual_cndmask_b32 v77, v78, v77 :: v_dual_and_b32 v76, 7, v76
	s_delay_alu instid0(VALU_DEP_1) | instskip(NEXT) | instid1(VALU_DEP_2)
	v_cndmask_b32_e32 v75, v75, v76, vcc_lo
	v_lshl_add_u32 v76, v77, 23, 0x3b800000
	s_delay_alu instid0(VALU_DEP_2) | instskip(NEXT) | instid1(VALU_DEP_1)
	v_lshlrev_b32_e32 v75, 20, v75
	v_or3_b32 v75, v21, v76, v75
.LBB6_1021:                             ;   in Loop: Header=BB6_393 Depth=4
	s_or_b32 exec_lo, exec_lo, s31
	v_lshrrev_b32_e32 v21, 24, v17
	s_mov_b32 s13, 0
	s_mov_b32 s34, exec_lo
                                        ; implicit-def: $sgpr31
	s_delay_alu instid0(VALU_DEP_1)
	v_cmpx_lt_i16_e32 0x7f, v21
	s_xor_b32 s34, exec_lo, s34
	s_cbranch_execnz .LBB6_1731
; %bb.1022:                             ;   in Loop: Header=BB6_393 Depth=4
	s_or_saveexec_b32 s34, s34
	v_mov_b32_e32 v76, s31
	s_xor_b32 exec_lo, exec_lo, s34
	s_cbranch_execnz .LBB6_1734
.LBB6_1023:                             ;   in Loop: Header=BB6_393 Depth=4
	s_or_b32 exec_lo, exec_lo, s34
	s_and_saveexec_b32 s31, s13
	s_cbranch_execz .LBB6_1025
.LBB6_1024:                             ;   in Loop: Header=BB6_393 Depth=4
	v_bfe_u32 v76, v17, 24, 3
	s_delay_alu instid0(VALU_DEP_1) | instskip(NEXT) | instid1(VALU_DEP_1)
	v_clz_i32_u32_e32 v77, v76
	v_min_u32_e32 v77, 32, v77
	s_delay_alu instid0(VALU_DEP_1) | instskip(SKIP_1) | instid1(VALU_DEP_2)
	v_subrev_nc_u32_e32 v78, 28, v77
	v_sub_nc_u32_e32 v77, 29, v77
	v_lshlrev_b32_e32 v21, v78, v21
	v_bfe_u32 v78, v17, 27, 4
	v_and_b32_e32 v17, 0x80000000, v17
	s_delay_alu instid0(VALU_DEP_3) | instskip(NEXT) | instid1(VALU_DEP_3)
	v_and_b32_e32 v21, 7, v21
	v_cmp_eq_u32_e32 vcc_lo, 0, v78
	v_cndmask_b32_e32 v77, v78, v77, vcc_lo
	s_delay_alu instid0(VALU_DEP_3) | instskip(NEXT) | instid1(VALU_DEP_2)
	v_cndmask_b32_e32 v21, v76, v21, vcc_lo
	v_lshl_add_u32 v76, v77, 23, 0x3b800000
	s_delay_alu instid0(VALU_DEP_2) | instskip(NEXT) | instid1(VALU_DEP_1)
	v_lshlrev_b32_e32 v21, 20, v21
	v_or3_b32 v76, v17, v76, v21
.LBB6_1025:                             ;   in Loop: Header=BB6_393 Depth=4
	s_or_b32 exec_lo, exec_lo, s31
	s_delay_alu instid0(VALU_DEP_1) | instskip(NEXT) | instid1(VALU_DEP_1)
	v_add_f32_e32 v21, v75, v76
	v_and_b32_e32 v17, 0x7f800000, v21
	s_delay_alu instid0(VALU_DEP_1)
	v_cmp_ne_u32_e32 vcc_lo, 0x7f800000, v17
	v_mov_b32_e32 v17, 0x8000
	s_and_saveexec_b32 s31, vcc_lo
	s_cbranch_execz .LBB6_1033
; %bb.1026:                             ;   in Loop: Header=BB6_393 Depth=4
	v_mov_b32_e32 v17, 0
	s_mov_b32 s34, exec_lo
	v_cmpx_ne_u32_e32 0, v21
	s_cbranch_execz .LBB6_1032
; %bb.1027:                             ;   in Loop: Header=BB6_393 Depth=4
	v_bfe_u32 v17, v21, 23, 8
	s_delay_alu instid0(VALU_DEP_1) | instskip(SKIP_1) | instid1(VALU_DEP_2)
	v_sub_nc_u32_e32 v76, 0x78, v17
	v_cmp_gt_u32_e32 vcc_lo, 0x79, v17
	v_dual_cndmask_b32 v76, 0, v76 :: v_dual_and_b32 v75, 0x7fffff, v21
	s_delay_alu instid0(VALU_DEP_1) | instskip(SKIP_2) | instid1(VALU_DEP_4)
	v_or_b32_e32 v77, 0x800000, v75
	v_cmp_eq_u32_e32 vcc_lo, 0, v17
	v_add_nc_u32_e32 v17, 0xffffff89, v17
	v_cndmask_b32_e64 v76, v76, 0x77, vcc_lo
	s_delay_alu instid0(VALU_DEP_2) | instskip(SKIP_1) | instid1(VALU_DEP_3)
	v_cndmask_b32_e64 v17, v17, 0xffffff8a, vcc_lo
	v_cndmask_b32_e32 v75, v77, v75, vcc_lo
	v_lshl_add_u32 v77, 0x100000, v76, -1
	v_lshlrev_b32_e64 v88, v76, 0x80000
	s_delay_alu instid0(VALU_DEP_3) | instskip(SKIP_1) | instid1(VALU_DEP_4)
	v_lshrrev_b32_e32 v78, v76, v75
	v_add_nc_u32_e32 v76, v76, v17
	v_and_b32_e32 v75, v77, v75
	s_delay_alu instid0(VALU_DEP_3) | instskip(NEXT) | instid1(VALU_DEP_2)
	v_bfe_u32 v79, v78, 20, 1
	v_cmp_eq_u32_e64 s13, v75, v88
	s_delay_alu instid0(VALU_DEP_2) | instskip(NEXT) | instid1(VALU_DEP_1)
	v_add_nc_u32_e32 v77, -1, v79
	v_cndmask_b32_e64 v75, 0, v77, s13
	v_lshrrev_b32_e32 v77, 23, v78
	s_mov_b32 s13, exec_lo
	s_delay_alu instid0(VALU_DEP_2) | instskip(NEXT) | instid1(VALU_DEP_2)
	v_add_nc_u32_e32 v75, v75, v78
	v_xor_b32_e32 v77, 1, v77
	s_delay_alu instid0(VALU_DEP_2) | instskip(NEXT) | instid1(VALU_DEP_1)
	v_and_b32_e32 v17, 0xfffff, v75
	v_add_nc_u32_e32 v75, v17, v78
                                        ; implicit-def: $vgpr17
	s_delay_alu instid0(VALU_DEP_3)
	v_cmpx_ne_u32_e64 v76, v77
	s_xor_b32 s13, exec_lo, s13
; %bb.1028:                             ;   in Loop: Header=BB6_393 Depth=4
	s_delay_alu instid0(VALU_DEP_2) | instskip(SKIP_2) | instid1(VALU_DEP_2)
	v_cmp_lt_u32_e32 vcc_lo, 0xffffff, v75
	v_sub_nc_u32_e32 v17, v76, v77
	v_cndmask_b32_e64 v76, 0, 1, vcc_lo
	v_add_co_ci_u32_e32 v17, vcc_lo, 0, v17, vcc_lo
	s_delay_alu instid0(VALU_DEP_2)
	v_lshrrev_b32_e32 v75, v76, v75
; %bb.1029:                             ;   in Loop: Header=BB6_393 Depth=4
	s_and_not1_saveexec_b32 s13, s13
; %bb.1030:                             ;   in Loop: Header=BB6_393 Depth=4
	s_delay_alu instid0(VALU_DEP_1)
	v_bfe_u32 v17, v75, 23, 1
; %bb.1031:                             ;   in Loop: Header=BB6_393 Depth=4
	s_or_b32 exec_lo, exec_lo, s13
	v_lshrrev_b32_e32 v75, 20, v75
	s_delay_alu instid0(VALU_DEP_2) | instskip(SKIP_2) | instid1(VALU_DEP_2)
	v_cmp_gt_i32_e32 vcc_lo, 16, v17
	v_min_i32_e32 v76, 15, v17
	v_lshrrev_b32_e32 v21, 24, v21
	v_dual_cndmask_b32 v75, 7, v75 :: v_dual_lshlrev_b32 v76, 3, v76
	s_delay_alu instid0(VALU_DEP_2) | instskip(NEXT) | instid1(VALU_DEP_2)
	v_and_b32_e32 v21, 0x80, v21
	v_or_b32_e32 v17, v17, v75
	v_and_b32_e32 v77, 7, v75
	s_delay_alu instid0(VALU_DEP_2) | instskip(SKIP_1) | instid1(VALU_DEP_1)
	v_cmp_ne_u32_e32 vcc_lo, 0, v17
	v_and_b32_e32 v76, 0xf8, v76
	v_or3_b32 v21, v21, v76, v77
	s_delay_alu instid0(VALU_DEP_1) | instskip(NEXT) | instid1(VALU_DEP_1)
	v_lshlrev_b32_e32 v21, 8, v21
	v_cndmask_b32_e32 v17, 0, v21, vcc_lo
.LBB6_1032:                             ;   in Loop: Header=BB6_393 Depth=4
	s_or_b32 exec_lo, exec_lo, s34
.LBB6_1033:                             ;   in Loop: Header=BB6_393 Depth=4
	s_delay_alu instid0(SALU_CYCLE_1) | instskip(SKIP_3) | instid1(VALU_DEP_1)
	s_or_b32 exec_lo, exec_lo, s31
	v_and_b32_e32 v75, 0xff, v22
	s_mov_b32 s13, 0
	s_mov_b32 s34, exec_lo
                                        ; implicit-def: $sgpr31
	v_cmpx_lt_i16_e32 0x7f, v75
	s_xor_b32 s34, exec_lo, s34
	s_cbranch_execnz .LBB6_1735
; %bb.1034:                             ;   in Loop: Header=BB6_393 Depth=4
	s_or_saveexec_b32 s34, s34
	v_mov_b32_e32 v21, s31
	s_xor_b32 exec_lo, exec_lo, s34
	s_cbranch_execnz .LBB6_1738
.LBB6_1035:                             ;   in Loop: Header=BB6_393 Depth=4
	s_or_b32 exec_lo, exec_lo, s34
	s_and_saveexec_b32 s31, s13
	s_cbranch_execz .LBB6_1037
.LBB6_1036:                             ;   in Loop: Header=BB6_393 Depth=4
	v_and_b32_e32 v21, 7, v22
	v_bfe_u32 v77, v22, 3, 4
	s_delay_alu instid0(VALU_DEP_2) | instskip(NEXT) | instid1(VALU_DEP_2)
	v_clz_i32_u32_e32 v75, v21
	v_cmp_eq_u32_e32 vcc_lo, 0, v77
	s_delay_alu instid0(VALU_DEP_2) | instskip(NEXT) | instid1(VALU_DEP_1)
	v_min_u32_e32 v75, 32, v75
	v_subrev_nc_u32_e32 v76, 28, v75
	v_sub_nc_u32_e32 v75, 29, v75
	s_delay_alu instid0(VALU_DEP_1) | instskip(NEXT) | instid1(VALU_DEP_1)
	v_dual_cndmask_b32 v75, v77, v75 :: v_dual_lshlrev_b32 v76, v76, v22
	v_and_b32_e32 v76, 7, v76
	v_lshlrev_b32_e32 v78, 24, v22
	s_delay_alu instid0(VALU_DEP_3) | instskip(NEXT) | instid1(VALU_DEP_2)
	v_lshl_add_u32 v75, v75, 23, 0x3b800000
	v_dual_cndmask_b32 v21, v21, v76 :: v_dual_and_b32 v76, 0x80000000, v78
	s_delay_alu instid0(VALU_DEP_1) | instskip(NEXT) | instid1(VALU_DEP_1)
	v_lshlrev_b32_e32 v21, 20, v21
	v_or3_b32 v21, v76, v75, v21
.LBB6_1037:                             ;   in Loop: Header=BB6_393 Depth=4
	s_or_b32 exec_lo, exec_lo, s31
	v_and_b32_e32 v76, 0xff, v18
	s_mov_b32 s13, 0
	s_mov_b32 s34, exec_lo
                                        ; implicit-def: $sgpr31
	s_delay_alu instid0(VALU_DEP_1)
	v_cmpx_lt_i16_e32 0x7f, v76
	s_xor_b32 s34, exec_lo, s34
	s_cbranch_execnz .LBB6_1739
; %bb.1038:                             ;   in Loop: Header=BB6_393 Depth=4
	s_or_saveexec_b32 s34, s34
	v_mov_b32_e32 v75, s31
	s_xor_b32 exec_lo, exec_lo, s34
	s_cbranch_execnz .LBB6_1742
.LBB6_1039:                             ;   in Loop: Header=BB6_393 Depth=4
	s_or_b32 exec_lo, exec_lo, s34
	s_and_saveexec_b32 s31, s13
	s_cbranch_execz .LBB6_1041
.LBB6_1040:                             ;   in Loop: Header=BB6_393 Depth=4
	v_bfe_u32 v78, v18, 3, 4
	v_lshlrev_b32_e32 v79, 24, v18
	s_delay_alu instid0(VALU_DEP_2) | instskip(SKIP_1) | instid1(VALU_DEP_1)
	v_cmp_eq_u32_e32 vcc_lo, 0, v78
	v_and_b32_e32 v75, 7, v18
	v_clz_i32_u32_e32 v76, v75
	s_delay_alu instid0(VALU_DEP_1) | instskip(NEXT) | instid1(VALU_DEP_1)
	v_min_u32_e32 v76, 32, v76
	v_subrev_nc_u32_e32 v77, 28, v76
	v_sub_nc_u32_e32 v76, 29, v76
	s_delay_alu instid0(VALU_DEP_1) | instskip(NEXT) | instid1(VALU_DEP_1)
	v_dual_cndmask_b32 v76, v78, v76 :: v_dual_lshlrev_b32 v77, v77, v18
	v_and_b32_e32 v77, 7, v77
	s_delay_alu instid0(VALU_DEP_2) | instskip(NEXT) | instid1(VALU_DEP_2)
	v_lshl_add_u32 v76, v76, 23, 0x3b800000
	v_cndmask_b32_e32 v75, v75, v77, vcc_lo
	v_and_b32_e32 v77, 0x80000000, v79
	s_delay_alu instid0(VALU_DEP_2) | instskip(NEXT) | instid1(VALU_DEP_1)
	v_lshlrev_b32_e32 v75, 20, v75
	v_or3_b32 v75, v77, v76, v75
.LBB6_1041:                             ;   in Loop: Header=BB6_393 Depth=4
	s_or_b32 exec_lo, exec_lo, s31
	s_delay_alu instid0(VALU_DEP_1) | instskip(NEXT) | instid1(VALU_DEP_1)
	v_add_f32_e32 v75, v21, v75
	v_and_b32_e32 v21, 0x7f800000, v75
	s_delay_alu instid0(VALU_DEP_1)
	v_cmp_ne_u32_e32 vcc_lo, 0x7f800000, v21
	v_mov_b32_e32 v21, 0x80
	s_and_saveexec_b32 s31, vcc_lo
	s_cbranch_execz .LBB6_1049
; %bb.1042:                             ;   in Loop: Header=BB6_393 Depth=4
	v_mov_b32_e32 v21, 0
	s_mov_b32 s34, exec_lo
	v_cmpx_ne_u32_e32 0, v75
	s_cbranch_execz .LBB6_1048
; %bb.1043:                             ;   in Loop: Header=BB6_393 Depth=4
	v_bfe_u32 v21, v75, 23, 8
	s_delay_alu instid0(VALU_DEP_1) | instskip(SKIP_1) | instid1(VALU_DEP_2)
	v_sub_nc_u32_e32 v77, 0x78, v21
	v_cmp_gt_u32_e32 vcc_lo, 0x79, v21
	v_dual_cndmask_b32 v77, 0, v77 :: v_dual_and_b32 v76, 0x7fffff, v75
	s_delay_alu instid0(VALU_DEP_1) | instskip(SKIP_2) | instid1(VALU_DEP_4)
	v_or_b32_e32 v78, 0x800000, v76
	v_cmp_eq_u32_e32 vcc_lo, 0, v21
	v_add_nc_u32_e32 v21, 0xffffff89, v21
	v_cndmask_b32_e64 v77, v77, 0x77, vcc_lo
	s_delay_alu instid0(VALU_DEP_4) | instskip(NEXT) | instid1(VALU_DEP_3)
	v_cndmask_b32_e32 v76, v78, v76, vcc_lo
	v_cndmask_b32_e64 v21, v21, 0xffffff8a, vcc_lo
	s_delay_alu instid0(VALU_DEP_3) | instskip(NEXT) | instid1(VALU_DEP_3)
	v_lshl_add_u32 v78, 0x100000, v77, -1
	v_lshrrev_b32_e32 v79, v77, v76
	v_lshlrev_b32_e64 v89, v77, 0x80000
	s_delay_alu instid0(VALU_DEP_4) | instskip(NEXT) | instid1(VALU_DEP_4)
	v_add_nc_u32_e32 v77, v77, v21
	v_and_b32_e32 v76, v78, v76
	s_delay_alu instid0(VALU_DEP_4) | instskip(NEXT) | instid1(VALU_DEP_2)
	v_bfe_u32 v88, v79, 20, 1
	v_cmp_eq_u32_e64 s13, v76, v89
	s_delay_alu instid0(VALU_DEP_2) | instskip(NEXT) | instid1(VALU_DEP_1)
	v_add_nc_u32_e32 v78, -1, v88
	v_cndmask_b32_e64 v76, 0, v78, s13
	v_lshrrev_b32_e32 v78, 23, v79
	s_mov_b32 s13, exec_lo
	s_delay_alu instid0(VALU_DEP_2) | instskip(NEXT) | instid1(VALU_DEP_2)
	v_add_nc_u32_e32 v76, v76, v79
	v_xor_b32_e32 v78, 1, v78
	s_delay_alu instid0(VALU_DEP_2) | instskip(NEXT) | instid1(VALU_DEP_1)
	v_and_b32_e32 v21, 0xfffff, v76
	v_add_nc_u32_e32 v76, v21, v79
                                        ; implicit-def: $vgpr21
	s_delay_alu instid0(VALU_DEP_3)
	v_cmpx_ne_u32_e64 v77, v78
	s_xor_b32 s13, exec_lo, s13
; %bb.1044:                             ;   in Loop: Header=BB6_393 Depth=4
	s_delay_alu instid0(VALU_DEP_2) | instskip(SKIP_2) | instid1(VALU_DEP_2)
	v_cmp_lt_u32_e32 vcc_lo, 0xffffff, v76
	v_sub_nc_u32_e32 v21, v77, v78
	v_cndmask_b32_e64 v77, 0, 1, vcc_lo
	v_add_co_ci_u32_e32 v21, vcc_lo, 0, v21, vcc_lo
	s_delay_alu instid0(VALU_DEP_2)
	v_lshrrev_b32_e32 v76, v77, v76
; %bb.1045:                             ;   in Loop: Header=BB6_393 Depth=4
	s_and_not1_saveexec_b32 s13, s13
; %bb.1046:                             ;   in Loop: Header=BB6_393 Depth=4
	s_delay_alu instid0(VALU_DEP_1)
	v_bfe_u32 v21, v76, 23, 1
; %bb.1047:                             ;   in Loop: Header=BB6_393 Depth=4
	s_or_b32 exec_lo, exec_lo, s13
	v_lshrrev_b32_e32 v76, 20, v76
	s_delay_alu instid0(VALU_DEP_2) | instskip(SKIP_2) | instid1(VALU_DEP_2)
	v_cmp_gt_i32_e32 vcc_lo, 16, v21
	v_lshrrev_b32_e32 v75, 24, v75
	v_min_i32_e32 v77, 15, v21
	v_dual_cndmask_b32 v76, 7, v76 :: v_dual_and_b32 v75, 0x80, v75
	s_delay_alu instid0(VALU_DEP_2) | instskip(NEXT) | instid1(VALU_DEP_2)
	v_lshlrev_b32_e32 v77, 3, v77
	v_or_b32_e32 v21, v21, v76
	s_delay_alu instid0(VALU_DEP_1) | instskip(SKIP_1) | instid1(VALU_DEP_1)
	v_cmp_ne_u32_e32 vcc_lo, 0, v21
	v_and_b32_e32 v78, 7, v76
	v_or3_b32 v75, v77, v75, v78
	s_delay_alu instid0(VALU_DEP_1)
	v_cndmask_b32_e32 v21, 0, v75, vcc_lo
.LBB6_1048:                             ;   in Loop: Header=BB6_393 Depth=4
	s_or_b32 exec_lo, exec_lo, s34
.LBB6_1049:                             ;   in Loop: Header=BB6_393 Depth=4
	s_delay_alu instid0(SALU_CYCLE_1) | instskip(SKIP_3) | instid1(VALU_DEP_1)
	s_or_b32 exec_lo, exec_lo, s31
	v_lshrrev_b16 v76, 8, v22
	s_mov_b32 s13, 0
	s_mov_b32 s34, exec_lo
                                        ; implicit-def: $sgpr31
	v_cmpx_lt_i16_e32 0x7f, v76
	s_xor_b32 s34, exec_lo, s34
	s_cbranch_execnz .LBB6_1743
; %bb.1050:                             ;   in Loop: Header=BB6_393 Depth=4
	s_or_saveexec_b32 s34, s34
	v_mov_b32_e32 v75, s31
	s_xor_b32 exec_lo, exec_lo, s34
	s_cbranch_execnz .LBB6_1746
.LBB6_1051:                             ;   in Loop: Header=BB6_393 Depth=4
	s_or_b32 exec_lo, exec_lo, s34
	s_and_saveexec_b32 s31, s13
	s_cbranch_execz .LBB6_1053
.LBB6_1052:                             ;   in Loop: Header=BB6_393 Depth=4
	v_and_b32_e32 v75, 0xffff, v76
	s_delay_alu instid0(VALU_DEP_1) | instskip(NEXT) | instid1(VALU_DEP_1)
	v_and_b32_e32 v77, 7, v75
	v_clz_i32_u32_e32 v78, v77
	s_delay_alu instid0(VALU_DEP_1) | instskip(NEXT) | instid1(VALU_DEP_1)
	v_min_u32_e32 v78, 32, v78
	v_subrev_nc_u32_e32 v79, 28, v78
	v_sub_nc_u32_e32 v78, 29, v78
	s_delay_alu instid0(VALU_DEP_2) | instskip(SKIP_1) | instid1(VALU_DEP_2)
	v_lshlrev_b32_e32 v79, v79, v75
	v_bfe_u32 v75, v75, 3, 4
	v_and_b32_e32 v79, 7, v79
	s_delay_alu instid0(VALU_DEP_2) | instskip(SKIP_1) | instid1(VALU_DEP_1)
	v_cmp_eq_u32_e32 vcc_lo, 0, v75
	v_dual_cndmask_b32 v75, v75, v78 :: v_dual_lshlrev_b32 v76, 24, v76
	v_dual_cndmask_b32 v77, v77, v79 :: v_dual_and_b32 v76, 0x80000000, v76
	s_delay_alu instid0(VALU_DEP_2) | instskip(NEXT) | instid1(VALU_DEP_2)
	v_lshl_add_u32 v75, v75, 23, 0x3b800000
	v_lshlrev_b32_e32 v77, 20, v77
	s_delay_alu instid0(VALU_DEP_1)
	v_or3_b32 v75, v76, v75, v77
.LBB6_1053:                             ;   in Loop: Header=BB6_393 Depth=4
	s_or_b32 exec_lo, exec_lo, s31
	v_lshrrev_b16 v76, 8, v18
	s_mov_b32 s13, 0
	s_mov_b32 s34, exec_lo
                                        ; implicit-def: $sgpr31
	s_delay_alu instid0(VALU_DEP_1)
	v_cmpx_lt_i16_e32 0x7f, v76
	s_xor_b32 s34, exec_lo, s34
	s_cbranch_execnz .LBB6_1747
; %bb.1054:                             ;   in Loop: Header=BB6_393 Depth=4
	s_or_saveexec_b32 s34, s34
	v_mov_b32_e32 v77, s31
	s_xor_b32 exec_lo, exec_lo, s34
	s_cbranch_execnz .LBB6_1750
.LBB6_1055:                             ;   in Loop: Header=BB6_393 Depth=4
	s_or_b32 exec_lo, exec_lo, s34
	s_and_saveexec_b32 s31, s13
	s_cbranch_execz .LBB6_1057
.LBB6_1056:                             ;   in Loop: Header=BB6_393 Depth=4
	v_and_b32_e32 v77, 0xffff, v76
	v_lshlrev_b32_e32 v76, 24, v76
	s_delay_alu instid0(VALU_DEP_2) | instskip(NEXT) | instid1(VALU_DEP_2)
	v_and_b32_e32 v78, 7, v77
	v_and_b32_e32 v76, 0x80000000, v76
	s_delay_alu instid0(VALU_DEP_2) | instskip(NEXT) | instid1(VALU_DEP_1)
	v_clz_i32_u32_e32 v79, v78
	v_min_u32_e32 v79, 32, v79
	s_delay_alu instid0(VALU_DEP_1) | instskip(SKIP_1) | instid1(VALU_DEP_2)
	v_subrev_nc_u32_e32 v88, 28, v79
	v_sub_nc_u32_e32 v79, 29, v79
	v_lshlrev_b32_e32 v88, v88, v77
	v_bfe_u32 v77, v77, 3, 4
	s_delay_alu instid0(VALU_DEP_2) | instskip(NEXT) | instid1(VALU_DEP_2)
	v_and_b32_e32 v88, 7, v88
	v_cmp_eq_u32_e32 vcc_lo, 0, v77
	s_delay_alu instid0(VALU_DEP_2) | instskip(NEXT) | instid1(VALU_DEP_1)
	v_dual_cndmask_b32 v77, v77, v79 :: v_dual_cndmask_b32 v78, v78, v88
	v_lshl_add_u32 v77, v77, 23, 0x3b800000
	s_delay_alu instid0(VALU_DEP_2) | instskip(NEXT) | instid1(VALU_DEP_1)
	v_lshlrev_b32_e32 v78, 20, v78
	v_or3_b32 v77, v76, v77, v78
.LBB6_1057:                             ;   in Loop: Header=BB6_393 Depth=4
	s_or_b32 exec_lo, exec_lo, s31
	s_delay_alu instid0(VALU_DEP_1) | instskip(NEXT) | instid1(VALU_DEP_1)
	v_add_f32_e32 v76, v75, v77
	v_and_b32_e32 v75, 0x7f800000, v76
	s_delay_alu instid0(VALU_DEP_1)
	v_cmp_ne_u32_e32 vcc_lo, 0x7f800000, v75
	v_mov_b32_e32 v75, 0x80
	s_and_saveexec_b32 s31, vcc_lo
	s_cbranch_execz .LBB6_1065
; %bb.1058:                             ;   in Loop: Header=BB6_393 Depth=4
	v_mov_b32_e32 v75, 0
	s_mov_b32 s34, exec_lo
	v_cmpx_ne_u32_e32 0, v76
	s_cbranch_execz .LBB6_1064
; %bb.1059:                             ;   in Loop: Header=BB6_393 Depth=4
	v_bfe_u32 v75, v76, 23, 8
	s_delay_alu instid0(VALU_DEP_1) | instskip(SKIP_1) | instid1(VALU_DEP_2)
	v_sub_nc_u32_e32 v78, 0x78, v75
	v_cmp_gt_u32_e32 vcc_lo, 0x79, v75
	v_dual_cndmask_b32 v78, 0, v78 :: v_dual_and_b32 v77, 0x7fffff, v76
	s_delay_alu instid0(VALU_DEP_1) | instskip(SKIP_2) | instid1(VALU_DEP_4)
	v_or_b32_e32 v79, 0x800000, v77
	v_cmp_eq_u32_e32 vcc_lo, 0, v75
	v_add_nc_u32_e32 v75, 0xffffff89, v75
	v_cndmask_b32_e64 v78, v78, 0x77, vcc_lo
	s_delay_alu instid0(VALU_DEP_2) | instskip(SKIP_1) | instid1(VALU_DEP_3)
	v_cndmask_b32_e64 v75, v75, 0xffffff8a, vcc_lo
	v_cndmask_b32_e32 v77, v79, v77, vcc_lo
	v_lshl_add_u32 v79, 0x100000, v78, -1
	v_lshlrev_b32_e64 v90, v78, 0x80000
	s_delay_alu instid0(VALU_DEP_3) | instskip(SKIP_1) | instid1(VALU_DEP_4)
	v_lshrrev_b32_e32 v88, v78, v77
	v_add_nc_u32_e32 v78, v78, v75
	v_and_b32_e32 v77, v79, v77
	s_delay_alu instid0(VALU_DEP_3) | instskip(NEXT) | instid1(VALU_DEP_2)
	v_bfe_u32 v89, v88, 20, 1
	v_cmp_eq_u32_e64 s13, v77, v90
	s_delay_alu instid0(VALU_DEP_2) | instskip(NEXT) | instid1(VALU_DEP_1)
	v_add_nc_u32_e32 v79, -1, v89
	v_cndmask_b32_e64 v77, 0, v79, s13
	v_lshrrev_b32_e32 v79, 23, v88
	s_mov_b32 s13, exec_lo
	s_delay_alu instid0(VALU_DEP_2) | instskip(NEXT) | instid1(VALU_DEP_2)
	v_add_nc_u32_e32 v77, v77, v88
	v_xor_b32_e32 v79, 1, v79
	s_delay_alu instid0(VALU_DEP_2) | instskip(NEXT) | instid1(VALU_DEP_1)
	v_and_b32_e32 v75, 0xfffff, v77
	v_add_nc_u32_e32 v77, v75, v88
                                        ; implicit-def: $vgpr75
	s_delay_alu instid0(VALU_DEP_3)
	v_cmpx_ne_u32_e64 v78, v79
	s_xor_b32 s13, exec_lo, s13
; %bb.1060:                             ;   in Loop: Header=BB6_393 Depth=4
	s_delay_alu instid0(VALU_DEP_2) | instskip(SKIP_2) | instid1(VALU_DEP_2)
	v_cmp_lt_u32_e32 vcc_lo, 0xffffff, v77
	v_sub_nc_u32_e32 v75, v78, v79
	v_cndmask_b32_e64 v78, 0, 1, vcc_lo
	v_add_co_ci_u32_e32 v75, vcc_lo, 0, v75, vcc_lo
	s_delay_alu instid0(VALU_DEP_2)
	v_lshrrev_b32_e32 v77, v78, v77
; %bb.1061:                             ;   in Loop: Header=BB6_393 Depth=4
	s_and_not1_saveexec_b32 s13, s13
; %bb.1062:                             ;   in Loop: Header=BB6_393 Depth=4
	s_delay_alu instid0(VALU_DEP_1)
	v_bfe_u32 v75, v77, 23, 1
; %bb.1063:                             ;   in Loop: Header=BB6_393 Depth=4
	s_or_b32 exec_lo, exec_lo, s13
	v_lshrrev_b32_e32 v77, 20, v77
	s_delay_alu instid0(VALU_DEP_2) | instskip(SKIP_2) | instid1(VALU_DEP_2)
	v_cmp_gt_i32_e32 vcc_lo, 16, v75
	v_lshrrev_b32_e32 v76, 24, v76
	v_min_i32_e32 v78, 15, v75
	v_dual_cndmask_b32 v77, 7, v77 :: v_dual_and_b32 v76, 0x80, v76
	s_delay_alu instid0(VALU_DEP_1) | instskip(SKIP_1) | instid1(VALU_DEP_2)
	v_or_b32_e32 v75, v75, v77
	v_and_b32_e32 v79, 7, v77
	v_cmp_ne_u32_e32 vcc_lo, 0, v75
	v_lshlrev_b32_e32 v78, 3, v78
	s_delay_alu instid0(VALU_DEP_1) | instskip(NEXT) | instid1(VALU_DEP_1)
	v_or3_b32 v76, v78, v76, v79
	v_cndmask_b32_e32 v75, 0, v76, vcc_lo
.LBB6_1064:                             ;   in Loop: Header=BB6_393 Depth=4
	s_or_b32 exec_lo, exec_lo, s34
.LBB6_1065:                             ;   in Loop: Header=BB6_393 Depth=4
	s_delay_alu instid0(SALU_CYCLE_1) | instskip(SKIP_3) | instid1(VALU_DEP_1)
	s_or_b32 exec_lo, exec_lo, s31
	v_lshrrev_b32_e32 v77, 16, v22
	s_mov_b32 s13, 0
	s_mov_b32 s34, exec_lo
                                        ; implicit-def: $sgpr31
	v_and_b32_e32 v78, 0xff, v77
	s_delay_alu instid0(VALU_DEP_1)
	v_cmpx_lt_i16_e32 0x7f, v78
	s_xor_b32 s34, exec_lo, s34
	s_cbranch_execnz .LBB6_1751
; %bb.1066:                             ;   in Loop: Header=BB6_393 Depth=4
	s_or_saveexec_b32 s34, s34
	v_mov_b32_e32 v76, s31
	s_xor_b32 exec_lo, exec_lo, s34
	s_cbranch_execnz .LBB6_1754
.LBB6_1067:                             ;   in Loop: Header=BB6_393 Depth=4
	s_or_b32 exec_lo, exec_lo, s34
	s_and_saveexec_b32 s31, s13
	s_cbranch_execz .LBB6_1069
.LBB6_1068:                             ;   in Loop: Header=BB6_393 Depth=4
	v_bfe_u32 v76, v22, 16, 3
	v_lshlrev_b32_e32 v88, 8, v22
	s_delay_alu instid0(VALU_DEP_2) | instskip(NEXT) | instid1(VALU_DEP_1)
	v_clz_i32_u32_e32 v78, v76
	v_min_u32_e32 v78, 32, v78
	s_delay_alu instid0(VALU_DEP_1) | instskip(SKIP_1) | instid1(VALU_DEP_2)
	v_subrev_nc_u32_e32 v79, 28, v78
	v_sub_nc_u32_e32 v78, 29, v78
	v_lshlrev_b32_e32 v77, v79, v77
	v_bfe_u32 v79, v22, 19, 4
	s_delay_alu instid0(VALU_DEP_1) | instskip(NEXT) | instid1(VALU_DEP_3)
	v_cmp_eq_u32_e32 vcc_lo, 0, v79
	v_dual_cndmask_b32 v78, v79, v78 :: v_dual_and_b32 v77, 7, v77
	s_delay_alu instid0(VALU_DEP_1) | instskip(NEXT) | instid1(VALU_DEP_2)
	v_dual_cndmask_b32 v76, v76, v77 :: v_dual_and_b32 v77, 0x80000000, v88
	v_lshl_add_u32 v78, v78, 23, 0x3b800000
	s_delay_alu instid0(VALU_DEP_2) | instskip(NEXT) | instid1(VALU_DEP_1)
	v_lshlrev_b32_e32 v76, 20, v76
	v_or3_b32 v76, v77, v78, v76
.LBB6_1069:                             ;   in Loop: Header=BB6_393 Depth=4
	s_or_b32 exec_lo, exec_lo, s31
	v_lshrrev_b32_e32 v77, 16, v18
	s_mov_b32 s13, 0
	s_mov_b32 s34, exec_lo
                                        ; implicit-def: $sgpr31
	s_delay_alu instid0(VALU_DEP_1) | instskip(NEXT) | instid1(VALU_DEP_1)
	v_and_b32_e32 v79, 0xff, v77
	v_cmpx_lt_i16_e32 0x7f, v79
	s_xor_b32 s34, exec_lo, s34
	s_cbranch_execnz .LBB6_1755
; %bb.1070:                             ;   in Loop: Header=BB6_393 Depth=4
	s_or_saveexec_b32 s34, s34
	v_mov_b32_e32 v78, s31
	s_xor_b32 exec_lo, exec_lo, s34
	s_cbranch_execnz .LBB6_1758
.LBB6_1071:                             ;   in Loop: Header=BB6_393 Depth=4
	s_or_b32 exec_lo, exec_lo, s34
	s_and_saveexec_b32 s31, s13
	s_cbranch_execz .LBB6_1073
.LBB6_1072:                             ;   in Loop: Header=BB6_393 Depth=4
	v_bfe_u32 v78, v18, 16, 3
	v_lshlrev_b32_e32 v89, 8, v18
	s_delay_alu instid0(VALU_DEP_2) | instskip(NEXT) | instid1(VALU_DEP_1)
	v_clz_i32_u32_e32 v79, v78
	v_min_u32_e32 v79, 32, v79
	s_delay_alu instid0(VALU_DEP_1) | instskip(SKIP_1) | instid1(VALU_DEP_2)
	v_subrev_nc_u32_e32 v88, 28, v79
	v_sub_nc_u32_e32 v79, 29, v79
	v_lshlrev_b32_e32 v77, v88, v77
	v_bfe_u32 v88, v18, 19, 4
	s_delay_alu instid0(VALU_DEP_2) | instskip(NEXT) | instid1(VALU_DEP_2)
	v_and_b32_e32 v77, 7, v77
	v_cmp_eq_u32_e32 vcc_lo, 0, v88
	v_cndmask_b32_e32 v79, v88, v79, vcc_lo
	s_delay_alu instid0(VALU_DEP_3) | instskip(SKIP_1) | instid1(VALU_DEP_3)
	v_cndmask_b32_e32 v77, v78, v77, vcc_lo
	v_and_b32_e32 v78, 0x80000000, v89
	v_lshl_add_u32 v79, v79, 23, 0x3b800000
	s_delay_alu instid0(VALU_DEP_3) | instskip(NEXT) | instid1(VALU_DEP_1)
	v_lshlrev_b32_e32 v77, 20, v77
	v_or3_b32 v78, v78, v79, v77
.LBB6_1073:                             ;   in Loop: Header=BB6_393 Depth=4
	s_or_b32 exec_lo, exec_lo, s31
	s_delay_alu instid0(VALU_DEP_1) | instskip(NEXT) | instid1(VALU_DEP_1)
	v_add_f32_e32 v77, v76, v78
	v_and_b32_e32 v76, 0x7f800000, v77
	s_delay_alu instid0(VALU_DEP_1)
	v_cmp_ne_u32_e32 vcc_lo, 0x7f800000, v76
	v_mov_b32_e32 v76, 0x80
	s_and_saveexec_b32 s31, vcc_lo
	s_cbranch_execz .LBB6_1081
; %bb.1074:                             ;   in Loop: Header=BB6_393 Depth=4
	v_mov_b32_e32 v76, 0
	s_mov_b32 s34, exec_lo
	v_cmpx_ne_u32_e32 0, v77
	s_cbranch_execz .LBB6_1080
; %bb.1075:                             ;   in Loop: Header=BB6_393 Depth=4
	v_bfe_u32 v76, v77, 23, 8
	s_delay_alu instid0(VALU_DEP_1) | instskip(SKIP_1) | instid1(VALU_DEP_2)
	v_sub_nc_u32_e32 v79, 0x78, v76
	v_cmp_gt_u32_e32 vcc_lo, 0x79, v76
	v_dual_cndmask_b32 v79, 0, v79 :: v_dual_and_b32 v78, 0x7fffff, v77
	s_delay_alu instid0(VALU_DEP_1) | instskip(SKIP_2) | instid1(VALU_DEP_4)
	v_or_b32_e32 v88, 0x800000, v78
	v_cmp_eq_u32_e32 vcc_lo, 0, v76
	v_add_nc_u32_e32 v76, 0xffffff89, v76
	v_cndmask_b32_e64 v79, v79, 0x77, vcc_lo
	s_delay_alu instid0(VALU_DEP_2) | instskip(SKIP_1) | instid1(VALU_DEP_3)
	v_cndmask_b32_e64 v76, v76, 0xffffff8a, vcc_lo
	v_cndmask_b32_e32 v78, v88, v78, vcc_lo
	v_lshl_add_u32 v88, 0x100000, v79, -1
	v_lshlrev_b32_e64 v91, v79, 0x80000
	s_delay_alu instid0(VALU_DEP_3) | instskip(SKIP_1) | instid1(VALU_DEP_4)
	v_lshrrev_b32_e32 v89, v79, v78
	v_add_nc_u32_e32 v79, v79, v76
	v_and_b32_e32 v78, v88, v78
	s_delay_alu instid0(VALU_DEP_3) | instskip(NEXT) | instid1(VALU_DEP_2)
	v_bfe_u32 v90, v89, 20, 1
	v_cmp_eq_u32_e64 s13, v78, v91
	s_delay_alu instid0(VALU_DEP_2) | instskip(NEXT) | instid1(VALU_DEP_1)
	v_add_nc_u32_e32 v88, -1, v90
	v_cndmask_b32_e64 v78, 0, v88, s13
	v_lshrrev_b32_e32 v88, 23, v89
	s_mov_b32 s13, exec_lo
	s_delay_alu instid0(VALU_DEP_2) | instskip(NEXT) | instid1(VALU_DEP_2)
	v_add_nc_u32_e32 v78, v78, v89
	v_xor_b32_e32 v88, 1, v88
	s_delay_alu instid0(VALU_DEP_2) | instskip(NEXT) | instid1(VALU_DEP_1)
	v_and_b32_e32 v76, 0xfffff, v78
	v_add_nc_u32_e32 v78, v76, v89
                                        ; implicit-def: $vgpr76
	s_delay_alu instid0(VALU_DEP_3)
	v_cmpx_ne_u32_e64 v79, v88
	s_xor_b32 s13, exec_lo, s13
; %bb.1076:                             ;   in Loop: Header=BB6_393 Depth=4
	s_delay_alu instid0(VALU_DEP_2) | instskip(SKIP_2) | instid1(VALU_DEP_2)
	v_cmp_lt_u32_e32 vcc_lo, 0xffffff, v78
	v_sub_nc_u32_e32 v76, v79, v88
	v_cndmask_b32_e64 v79, 0, 1, vcc_lo
	v_add_co_ci_u32_e32 v76, vcc_lo, 0, v76, vcc_lo
	s_delay_alu instid0(VALU_DEP_2)
	v_lshrrev_b32_e32 v78, v79, v78
; %bb.1077:                             ;   in Loop: Header=BB6_393 Depth=4
	s_and_not1_saveexec_b32 s13, s13
; %bb.1078:                             ;   in Loop: Header=BB6_393 Depth=4
	s_delay_alu instid0(VALU_DEP_1)
	v_bfe_u32 v76, v78, 23, 1
; %bb.1079:                             ;   in Loop: Header=BB6_393 Depth=4
	s_or_b32 exec_lo, exec_lo, s13
	v_lshrrev_b32_e32 v78, 20, v78
	s_delay_alu instid0(VALU_DEP_2) | instskip(SKIP_2) | instid1(VALU_DEP_2)
	v_cmp_gt_i32_e32 vcc_lo, 16, v76
	v_lshrrev_b32_e32 v77, 24, v77
	v_min_i32_e32 v79, 15, v76
	v_dual_cndmask_b32 v78, 7, v78 :: v_dual_and_b32 v77, 0x80, v77
	s_delay_alu instid0(VALU_DEP_1) | instskip(SKIP_1) | instid1(VALU_DEP_2)
	v_or_b32_e32 v76, v76, v78
	v_and_b32_e32 v88, 7, v78
	v_cmp_ne_u32_e32 vcc_lo, 0, v76
	v_lshlrev_b32_e32 v79, 3, v79
	s_delay_alu instid0(VALU_DEP_1) | instskip(NEXT) | instid1(VALU_DEP_1)
	v_or3_b32 v77, v79, v77, v88
	v_cndmask_b32_e32 v76, 0, v77, vcc_lo
.LBB6_1080:                             ;   in Loop: Header=BB6_393 Depth=4
	s_or_b32 exec_lo, exec_lo, s34
.LBB6_1081:                             ;   in Loop: Header=BB6_393 Depth=4
	s_delay_alu instid0(SALU_CYCLE_1) | instskip(SKIP_3) | instid1(VALU_DEP_1)
	s_or_b32 exec_lo, exec_lo, s31
	v_lshrrev_b32_e32 v78, 24, v22
	s_mov_b32 s13, 0
	s_mov_b32 s34, exec_lo
                                        ; implicit-def: $sgpr31
	v_cmpx_lt_i16_e32 0x7f, v78
	s_xor_b32 s34, exec_lo, s34
	s_cbranch_execnz .LBB6_1759
; %bb.1082:                             ;   in Loop: Header=BB6_393 Depth=4
	s_or_saveexec_b32 s34, s34
	v_mov_b32_e32 v77, s31
	s_xor_b32 exec_lo, exec_lo, s34
	s_cbranch_execnz .LBB6_1762
.LBB6_1083:                             ;   in Loop: Header=BB6_393 Depth=4
	s_or_b32 exec_lo, exec_lo, s34
	s_and_saveexec_b32 s31, s13
	s_cbranch_execz .LBB6_1085
.LBB6_1084:                             ;   in Loop: Header=BB6_393 Depth=4
	v_bfe_u32 v77, v22, 24, 3
	s_delay_alu instid0(VALU_DEP_1) | instskip(NEXT) | instid1(VALU_DEP_1)
	v_clz_i32_u32_e32 v79, v77
	v_min_u32_e32 v79, 32, v79
	s_delay_alu instid0(VALU_DEP_1) | instskip(SKIP_1) | instid1(VALU_DEP_2)
	v_subrev_nc_u32_e32 v88, 28, v79
	v_sub_nc_u32_e32 v79, 29, v79
	v_lshlrev_b32_e32 v78, v88, v78
	v_bfe_u32 v88, v22, 27, 4
	v_and_b32_e32 v22, 0x80000000, v22
	s_delay_alu instid0(VALU_DEP_2) | instskip(NEXT) | instid1(VALU_DEP_4)
	v_cmp_eq_u32_e32 vcc_lo, 0, v88
	v_dual_cndmask_b32 v79, v88, v79 :: v_dual_and_b32 v78, 7, v78
	s_delay_alu instid0(VALU_DEP_1) | instskip(NEXT) | instid1(VALU_DEP_2)
	v_cndmask_b32_e32 v77, v77, v78, vcc_lo
	v_lshl_add_u32 v78, v79, 23, 0x3b800000
	s_delay_alu instid0(VALU_DEP_2) | instskip(NEXT) | instid1(VALU_DEP_1)
	v_lshlrev_b32_e32 v77, 20, v77
	v_or3_b32 v77, v22, v78, v77
.LBB6_1085:                             ;   in Loop: Header=BB6_393 Depth=4
	s_or_b32 exec_lo, exec_lo, s31
	v_lshrrev_b32_e32 v22, 24, v18
	s_mov_b32 s13, 0
	s_mov_b32 s34, exec_lo
                                        ; implicit-def: $sgpr31
	s_delay_alu instid0(VALU_DEP_1)
	v_cmpx_lt_i16_e32 0x7f, v22
	s_xor_b32 s34, exec_lo, s34
	s_cbranch_execnz .LBB6_1763
; %bb.1086:                             ;   in Loop: Header=BB6_393 Depth=4
	s_or_saveexec_b32 s34, s34
	v_mov_b32_e32 v78, s31
	s_xor_b32 exec_lo, exec_lo, s34
	s_cbranch_execnz .LBB6_1766
.LBB6_1087:                             ;   in Loop: Header=BB6_393 Depth=4
	s_or_b32 exec_lo, exec_lo, s34
	s_and_saveexec_b32 s31, s13
	s_cbranch_execz .LBB6_1089
.LBB6_1088:                             ;   in Loop: Header=BB6_393 Depth=4
	v_bfe_u32 v78, v18, 24, 3
	s_delay_alu instid0(VALU_DEP_1) | instskip(NEXT) | instid1(VALU_DEP_1)
	v_clz_i32_u32_e32 v79, v78
	v_min_u32_e32 v79, 32, v79
	s_delay_alu instid0(VALU_DEP_1) | instskip(SKIP_1) | instid1(VALU_DEP_2)
	v_subrev_nc_u32_e32 v88, 28, v79
	v_sub_nc_u32_e32 v79, 29, v79
	v_lshlrev_b32_e32 v22, v88, v22
	v_bfe_u32 v88, v18, 27, 4
	v_and_b32_e32 v18, 0x80000000, v18
	s_delay_alu instid0(VALU_DEP_2) | instskip(NEXT) | instid1(VALU_DEP_4)
	v_cmp_eq_u32_e32 vcc_lo, 0, v88
	v_dual_cndmask_b32 v79, v88, v79 :: v_dual_and_b32 v22, 7, v22
	s_delay_alu instid0(VALU_DEP_1) | instskip(NEXT) | instid1(VALU_DEP_2)
	v_cndmask_b32_e32 v22, v78, v22, vcc_lo
	v_lshl_add_u32 v78, v79, 23, 0x3b800000
	s_delay_alu instid0(VALU_DEP_2) | instskip(NEXT) | instid1(VALU_DEP_1)
	v_lshlrev_b32_e32 v22, 20, v22
	v_or3_b32 v78, v18, v78, v22
.LBB6_1089:                             ;   in Loop: Header=BB6_393 Depth=4
	s_or_b32 exec_lo, exec_lo, s31
	s_delay_alu instid0(VALU_DEP_1) | instskip(NEXT) | instid1(VALU_DEP_1)
	v_add_f32_e32 v22, v77, v78
	v_and_b32_e32 v18, 0x7f800000, v22
	s_delay_alu instid0(VALU_DEP_1)
	v_cmp_ne_u32_e32 vcc_lo, 0x7f800000, v18
	v_mov_b32_e32 v18, 0x80
	s_and_saveexec_b32 s31, vcc_lo
	s_cbranch_execz .LBB6_1097
; %bb.1090:                             ;   in Loop: Header=BB6_393 Depth=4
	v_mov_b32_e32 v18, 0
	s_mov_b32 s34, exec_lo
	v_cmpx_ne_u32_e32 0, v22
	s_cbranch_execz .LBB6_1096
; %bb.1091:                             ;   in Loop: Header=BB6_393 Depth=4
	v_bfe_u32 v18, v22, 23, 8
	v_and_b32_e32 v77, 0x7fffff, v22
	s_delay_alu instid0(VALU_DEP_2) | instskip(SKIP_1) | instid1(VALU_DEP_3)
	v_sub_nc_u32_e32 v78, 0x78, v18
	v_cmp_gt_u32_e32 vcc_lo, 0x79, v18
	v_or_b32_e32 v79, 0x800000, v77
	s_delay_alu instid0(VALU_DEP_3) | instskip(SKIP_1) | instid1(VALU_DEP_3)
	v_cndmask_b32_e32 v78, 0, v78, vcc_lo
	v_cmp_eq_u32_e32 vcc_lo, 0, v18
	v_dual_cndmask_b32 v77, v79, v77 :: v_dual_add_nc_u32 v18, 0xffffff89, v18
	s_delay_alu instid0(VALU_DEP_3) | instskip(NEXT) | instid1(VALU_DEP_2)
	v_cndmask_b32_e64 v78, v78, 0x77, vcc_lo
	v_cndmask_b32_e64 v18, v18, 0xffffff8a, vcc_lo
	s_delay_alu instid0(VALU_DEP_2) | instskip(SKIP_2) | instid1(VALU_DEP_4)
	v_lshrrev_b32_e32 v88, v78, v77
	v_lshl_add_u32 v79, 0x100000, v78, -1
	v_lshlrev_b32_e64 v90, v78, 0x80000
	v_add_nc_u32_e32 v78, v78, v18
	s_delay_alu instid0(VALU_DEP_4) | instskip(NEXT) | instid1(VALU_DEP_4)
	v_bfe_u32 v89, v88, 20, 1
	v_and_b32_e32 v77, v79, v77
	s_delay_alu instid0(VALU_DEP_2) | instskip(NEXT) | instid1(VALU_DEP_2)
	v_add_nc_u32_e32 v79, -1, v89
	v_cmp_eq_u32_e64 s13, v77, v90
	s_delay_alu instid0(VALU_DEP_1) | instskip(SKIP_2) | instid1(VALU_DEP_2)
	v_cndmask_b32_e64 v77, 0, v79, s13
	v_lshrrev_b32_e32 v79, 23, v88
	s_mov_b32 s13, exec_lo
	v_add_nc_u32_e32 v77, v77, v88
	s_delay_alu instid0(VALU_DEP_2) | instskip(NEXT) | instid1(VALU_DEP_2)
	v_xor_b32_e32 v79, 1, v79
	v_and_b32_e32 v18, 0xfffff, v77
	s_delay_alu instid0(VALU_DEP_1) | instskip(NEXT) | instid1(VALU_DEP_3)
	v_add_nc_u32_e32 v77, v18, v88
                                        ; implicit-def: $vgpr18
	v_cmpx_ne_u32_e64 v78, v79
	s_xor_b32 s13, exec_lo, s13
; %bb.1092:                             ;   in Loop: Header=BB6_393 Depth=4
	s_delay_alu instid0(VALU_DEP_2) | instskip(SKIP_2) | instid1(VALU_DEP_2)
	v_cmp_lt_u32_e32 vcc_lo, 0xffffff, v77
	v_sub_nc_u32_e32 v18, v78, v79
	v_cndmask_b32_e64 v78, 0, 1, vcc_lo
	v_add_co_ci_u32_e32 v18, vcc_lo, 0, v18, vcc_lo
	s_delay_alu instid0(VALU_DEP_2)
	v_lshrrev_b32_e32 v77, v78, v77
; %bb.1093:                             ;   in Loop: Header=BB6_393 Depth=4
	s_and_not1_saveexec_b32 s13, s13
; %bb.1094:                             ;   in Loop: Header=BB6_393 Depth=4
	s_delay_alu instid0(VALU_DEP_1)
	v_bfe_u32 v18, v77, 23, 1
; %bb.1095:                             ;   in Loop: Header=BB6_393 Depth=4
	s_or_b32 exec_lo, exec_lo, s13
	v_lshrrev_b32_e32 v77, 20, v77
	s_delay_alu instid0(VALU_DEP_2) | instskip(SKIP_2) | instid1(VALU_DEP_2)
	v_cmp_gt_i32_e32 vcc_lo, 16, v18
	v_lshrrev_b32_e32 v22, 24, v22
	v_min_i32_e32 v78, 15, v18
	v_dual_cndmask_b32 v77, 7, v77 :: v_dual_and_b32 v22, 0x80, v22
	s_delay_alu instid0(VALU_DEP_2) | instskip(NEXT) | instid1(VALU_DEP_2)
	v_lshlrev_b32_e32 v78, 3, v78
	v_or_b32_e32 v18, v18, v77
	s_delay_alu instid0(VALU_DEP_1) | instskip(SKIP_1) | instid1(VALU_DEP_1)
	v_cmp_ne_u32_e32 vcc_lo, 0, v18
	v_and_b32_e32 v79, 7, v77
	v_or3_b32 v22, v78, v22, v79
	s_delay_alu instid0(VALU_DEP_1)
	v_cndmask_b32_e32 v18, 0, v22, vcc_lo
.LBB6_1096:                             ;   in Loop: Header=BB6_393 Depth=4
	s_or_b32 exec_lo, exec_lo, s34
.LBB6_1097:                             ;   in Loop: Header=BB6_393 Depth=4
	s_delay_alu instid0(SALU_CYCLE_1) | instskip(SKIP_3) | instid1(VALU_DEP_1)
	s_or_b32 exec_lo, exec_lo, s31
	v_and_b32_e32 v77, 0xff, v23
	s_mov_b32 s13, 0
	s_mov_b32 s34, exec_lo
                                        ; implicit-def: $sgpr31
	v_cmpx_lt_i16_e32 0x7f, v77
	s_xor_b32 s34, exec_lo, s34
	s_cbranch_execnz .LBB6_1767
; %bb.1098:                             ;   in Loop: Header=BB6_393 Depth=4
	s_or_saveexec_b32 s34, s34
	v_mov_b32_e32 v22, s31
	s_xor_b32 exec_lo, exec_lo, s34
	s_cbranch_execnz .LBB6_1770
.LBB6_1099:                             ;   in Loop: Header=BB6_393 Depth=4
	s_or_b32 exec_lo, exec_lo, s34
	s_and_saveexec_b32 s31, s13
	s_cbranch_execz .LBB6_1101
.LBB6_1100:                             ;   in Loop: Header=BB6_393 Depth=4
	v_bfe_u32 v79, v23, 3, 4
	v_lshlrev_b32_e32 v88, 24, v23
	s_delay_alu instid0(VALU_DEP_2) | instskip(SKIP_1) | instid1(VALU_DEP_1)
	v_cmp_eq_u32_e32 vcc_lo, 0, v79
	v_and_b32_e32 v22, 7, v23
	v_clz_i32_u32_e32 v77, v22
	s_delay_alu instid0(VALU_DEP_1) | instskip(NEXT) | instid1(VALU_DEP_1)
	v_min_u32_e32 v77, 32, v77
	v_subrev_nc_u32_e32 v78, 28, v77
	v_sub_nc_u32_e32 v77, 29, v77
	s_delay_alu instid0(VALU_DEP_1) | instskip(NEXT) | instid1(VALU_DEP_1)
	v_dual_cndmask_b32 v77, v79, v77 :: v_dual_lshlrev_b32 v78, v78, v23
	v_and_b32_e32 v78, 7, v78
	s_delay_alu instid0(VALU_DEP_2) | instskip(NEXT) | instid1(VALU_DEP_2)
	v_lshl_add_u32 v77, v77, 23, 0x3b800000
	v_cndmask_b32_e32 v22, v22, v78, vcc_lo
	v_and_b32_e32 v78, 0x80000000, v88
	s_delay_alu instid0(VALU_DEP_2) | instskip(NEXT) | instid1(VALU_DEP_1)
	v_lshlrev_b32_e32 v22, 20, v22
	v_or3_b32 v22, v78, v77, v22
.LBB6_1101:                             ;   in Loop: Header=BB6_393 Depth=4
	s_or_b32 exec_lo, exec_lo, s31
	v_and_b32_e32 v78, 0xff, v19
	s_mov_b32 s13, 0
	s_mov_b32 s34, exec_lo
                                        ; implicit-def: $sgpr31
	s_delay_alu instid0(VALU_DEP_1)
	v_cmpx_lt_i16_e32 0x7f, v78
	s_xor_b32 s34, exec_lo, s34
	s_cbranch_execnz .LBB6_1771
; %bb.1102:                             ;   in Loop: Header=BB6_393 Depth=4
	s_or_saveexec_b32 s34, s34
	v_mov_b32_e32 v77, s31
	s_xor_b32 exec_lo, exec_lo, s34
	s_cbranch_execnz .LBB6_1774
.LBB6_1103:                             ;   in Loop: Header=BB6_393 Depth=4
	s_or_b32 exec_lo, exec_lo, s34
	s_and_saveexec_b32 s31, s13
	s_cbranch_execz .LBB6_1105
.LBB6_1104:                             ;   in Loop: Header=BB6_393 Depth=4
	v_bfe_u32 v88, v19, 3, 4
	v_lshlrev_b32_e32 v89, 24, v19
	s_delay_alu instid0(VALU_DEP_2) | instskip(SKIP_1) | instid1(VALU_DEP_1)
	v_cmp_eq_u32_e32 vcc_lo, 0, v88
	v_and_b32_e32 v77, 7, v19
	v_clz_i32_u32_e32 v78, v77
	s_delay_alu instid0(VALU_DEP_1) | instskip(NEXT) | instid1(VALU_DEP_1)
	v_min_u32_e32 v78, 32, v78
	v_subrev_nc_u32_e32 v79, 28, v78
	v_sub_nc_u32_e32 v78, 29, v78
	s_delay_alu instid0(VALU_DEP_1) | instskip(NEXT) | instid1(VALU_DEP_1)
	v_dual_cndmask_b32 v78, v88, v78 :: v_dual_lshlrev_b32 v79, v79, v19
	v_and_b32_e32 v79, 7, v79
	s_delay_alu instid0(VALU_DEP_2) | instskip(NEXT) | instid1(VALU_DEP_2)
	v_lshl_add_u32 v78, v78, 23, 0x3b800000
	v_cndmask_b32_e32 v77, v77, v79, vcc_lo
	v_and_b32_e32 v79, 0x80000000, v89
	s_delay_alu instid0(VALU_DEP_2) | instskip(NEXT) | instid1(VALU_DEP_1)
	v_lshlrev_b32_e32 v77, 20, v77
	v_or3_b32 v77, v79, v78, v77
.LBB6_1105:                             ;   in Loop: Header=BB6_393 Depth=4
	s_or_b32 exec_lo, exec_lo, s31
	s_delay_alu instid0(VALU_DEP_1) | instskip(NEXT) | instid1(VALU_DEP_1)
	v_add_f32_e32 v77, v22, v77
	v_and_b32_e32 v22, 0x7f800000, v77
	s_delay_alu instid0(VALU_DEP_1)
	v_cmp_ne_u32_e32 vcc_lo, 0x7f800000, v22
	v_mov_b32_e32 v22, 0x80
	s_and_saveexec_b32 s31, vcc_lo
	s_cbranch_execz .LBB6_1113
; %bb.1106:                             ;   in Loop: Header=BB6_393 Depth=4
	v_mov_b32_e32 v22, 0
	s_mov_b32 s34, exec_lo
	v_cmpx_ne_u32_e32 0, v77
	s_cbranch_execz .LBB6_1112
; %bb.1107:                             ;   in Loop: Header=BB6_393 Depth=4
	v_bfe_u32 v22, v77, 23, 8
	s_delay_alu instid0(VALU_DEP_1) | instskip(SKIP_1) | instid1(VALU_DEP_2)
	v_sub_nc_u32_e32 v79, 0x78, v22
	v_cmp_gt_u32_e32 vcc_lo, 0x79, v22
	v_dual_cndmask_b32 v79, 0, v79 :: v_dual_and_b32 v78, 0x7fffff, v77
	s_delay_alu instid0(VALU_DEP_1) | instskip(SKIP_2) | instid1(VALU_DEP_4)
	v_or_b32_e32 v88, 0x800000, v78
	v_cmp_eq_u32_e32 vcc_lo, 0, v22
	v_add_nc_u32_e32 v22, 0xffffff89, v22
	v_cndmask_b32_e64 v79, v79, 0x77, vcc_lo
	s_delay_alu instid0(VALU_DEP_4) | instskip(NEXT) | instid1(VALU_DEP_3)
	v_cndmask_b32_e32 v78, v88, v78, vcc_lo
	v_cndmask_b32_e64 v22, v22, 0xffffff8a, vcc_lo
	s_delay_alu instid0(VALU_DEP_3) | instskip(NEXT) | instid1(VALU_DEP_3)
	v_lshl_add_u32 v88, 0x100000, v79, -1
	v_lshrrev_b32_e32 v89, v79, v78
	v_lshlrev_b32_e64 v91, v79, 0x80000
	s_delay_alu instid0(VALU_DEP_4) | instskip(NEXT) | instid1(VALU_DEP_4)
	v_add_nc_u32_e32 v79, v79, v22
	v_and_b32_e32 v78, v88, v78
	s_delay_alu instid0(VALU_DEP_4) | instskip(NEXT) | instid1(VALU_DEP_2)
	v_bfe_u32 v90, v89, 20, 1
	v_cmp_eq_u32_e64 s13, v78, v91
	s_delay_alu instid0(VALU_DEP_2) | instskip(NEXT) | instid1(VALU_DEP_1)
	v_add_nc_u32_e32 v88, -1, v90
	v_cndmask_b32_e64 v78, 0, v88, s13
	v_lshrrev_b32_e32 v88, 23, v89
	s_mov_b32 s13, exec_lo
	s_delay_alu instid0(VALU_DEP_2) | instskip(NEXT) | instid1(VALU_DEP_2)
	v_add_nc_u32_e32 v78, v78, v89
	v_xor_b32_e32 v88, 1, v88
	s_delay_alu instid0(VALU_DEP_2) | instskip(NEXT) | instid1(VALU_DEP_1)
	v_and_b32_e32 v22, 0xfffff, v78
	v_add_nc_u32_e32 v78, v22, v89
                                        ; implicit-def: $vgpr22
	s_delay_alu instid0(VALU_DEP_3)
	v_cmpx_ne_u32_e64 v79, v88
	s_xor_b32 s13, exec_lo, s13
; %bb.1108:                             ;   in Loop: Header=BB6_393 Depth=4
	s_delay_alu instid0(VALU_DEP_2) | instskip(SKIP_2) | instid1(VALU_DEP_2)
	v_cmp_lt_u32_e32 vcc_lo, 0xffffff, v78
	v_sub_nc_u32_e32 v22, v79, v88
	v_cndmask_b32_e64 v79, 0, 1, vcc_lo
	v_add_co_ci_u32_e32 v22, vcc_lo, 0, v22, vcc_lo
	s_delay_alu instid0(VALU_DEP_2)
	v_lshrrev_b32_e32 v78, v79, v78
; %bb.1109:                             ;   in Loop: Header=BB6_393 Depth=4
	s_and_not1_saveexec_b32 s13, s13
; %bb.1110:                             ;   in Loop: Header=BB6_393 Depth=4
	s_delay_alu instid0(VALU_DEP_1)
	v_bfe_u32 v22, v78, 23, 1
; %bb.1111:                             ;   in Loop: Header=BB6_393 Depth=4
	s_or_b32 exec_lo, exec_lo, s13
	v_lshrrev_b32_e32 v78, 20, v78
	s_delay_alu instid0(VALU_DEP_2) | instskip(SKIP_2) | instid1(VALU_DEP_2)
	v_cmp_gt_i32_e32 vcc_lo, 16, v22
	v_lshrrev_b32_e32 v77, 24, v77
	v_min_i32_e32 v79, 15, v22
	v_dual_cndmask_b32 v78, 7, v78 :: v_dual_and_b32 v77, 0x80, v77
	s_delay_alu instid0(VALU_DEP_1) | instskip(SKIP_1) | instid1(VALU_DEP_2)
	v_or_b32_e32 v22, v22, v78
	v_and_b32_e32 v88, 7, v78
	v_cmp_ne_u32_e32 vcc_lo, 0, v22
	v_lshlrev_b32_e32 v79, 3, v79
	s_delay_alu instid0(VALU_DEP_1) | instskip(NEXT) | instid1(VALU_DEP_1)
	v_or3_b32 v77, v79, v77, v88
	v_cndmask_b32_e32 v22, 0, v77, vcc_lo
.LBB6_1112:                             ;   in Loop: Header=BB6_393 Depth=4
	s_or_b32 exec_lo, exec_lo, s34
.LBB6_1113:                             ;   in Loop: Header=BB6_393 Depth=4
	s_delay_alu instid0(SALU_CYCLE_1) | instskip(SKIP_3) | instid1(VALU_DEP_1)
	s_or_b32 exec_lo, exec_lo, s31
	v_lshrrev_b16 v78, 8, v23
	s_mov_b32 s13, 0
	s_mov_b32 s34, exec_lo
                                        ; implicit-def: $sgpr31
	v_cmpx_lt_i16_e32 0x7f, v78
	s_xor_b32 s34, exec_lo, s34
	s_cbranch_execnz .LBB6_1775
; %bb.1114:                             ;   in Loop: Header=BB6_393 Depth=4
	s_or_saveexec_b32 s34, s34
	v_mov_b32_e32 v77, s31
	s_xor_b32 exec_lo, exec_lo, s34
	s_cbranch_execnz .LBB6_1778
.LBB6_1115:                             ;   in Loop: Header=BB6_393 Depth=4
	s_or_b32 exec_lo, exec_lo, s34
	s_and_saveexec_b32 s31, s13
	s_cbranch_execz .LBB6_1117
.LBB6_1116:                             ;   in Loop: Header=BB6_393 Depth=4
	v_and_b32_e32 v77, 0xffff, v78
	s_delay_alu instid0(VALU_DEP_1) | instskip(NEXT) | instid1(VALU_DEP_1)
	v_and_b32_e32 v79, 7, v77
	v_clz_i32_u32_e32 v88, v79
	s_delay_alu instid0(VALU_DEP_1) | instskip(NEXT) | instid1(VALU_DEP_1)
	v_min_u32_e32 v88, 32, v88
	v_subrev_nc_u32_e32 v89, 28, v88
	v_sub_nc_u32_e32 v88, 29, v88
	s_delay_alu instid0(VALU_DEP_2) | instskip(SKIP_1) | instid1(VALU_DEP_2)
	v_lshlrev_b32_e32 v89, v89, v77
	v_bfe_u32 v77, v77, 3, 4
	v_and_b32_e32 v89, 7, v89
	s_delay_alu instid0(VALU_DEP_2) | instskip(SKIP_1) | instid1(VALU_DEP_1)
	v_cmp_eq_u32_e32 vcc_lo, 0, v77
	v_dual_cndmask_b32 v77, v77, v88 :: v_dual_lshlrev_b32 v78, 24, v78
	v_dual_cndmask_b32 v79, v79, v89 :: v_dual_and_b32 v78, 0x80000000, v78
	s_delay_alu instid0(VALU_DEP_2) | instskip(NEXT) | instid1(VALU_DEP_2)
	v_lshl_add_u32 v77, v77, 23, 0x3b800000
	v_lshlrev_b32_e32 v79, 20, v79
	s_delay_alu instid0(VALU_DEP_1)
	v_or3_b32 v77, v78, v77, v79
.LBB6_1117:                             ;   in Loop: Header=BB6_393 Depth=4
	s_or_b32 exec_lo, exec_lo, s31
	v_lshrrev_b16 v78, 8, v19
	s_mov_b32 s13, 0
	s_mov_b32 s34, exec_lo
                                        ; implicit-def: $sgpr31
	s_delay_alu instid0(VALU_DEP_1)
	v_cmpx_lt_i16_e32 0x7f, v78
	s_xor_b32 s34, exec_lo, s34
	s_cbranch_execnz .LBB6_1779
; %bb.1118:                             ;   in Loop: Header=BB6_393 Depth=4
	s_or_saveexec_b32 s34, s34
	v_mov_b32_e32 v79, s31
	s_xor_b32 exec_lo, exec_lo, s34
	s_cbranch_execnz .LBB6_1782
.LBB6_1119:                             ;   in Loop: Header=BB6_393 Depth=4
	s_or_b32 exec_lo, exec_lo, s34
	s_and_saveexec_b32 s31, s13
	s_cbranch_execz .LBB6_1121
.LBB6_1120:                             ;   in Loop: Header=BB6_393 Depth=4
	v_and_b32_e32 v79, 0xffff, v78
	v_lshlrev_b32_e32 v78, 24, v78
	s_delay_alu instid0(VALU_DEP_2) | instskip(NEXT) | instid1(VALU_DEP_2)
	v_and_b32_e32 v88, 7, v79
	v_and_b32_e32 v78, 0x80000000, v78
	s_delay_alu instid0(VALU_DEP_2) | instskip(NEXT) | instid1(VALU_DEP_1)
	v_clz_i32_u32_e32 v89, v88
	v_min_u32_e32 v89, 32, v89
	s_delay_alu instid0(VALU_DEP_1) | instskip(SKIP_1) | instid1(VALU_DEP_2)
	v_subrev_nc_u32_e32 v90, 28, v89
	v_sub_nc_u32_e32 v89, 29, v89
	v_lshlrev_b32_e32 v90, v90, v79
	v_bfe_u32 v79, v79, 3, 4
	s_delay_alu instid0(VALU_DEP_2) | instskip(NEXT) | instid1(VALU_DEP_2)
	v_and_b32_e32 v90, 7, v90
	v_cmp_eq_u32_e32 vcc_lo, 0, v79
	s_delay_alu instid0(VALU_DEP_2) | instskip(NEXT) | instid1(VALU_DEP_1)
	v_dual_cndmask_b32 v79, v79, v89 :: v_dual_cndmask_b32 v88, v88, v90
	v_lshl_add_u32 v79, v79, 23, 0x3b800000
	s_delay_alu instid0(VALU_DEP_2) | instskip(NEXT) | instid1(VALU_DEP_1)
	v_lshlrev_b32_e32 v88, 20, v88
	v_or3_b32 v79, v78, v79, v88
.LBB6_1121:                             ;   in Loop: Header=BB6_393 Depth=4
	s_or_b32 exec_lo, exec_lo, s31
	s_delay_alu instid0(VALU_DEP_1) | instskip(NEXT) | instid1(VALU_DEP_1)
	v_add_f32_e32 v78, v77, v79
	v_and_b32_e32 v77, 0x7f800000, v78
	s_delay_alu instid0(VALU_DEP_1)
	v_cmp_ne_u32_e32 vcc_lo, 0x7f800000, v77
	v_mov_b32_e32 v77, 0x8000
	s_and_saveexec_b32 s31, vcc_lo
	s_cbranch_execz .LBB6_1129
; %bb.1122:                             ;   in Loop: Header=BB6_393 Depth=4
	v_mov_b32_e32 v77, 0
	s_mov_b32 s34, exec_lo
	v_cmpx_ne_u32_e32 0, v78
	s_cbranch_execz .LBB6_1128
; %bb.1123:                             ;   in Loop: Header=BB6_393 Depth=4
	v_bfe_u32 v77, v78, 23, 8
	s_delay_alu instid0(VALU_DEP_1) | instskip(SKIP_1) | instid1(VALU_DEP_2)
	v_sub_nc_u32_e32 v88, 0x78, v77
	v_cmp_gt_u32_e32 vcc_lo, 0x79, v77
	v_dual_cndmask_b32 v88, 0, v88 :: v_dual_and_b32 v79, 0x7fffff, v78
	s_delay_alu instid0(VALU_DEP_1) | instskip(SKIP_2) | instid1(VALU_DEP_4)
	v_or_b32_e32 v89, 0x800000, v79
	v_cmp_eq_u32_e32 vcc_lo, 0, v77
	v_add_nc_u32_e32 v77, 0xffffff89, v77
	v_cndmask_b32_e64 v88, v88, 0x77, vcc_lo
	s_delay_alu instid0(VALU_DEP_2) | instskip(SKIP_1) | instid1(VALU_DEP_3)
	v_cndmask_b32_e64 v77, v77, 0xffffff8a, vcc_lo
	v_cndmask_b32_e32 v79, v89, v79, vcc_lo
	v_lshl_add_u32 v89, 0x100000, v88, -1
	v_lshlrev_b32_e64 v92, v88, 0x80000
	s_delay_alu instid0(VALU_DEP_3) | instskip(SKIP_1) | instid1(VALU_DEP_4)
	v_lshrrev_b32_e32 v90, v88, v79
	v_add_nc_u32_e32 v88, v88, v77
	v_and_b32_e32 v79, v89, v79
	s_delay_alu instid0(VALU_DEP_3) | instskip(NEXT) | instid1(VALU_DEP_2)
	v_bfe_u32 v91, v90, 20, 1
	v_cmp_eq_u32_e64 s13, v79, v92
	s_delay_alu instid0(VALU_DEP_2) | instskip(NEXT) | instid1(VALU_DEP_1)
	v_add_nc_u32_e32 v89, -1, v91
	v_cndmask_b32_e64 v79, 0, v89, s13
	v_lshrrev_b32_e32 v89, 23, v90
	s_mov_b32 s13, exec_lo
	s_delay_alu instid0(VALU_DEP_2) | instskip(NEXT) | instid1(VALU_DEP_2)
	v_add_nc_u32_e32 v79, v79, v90
	v_xor_b32_e32 v89, 1, v89
	s_delay_alu instid0(VALU_DEP_2) | instskip(NEXT) | instid1(VALU_DEP_1)
	v_and_b32_e32 v77, 0xfffff, v79
	v_add_nc_u32_e32 v79, v77, v90
                                        ; implicit-def: $vgpr77
	s_delay_alu instid0(VALU_DEP_3)
	v_cmpx_ne_u32_e64 v88, v89
	s_xor_b32 s13, exec_lo, s13
; %bb.1124:                             ;   in Loop: Header=BB6_393 Depth=4
	s_delay_alu instid0(VALU_DEP_2) | instskip(SKIP_2) | instid1(VALU_DEP_2)
	v_cmp_lt_u32_e32 vcc_lo, 0xffffff, v79
	v_sub_nc_u32_e32 v77, v88, v89
	v_cndmask_b32_e64 v88, 0, 1, vcc_lo
	v_add_co_ci_u32_e32 v77, vcc_lo, 0, v77, vcc_lo
	s_delay_alu instid0(VALU_DEP_2)
	v_lshrrev_b32_e32 v79, v88, v79
; %bb.1125:                             ;   in Loop: Header=BB6_393 Depth=4
	s_and_not1_saveexec_b32 s13, s13
; %bb.1126:                             ;   in Loop: Header=BB6_393 Depth=4
	s_delay_alu instid0(VALU_DEP_1)
	v_bfe_u32 v77, v79, 23, 1
; %bb.1127:                             ;   in Loop: Header=BB6_393 Depth=4
	s_or_b32 exec_lo, exec_lo, s13
	v_lshrrev_b32_e32 v79, 20, v79
	s_delay_alu instid0(VALU_DEP_2) | instskip(SKIP_2) | instid1(VALU_DEP_2)
	v_cmp_gt_i32_e32 vcc_lo, 16, v77
	v_min_i32_e32 v88, 15, v77
	v_lshrrev_b32_e32 v78, 24, v78
	v_dual_cndmask_b32 v79, 7, v79 :: v_dual_lshlrev_b32 v88, 3, v88
	s_delay_alu instid0(VALU_DEP_2) | instskip(NEXT) | instid1(VALU_DEP_2)
	v_and_b32_e32 v78, 0x80, v78
	v_or_b32_e32 v77, v77, v79
	v_and_b32_e32 v89, 7, v79
	s_delay_alu instid0(VALU_DEP_2) | instskip(SKIP_1) | instid1(VALU_DEP_1)
	v_cmp_ne_u32_e32 vcc_lo, 0, v77
	v_and_b32_e32 v88, 0xf8, v88
	v_or3_b32 v78, v78, v88, v89
	s_delay_alu instid0(VALU_DEP_1) | instskip(NEXT) | instid1(VALU_DEP_1)
	v_lshlrev_b32_e32 v78, 8, v78
	v_cndmask_b32_e32 v77, 0, v78, vcc_lo
.LBB6_1128:                             ;   in Loop: Header=BB6_393 Depth=4
	s_or_b32 exec_lo, exec_lo, s34
.LBB6_1129:                             ;   in Loop: Header=BB6_393 Depth=4
	s_delay_alu instid0(SALU_CYCLE_1) | instskip(SKIP_3) | instid1(VALU_DEP_1)
	s_or_b32 exec_lo, exec_lo, s31
	v_lshrrev_b32_e32 v79, 16, v23
	s_mov_b32 s13, 0
	s_mov_b32 s34, exec_lo
                                        ; implicit-def: $sgpr31
	v_and_b32_e32 v88, 0xff, v79
	s_delay_alu instid0(VALU_DEP_1)
	v_cmpx_lt_i16_e32 0x7f, v88
	s_xor_b32 s34, exec_lo, s34
	s_cbranch_execnz .LBB6_1783
; %bb.1130:                             ;   in Loop: Header=BB6_393 Depth=4
	s_or_saveexec_b32 s34, s34
	v_mov_b32_e32 v78, s31
	s_xor_b32 exec_lo, exec_lo, s34
	s_cbranch_execnz .LBB6_1786
.LBB6_1131:                             ;   in Loop: Header=BB6_393 Depth=4
	s_or_b32 exec_lo, exec_lo, s34
	s_and_saveexec_b32 s31, s13
	s_cbranch_execz .LBB6_1133
.LBB6_1132:                             ;   in Loop: Header=BB6_393 Depth=4
	v_bfe_u32 v78, v23, 16, 3
	v_lshlrev_b32_e32 v90, 8, v23
	s_delay_alu instid0(VALU_DEP_2) | instskip(NEXT) | instid1(VALU_DEP_1)
	v_clz_i32_u32_e32 v88, v78
	v_min_u32_e32 v88, 32, v88
	s_delay_alu instid0(VALU_DEP_1) | instskip(SKIP_1) | instid1(VALU_DEP_2)
	v_subrev_nc_u32_e32 v89, 28, v88
	v_sub_nc_u32_e32 v88, 29, v88
	v_lshlrev_b32_e32 v79, v89, v79
	v_bfe_u32 v89, v23, 19, 4
	s_delay_alu instid0(VALU_DEP_1) | instskip(NEXT) | instid1(VALU_DEP_3)
	v_cmp_eq_u32_e32 vcc_lo, 0, v89
	v_dual_cndmask_b32 v88, v89, v88 :: v_dual_and_b32 v79, 7, v79
	s_delay_alu instid0(VALU_DEP_1) | instskip(NEXT) | instid1(VALU_DEP_2)
	v_dual_cndmask_b32 v78, v78, v79 :: v_dual_and_b32 v79, 0x80000000, v90
	v_lshl_add_u32 v88, v88, 23, 0x3b800000
	s_delay_alu instid0(VALU_DEP_2) | instskip(NEXT) | instid1(VALU_DEP_1)
	v_lshlrev_b32_e32 v78, 20, v78
	v_or3_b32 v78, v79, v88, v78
.LBB6_1133:                             ;   in Loop: Header=BB6_393 Depth=4
	s_or_b32 exec_lo, exec_lo, s31
	v_lshrrev_b32_e32 v79, 16, v19
	s_mov_b32 s13, 0
	s_mov_b32 s34, exec_lo
                                        ; implicit-def: $sgpr31
	s_delay_alu instid0(VALU_DEP_1) | instskip(NEXT) | instid1(VALU_DEP_1)
	v_and_b32_e32 v89, 0xff, v79
	v_cmpx_lt_i16_e32 0x7f, v89
	s_xor_b32 s34, exec_lo, s34
	s_cbranch_execnz .LBB6_1787
; %bb.1134:                             ;   in Loop: Header=BB6_393 Depth=4
	s_or_saveexec_b32 s34, s34
	v_mov_b32_e32 v88, s31
	s_xor_b32 exec_lo, exec_lo, s34
	s_cbranch_execnz .LBB6_1790
.LBB6_1135:                             ;   in Loop: Header=BB6_393 Depth=4
	s_or_b32 exec_lo, exec_lo, s34
	s_and_saveexec_b32 s31, s13
	s_cbranch_execz .LBB6_1137
.LBB6_1136:                             ;   in Loop: Header=BB6_393 Depth=4
	v_bfe_u32 v88, v19, 16, 3
	v_lshlrev_b32_e32 v91, 8, v19
	s_delay_alu instid0(VALU_DEP_2) | instskip(NEXT) | instid1(VALU_DEP_1)
	v_clz_i32_u32_e32 v89, v88
	v_min_u32_e32 v89, 32, v89
	s_delay_alu instid0(VALU_DEP_1) | instskip(SKIP_1) | instid1(VALU_DEP_2)
	v_subrev_nc_u32_e32 v90, 28, v89
	v_sub_nc_u32_e32 v89, 29, v89
	v_lshlrev_b32_e32 v79, v90, v79
	v_bfe_u32 v90, v19, 19, 4
	s_delay_alu instid0(VALU_DEP_2) | instskip(NEXT) | instid1(VALU_DEP_2)
	v_and_b32_e32 v79, 7, v79
	v_cmp_eq_u32_e32 vcc_lo, 0, v90
	v_cndmask_b32_e32 v89, v90, v89, vcc_lo
	s_delay_alu instid0(VALU_DEP_3) | instskip(SKIP_1) | instid1(VALU_DEP_3)
	v_cndmask_b32_e32 v79, v88, v79, vcc_lo
	v_and_b32_e32 v88, 0x80000000, v91
	v_lshl_add_u32 v89, v89, 23, 0x3b800000
	s_delay_alu instid0(VALU_DEP_3) | instskip(NEXT) | instid1(VALU_DEP_1)
	v_lshlrev_b32_e32 v79, 20, v79
	v_or3_b32 v88, v88, v89, v79
.LBB6_1137:                             ;   in Loop: Header=BB6_393 Depth=4
	s_or_b32 exec_lo, exec_lo, s31
	s_delay_alu instid0(VALU_DEP_1) | instskip(NEXT) | instid1(VALU_DEP_1)
	v_add_f32_e32 v79, v78, v88
	v_and_b32_e32 v78, 0x7f800000, v79
	s_delay_alu instid0(VALU_DEP_1)
	v_cmp_ne_u32_e32 vcc_lo, 0x7f800000, v78
	v_mov_b32_e32 v78, 0x80
	s_and_saveexec_b32 s31, vcc_lo
	s_cbranch_execz .LBB6_1145
; %bb.1138:                             ;   in Loop: Header=BB6_393 Depth=4
	v_mov_b32_e32 v78, 0
	s_mov_b32 s34, exec_lo
	v_cmpx_ne_u32_e32 0, v79
	s_cbranch_execz .LBB6_1144
; %bb.1139:                             ;   in Loop: Header=BB6_393 Depth=4
	v_bfe_u32 v78, v79, 23, 8
	s_delay_alu instid0(VALU_DEP_1) | instskip(SKIP_1) | instid1(VALU_DEP_2)
	v_sub_nc_u32_e32 v89, 0x78, v78
	v_cmp_gt_u32_e32 vcc_lo, 0x79, v78
	v_dual_cndmask_b32 v89, 0, v89 :: v_dual_and_b32 v88, 0x7fffff, v79
	s_delay_alu instid0(VALU_DEP_1) | instskip(SKIP_2) | instid1(VALU_DEP_4)
	v_or_b32_e32 v90, 0x800000, v88
	v_cmp_eq_u32_e32 vcc_lo, 0, v78
	v_add_nc_u32_e32 v78, 0xffffff89, v78
	v_cndmask_b32_e64 v89, v89, 0x77, vcc_lo
	s_delay_alu instid0(VALU_DEP_2) | instskip(SKIP_1) | instid1(VALU_DEP_3)
	v_cndmask_b32_e64 v78, v78, 0xffffff8a, vcc_lo
	v_cndmask_b32_e32 v88, v90, v88, vcc_lo
	v_lshl_add_u32 v90, 0x100000, v89, -1
	v_lshlrev_b32_e64 v93, v89, 0x80000
	s_delay_alu instid0(VALU_DEP_3) | instskip(SKIP_1) | instid1(VALU_DEP_4)
	v_lshrrev_b32_e32 v91, v89, v88
	v_add_nc_u32_e32 v89, v89, v78
	v_and_b32_e32 v88, v90, v88
	s_delay_alu instid0(VALU_DEP_3) | instskip(NEXT) | instid1(VALU_DEP_2)
	v_bfe_u32 v92, v91, 20, 1
	v_cmp_eq_u32_e64 s13, v88, v93
	s_delay_alu instid0(VALU_DEP_2) | instskip(NEXT) | instid1(VALU_DEP_1)
	v_add_nc_u32_e32 v90, -1, v92
	v_cndmask_b32_e64 v88, 0, v90, s13
	v_lshrrev_b32_e32 v90, 23, v91
	s_mov_b32 s13, exec_lo
	s_delay_alu instid0(VALU_DEP_2) | instskip(NEXT) | instid1(VALU_DEP_2)
	v_add_nc_u32_e32 v88, v88, v91
	v_xor_b32_e32 v90, 1, v90
	s_delay_alu instid0(VALU_DEP_2) | instskip(NEXT) | instid1(VALU_DEP_1)
	v_and_b32_e32 v78, 0xfffff, v88
	v_add_nc_u32_e32 v88, v78, v91
                                        ; implicit-def: $vgpr78
	s_delay_alu instid0(VALU_DEP_3)
	v_cmpx_ne_u32_e64 v89, v90
	s_xor_b32 s13, exec_lo, s13
; %bb.1140:                             ;   in Loop: Header=BB6_393 Depth=4
	s_delay_alu instid0(VALU_DEP_2) | instskip(SKIP_2) | instid1(VALU_DEP_2)
	v_cmp_lt_u32_e32 vcc_lo, 0xffffff, v88
	v_sub_nc_u32_e32 v78, v89, v90
	v_cndmask_b32_e64 v89, 0, 1, vcc_lo
	v_add_co_ci_u32_e32 v78, vcc_lo, 0, v78, vcc_lo
	s_delay_alu instid0(VALU_DEP_2)
	v_lshrrev_b32_e32 v88, v89, v88
; %bb.1141:                             ;   in Loop: Header=BB6_393 Depth=4
	s_and_not1_saveexec_b32 s13, s13
; %bb.1142:                             ;   in Loop: Header=BB6_393 Depth=4
	s_delay_alu instid0(VALU_DEP_1)
	v_bfe_u32 v78, v88, 23, 1
; %bb.1143:                             ;   in Loop: Header=BB6_393 Depth=4
	s_or_b32 exec_lo, exec_lo, s13
	v_lshrrev_b32_e32 v88, 20, v88
	s_delay_alu instid0(VALU_DEP_2) | instskip(SKIP_2) | instid1(VALU_DEP_2)
	v_cmp_gt_i32_e32 vcc_lo, 16, v78
	v_min_i32_e32 v89, 15, v78
	v_lshrrev_b32_e32 v79, 24, v79
	v_dual_cndmask_b32 v88, 7, v88 :: v_dual_lshlrev_b32 v89, 3, v89
	s_delay_alu instid0(VALU_DEP_2) | instskip(NEXT) | instid1(VALU_DEP_2)
	v_and_b32_e32 v79, 0x80, v79
	v_or_b32_e32 v78, v78, v88
	v_and_b32_e32 v90, 7, v88
	s_delay_alu instid0(VALU_DEP_2) | instskip(SKIP_1) | instid1(VALU_DEP_1)
	v_cmp_ne_u32_e32 vcc_lo, 0, v78
	v_and_b32_e32 v89, 0xf8, v89
	v_or3_b32 v79, v89, v79, v90
	s_delay_alu instid0(VALU_DEP_1)
	v_cndmask_b32_e32 v78, 0, v79, vcc_lo
.LBB6_1144:                             ;   in Loop: Header=BB6_393 Depth=4
	s_or_b32 exec_lo, exec_lo, s34
.LBB6_1145:                             ;   in Loop: Header=BB6_393 Depth=4
	s_delay_alu instid0(SALU_CYCLE_1) | instskip(SKIP_3) | instid1(VALU_DEP_1)
	s_or_b32 exec_lo, exec_lo, s31
	v_lshrrev_b32_e32 v88, 24, v23
	s_mov_b32 s13, 0
	s_mov_b32 s34, exec_lo
                                        ; implicit-def: $sgpr31
	v_cmpx_lt_i16_e32 0x7f, v88
	s_xor_b32 s34, exec_lo, s34
	s_cbranch_execnz .LBB6_1791
; %bb.1146:                             ;   in Loop: Header=BB6_393 Depth=4
	s_or_saveexec_b32 s34, s34
	v_mov_b32_e32 v79, s31
	s_xor_b32 exec_lo, exec_lo, s34
	s_cbranch_execnz .LBB6_1794
.LBB6_1147:                             ;   in Loop: Header=BB6_393 Depth=4
	s_or_b32 exec_lo, exec_lo, s34
	s_and_saveexec_b32 s31, s13
	s_cbranch_execz .LBB6_1149
.LBB6_1148:                             ;   in Loop: Header=BB6_393 Depth=4
	v_bfe_u32 v79, v23, 24, 3
	s_delay_alu instid0(VALU_DEP_1) | instskip(NEXT) | instid1(VALU_DEP_1)
	v_clz_i32_u32_e32 v89, v79
	v_min_u32_e32 v89, 32, v89
	s_delay_alu instid0(VALU_DEP_1) | instskip(SKIP_1) | instid1(VALU_DEP_2)
	v_subrev_nc_u32_e32 v90, 28, v89
	v_sub_nc_u32_e32 v89, 29, v89
	v_lshlrev_b32_e32 v88, v90, v88
	v_bfe_u32 v90, v23, 27, 4
	v_and_b32_e32 v23, 0x80000000, v23
	s_delay_alu instid0(VALU_DEP_2) | instskip(NEXT) | instid1(VALU_DEP_4)
	v_cmp_eq_u32_e32 vcc_lo, 0, v90
	v_dual_cndmask_b32 v89, v90, v89 :: v_dual_and_b32 v88, 7, v88
	s_delay_alu instid0(VALU_DEP_1) | instskip(NEXT) | instid1(VALU_DEP_2)
	v_cndmask_b32_e32 v79, v79, v88, vcc_lo
	v_lshl_add_u32 v88, v89, 23, 0x3b800000
	s_delay_alu instid0(VALU_DEP_2) | instskip(NEXT) | instid1(VALU_DEP_1)
	v_lshlrev_b32_e32 v79, 20, v79
	v_or3_b32 v79, v23, v88, v79
.LBB6_1149:                             ;   in Loop: Header=BB6_393 Depth=4
	s_or_b32 exec_lo, exec_lo, s31
	v_lshrrev_b32_e32 v23, 24, v19
	s_mov_b32 s13, 0
	s_mov_b32 s34, exec_lo
                                        ; implicit-def: $sgpr31
	s_delay_alu instid0(VALU_DEP_1)
	v_cmpx_lt_i16_e32 0x7f, v23
	s_xor_b32 s34, exec_lo, s34
	s_cbranch_execnz .LBB6_1795
; %bb.1150:                             ;   in Loop: Header=BB6_393 Depth=4
	s_or_saveexec_b32 s34, s34
	v_mov_b32_e32 v88, s31
	s_xor_b32 exec_lo, exec_lo, s34
	s_cbranch_execnz .LBB6_1798
.LBB6_1151:                             ;   in Loop: Header=BB6_393 Depth=4
	s_or_b32 exec_lo, exec_lo, s34
	s_and_saveexec_b32 s31, s13
	s_cbranch_execz .LBB6_1153
.LBB6_1152:                             ;   in Loop: Header=BB6_393 Depth=4
	v_bfe_u32 v88, v19, 24, 3
	s_delay_alu instid0(VALU_DEP_1) | instskip(NEXT) | instid1(VALU_DEP_1)
	v_clz_i32_u32_e32 v89, v88
	v_min_u32_e32 v89, 32, v89
	s_delay_alu instid0(VALU_DEP_1) | instskip(SKIP_1) | instid1(VALU_DEP_2)
	v_subrev_nc_u32_e32 v90, 28, v89
	v_sub_nc_u32_e32 v89, 29, v89
	v_lshlrev_b32_e32 v23, v90, v23
	v_bfe_u32 v90, v19, 27, 4
	v_and_b32_e32 v19, 0x80000000, v19
	s_delay_alu instid0(VALU_DEP_3) | instskip(NEXT) | instid1(VALU_DEP_3)
	v_and_b32_e32 v23, 7, v23
	v_cmp_eq_u32_e32 vcc_lo, 0, v90
	v_cndmask_b32_e32 v89, v90, v89, vcc_lo
	s_delay_alu instid0(VALU_DEP_3) | instskip(NEXT) | instid1(VALU_DEP_2)
	v_cndmask_b32_e32 v23, v88, v23, vcc_lo
	v_lshl_add_u32 v88, v89, 23, 0x3b800000
	s_delay_alu instid0(VALU_DEP_2) | instskip(NEXT) | instid1(VALU_DEP_1)
	v_lshlrev_b32_e32 v23, 20, v23
	v_or3_b32 v88, v19, v88, v23
.LBB6_1153:                             ;   in Loop: Header=BB6_393 Depth=4
	s_or_b32 exec_lo, exec_lo, s31
	s_delay_alu instid0(VALU_DEP_1) | instskip(NEXT) | instid1(VALU_DEP_1)
	v_add_f32_e32 v23, v79, v88
	v_and_b32_e32 v19, 0x7f800000, v23
	s_delay_alu instid0(VALU_DEP_1)
	v_cmp_ne_u32_e32 vcc_lo, 0x7f800000, v19
	v_mov_b32_e32 v19, 0x8000
	s_and_saveexec_b32 s31, vcc_lo
	s_cbranch_execz .LBB6_1161
; %bb.1154:                             ;   in Loop: Header=BB6_393 Depth=4
	v_mov_b32_e32 v19, 0
	s_mov_b32 s34, exec_lo
	v_cmpx_ne_u32_e32 0, v23
	s_cbranch_execz .LBB6_1160
; %bb.1155:                             ;   in Loop: Header=BB6_393 Depth=4
	v_bfe_u32 v19, v23, 23, 8
	s_delay_alu instid0(VALU_DEP_1) | instskip(SKIP_1) | instid1(VALU_DEP_2)
	v_sub_nc_u32_e32 v88, 0x78, v19
	v_cmp_gt_u32_e32 vcc_lo, 0x79, v19
	v_dual_cndmask_b32 v88, 0, v88 :: v_dual_and_b32 v79, 0x7fffff, v23
	s_delay_alu instid0(VALU_DEP_1) | instskip(SKIP_2) | instid1(VALU_DEP_4)
	v_or_b32_e32 v89, 0x800000, v79
	v_cmp_eq_u32_e32 vcc_lo, 0, v19
	v_add_nc_u32_e32 v19, 0xffffff89, v19
	v_cndmask_b32_e64 v88, v88, 0x77, vcc_lo
	s_delay_alu instid0(VALU_DEP_4) | instskip(NEXT) | instid1(VALU_DEP_3)
	v_cndmask_b32_e32 v79, v89, v79, vcc_lo
	v_cndmask_b32_e64 v19, v19, 0xffffff8a, vcc_lo
	s_delay_alu instid0(VALU_DEP_3) | instskip(NEXT) | instid1(VALU_DEP_3)
	v_lshl_add_u32 v89, 0x100000, v88, -1
	v_lshrrev_b32_e32 v90, v88, v79
	v_lshlrev_b32_e64 v92, v88, 0x80000
	s_delay_alu instid0(VALU_DEP_4) | instskip(NEXT) | instid1(VALU_DEP_4)
	v_add_nc_u32_e32 v88, v88, v19
	v_and_b32_e32 v79, v89, v79
	s_delay_alu instid0(VALU_DEP_4) | instskip(NEXT) | instid1(VALU_DEP_2)
	v_bfe_u32 v91, v90, 20, 1
	v_cmp_eq_u32_e64 s13, v79, v92
	s_delay_alu instid0(VALU_DEP_2) | instskip(NEXT) | instid1(VALU_DEP_1)
	v_add_nc_u32_e32 v89, -1, v91
	v_cndmask_b32_e64 v79, 0, v89, s13
	v_lshrrev_b32_e32 v89, 23, v90
	s_mov_b32 s13, exec_lo
	s_delay_alu instid0(VALU_DEP_2) | instskip(NEXT) | instid1(VALU_DEP_2)
	v_add_nc_u32_e32 v79, v79, v90
	v_xor_b32_e32 v89, 1, v89
	s_delay_alu instid0(VALU_DEP_2) | instskip(NEXT) | instid1(VALU_DEP_1)
	v_and_b32_e32 v19, 0xfffff, v79
	v_add_nc_u32_e32 v79, v19, v90
                                        ; implicit-def: $vgpr19
	s_delay_alu instid0(VALU_DEP_3)
	v_cmpx_ne_u32_e64 v88, v89
	s_xor_b32 s13, exec_lo, s13
; %bb.1156:                             ;   in Loop: Header=BB6_393 Depth=4
	s_delay_alu instid0(VALU_DEP_2) | instskip(SKIP_2) | instid1(VALU_DEP_2)
	v_cmp_lt_u32_e32 vcc_lo, 0xffffff, v79
	v_sub_nc_u32_e32 v19, v88, v89
	v_cndmask_b32_e64 v88, 0, 1, vcc_lo
	v_add_co_ci_u32_e32 v19, vcc_lo, 0, v19, vcc_lo
	s_delay_alu instid0(VALU_DEP_2)
	v_lshrrev_b32_e32 v79, v88, v79
; %bb.1157:                             ;   in Loop: Header=BB6_393 Depth=4
	s_and_not1_saveexec_b32 s13, s13
; %bb.1158:                             ;   in Loop: Header=BB6_393 Depth=4
	s_delay_alu instid0(VALU_DEP_1)
	v_bfe_u32 v19, v79, 23, 1
; %bb.1159:                             ;   in Loop: Header=BB6_393 Depth=4
	s_or_b32 exec_lo, exec_lo, s13
	v_lshrrev_b32_e32 v79, 20, v79
	s_delay_alu instid0(VALU_DEP_2) | instskip(SKIP_2) | instid1(VALU_DEP_2)
	v_cmp_gt_i32_e32 vcc_lo, 16, v19
	v_min_i32_e32 v88, 15, v19
	v_lshrrev_b32_e32 v23, 24, v23
	v_dual_cndmask_b32 v79, 7, v79 :: v_dual_lshlrev_b32 v88, 3, v88
	s_delay_alu instid0(VALU_DEP_2) | instskip(NEXT) | instid1(VALU_DEP_2)
	v_and_b32_e32 v23, 0x80, v23
	v_or_b32_e32 v19, v19, v79
	v_and_b32_e32 v89, 7, v79
	s_delay_alu instid0(VALU_DEP_2) | instskip(SKIP_1) | instid1(VALU_DEP_1)
	v_cmp_ne_u32_e32 vcc_lo, 0, v19
	v_and_b32_e32 v88, 0xf8, v88
	v_or3_b32 v23, v23, v88, v89
	s_delay_alu instid0(VALU_DEP_1) | instskip(NEXT) | instid1(VALU_DEP_1)
	v_lshlrev_b32_e32 v23, 8, v23
	v_cndmask_b32_e32 v19, 0, v23, vcc_lo
.LBB6_1160:                             ;   in Loop: Header=BB6_393 Depth=4
	s_or_b32 exec_lo, exec_lo, s34
.LBB6_1161:                             ;   in Loop: Header=BB6_393 Depth=4
	s_delay_alu instid0(SALU_CYCLE_1) | instskip(SKIP_3) | instid1(VALU_DEP_1)
	s_or_b32 exec_lo, exec_lo, s31
	v_and_b32_e32 v79, 0xff, v12
	s_mov_b32 s13, 0
	s_mov_b32 s34, exec_lo
                                        ; implicit-def: $sgpr31
	v_cmpx_lt_i16_e32 0x7f, v79
	s_xor_b32 s34, exec_lo, s34
	s_cbranch_execnz .LBB6_1799
; %bb.1162:                             ;   in Loop: Header=BB6_393 Depth=4
	s_or_saveexec_b32 s34, s34
	v_mov_b32_e32 v23, s31
	s_xor_b32 exec_lo, exec_lo, s34
	s_cbranch_execnz .LBB6_1802
.LBB6_1163:                             ;   in Loop: Header=BB6_393 Depth=4
	s_or_b32 exec_lo, exec_lo, s34
	s_and_saveexec_b32 s31, s13
	s_cbranch_execz .LBB6_1165
.LBB6_1164:                             ;   in Loop: Header=BB6_393 Depth=4
	v_and_b32_e32 v23, 7, v12
	v_bfe_u32 v89, v12, 3, 4
	v_lshlrev_b32_e32 v90, 24, v12
	s_delay_alu instid0(VALU_DEP_3) | instskip(NEXT) | instid1(VALU_DEP_3)
	v_clz_i32_u32_e32 v79, v23
	v_cmp_eq_u32_e32 vcc_lo, 0, v89
	s_delay_alu instid0(VALU_DEP_2) | instskip(NEXT) | instid1(VALU_DEP_1)
	v_min_u32_e32 v79, 32, v79
	v_subrev_nc_u32_e32 v88, 28, v79
	v_sub_nc_u32_e32 v79, 29, v79
	s_delay_alu instid0(VALU_DEP_1) | instskip(NEXT) | instid1(VALU_DEP_1)
	v_dual_cndmask_b32 v79, v89, v79 :: v_dual_lshlrev_b32 v88, v88, v12
	v_and_b32_e32 v88, 7, v88
	s_delay_alu instid0(VALU_DEP_2) | instskip(NEXT) | instid1(VALU_DEP_2)
	v_lshl_add_u32 v79, v79, 23, 0x3b800000
	v_dual_cndmask_b32 v23, v23, v88 :: v_dual_and_b32 v88, 0x80000000, v90
	s_delay_alu instid0(VALU_DEP_1) | instskip(NEXT) | instid1(VALU_DEP_1)
	v_lshlrev_b32_e32 v23, 20, v23
	v_or3_b32 v23, v88, v79, v23
.LBB6_1165:                             ;   in Loop: Header=BB6_393 Depth=4
	s_or_b32 exec_lo, exec_lo, s31
	s_waitcnt vmcnt(0)
	v_and_b32_e32 v88, 0xff, v8
	s_mov_b32 s13, 0
	s_mov_b32 s34, exec_lo
                                        ; implicit-def: $sgpr31
	s_delay_alu instid0(VALU_DEP_1)
	v_cmpx_lt_i16_e32 0x7f, v88
	s_xor_b32 s34, exec_lo, s34
	s_cbranch_execnz .LBB6_1803
; %bb.1166:                             ;   in Loop: Header=BB6_393 Depth=4
	s_or_saveexec_b32 s34, s34
	v_mov_b32_e32 v79, s31
	s_xor_b32 exec_lo, exec_lo, s34
	s_cbranch_execnz .LBB6_1806
.LBB6_1167:                             ;   in Loop: Header=BB6_393 Depth=4
	s_or_b32 exec_lo, exec_lo, s34
	s_and_saveexec_b32 s31, s13
	s_cbranch_execz .LBB6_1169
.LBB6_1168:                             ;   in Loop: Header=BB6_393 Depth=4
	v_and_b32_e32 v79, 7, v8
	v_bfe_u32 v90, v8, 3, 4
	v_lshlrev_b32_e32 v91, 24, v8
	s_delay_alu instid0(VALU_DEP_3) | instskip(NEXT) | instid1(VALU_DEP_3)
	v_clz_i32_u32_e32 v88, v79
	v_cmp_eq_u32_e32 vcc_lo, 0, v90
	s_delay_alu instid0(VALU_DEP_2) | instskip(NEXT) | instid1(VALU_DEP_1)
	v_min_u32_e32 v88, 32, v88
	v_subrev_nc_u32_e32 v89, 28, v88
	v_sub_nc_u32_e32 v88, 29, v88
	s_delay_alu instid0(VALU_DEP_2) | instskip(NEXT) | instid1(VALU_DEP_1)
	v_lshlrev_b32_e32 v89, v89, v8
	v_dual_cndmask_b32 v88, v90, v88 :: v_dual_and_b32 v89, 7, v89
	s_delay_alu instid0(VALU_DEP_1) | instskip(NEXT) | instid1(VALU_DEP_2)
	v_lshl_add_u32 v88, v88, 23, 0x3b800000
	v_cndmask_b32_e32 v79, v79, v89, vcc_lo
	v_and_b32_e32 v89, 0x80000000, v91
	s_delay_alu instid0(VALU_DEP_2) | instskip(NEXT) | instid1(VALU_DEP_1)
	v_lshlrev_b32_e32 v79, 20, v79
	v_or3_b32 v79, v89, v88, v79
.LBB6_1169:                             ;   in Loop: Header=BB6_393 Depth=4
	s_or_b32 exec_lo, exec_lo, s31
	s_delay_alu instid0(VALU_DEP_1) | instskip(NEXT) | instid1(VALU_DEP_1)
	v_add_f32_e32 v79, v23, v79
	v_and_b32_e32 v23, 0x7f800000, v79
	s_delay_alu instid0(VALU_DEP_1)
	v_cmp_ne_u32_e32 vcc_lo, 0x7f800000, v23
	v_mov_b32_e32 v23, 0x80
	s_and_saveexec_b32 s31, vcc_lo
	s_cbranch_execz .LBB6_1177
; %bb.1170:                             ;   in Loop: Header=BB6_393 Depth=4
	v_mov_b32_e32 v23, 0
	s_mov_b32 s34, exec_lo
	v_cmpx_ne_u32_e32 0, v79
	s_cbranch_execz .LBB6_1176
; %bb.1171:                             ;   in Loop: Header=BB6_393 Depth=4
	v_bfe_u32 v23, v79, 23, 8
	s_delay_alu instid0(VALU_DEP_1) | instskip(SKIP_1) | instid1(VALU_DEP_2)
	v_sub_nc_u32_e32 v89, 0x78, v23
	v_cmp_gt_u32_e32 vcc_lo, 0x79, v23
	v_dual_cndmask_b32 v89, 0, v89 :: v_dual_and_b32 v88, 0x7fffff, v79
	s_delay_alu instid0(VALU_DEP_1) | instskip(SKIP_2) | instid1(VALU_DEP_4)
	v_or_b32_e32 v90, 0x800000, v88
	v_cmp_eq_u32_e32 vcc_lo, 0, v23
	v_add_nc_u32_e32 v23, 0xffffff89, v23
	v_cndmask_b32_e64 v89, v89, 0x77, vcc_lo
	s_delay_alu instid0(VALU_DEP_4) | instskip(NEXT) | instid1(VALU_DEP_3)
	v_cndmask_b32_e32 v88, v90, v88, vcc_lo
	v_cndmask_b32_e64 v23, v23, 0xffffff8a, vcc_lo
	s_delay_alu instid0(VALU_DEP_3) | instskip(NEXT) | instid1(VALU_DEP_3)
	v_lshl_add_u32 v90, 0x100000, v89, -1
	v_lshrrev_b32_e32 v91, v89, v88
	v_lshlrev_b32_e64 v93, v89, 0x80000
	s_delay_alu instid0(VALU_DEP_4) | instskip(NEXT) | instid1(VALU_DEP_4)
	v_add_nc_u32_e32 v89, v89, v23
	v_and_b32_e32 v88, v90, v88
	s_delay_alu instid0(VALU_DEP_4) | instskip(NEXT) | instid1(VALU_DEP_2)
	v_bfe_u32 v92, v91, 20, 1
	v_cmp_eq_u32_e64 s13, v88, v93
	s_delay_alu instid0(VALU_DEP_2) | instskip(NEXT) | instid1(VALU_DEP_1)
	v_add_nc_u32_e32 v90, -1, v92
	v_cndmask_b32_e64 v88, 0, v90, s13
	v_lshrrev_b32_e32 v90, 23, v91
	s_mov_b32 s13, exec_lo
	s_delay_alu instid0(VALU_DEP_2) | instskip(NEXT) | instid1(VALU_DEP_2)
	v_add_nc_u32_e32 v88, v88, v91
	v_xor_b32_e32 v90, 1, v90
	s_delay_alu instid0(VALU_DEP_2) | instskip(NEXT) | instid1(VALU_DEP_1)
	v_and_b32_e32 v23, 0xfffff, v88
	v_add_nc_u32_e32 v88, v23, v91
                                        ; implicit-def: $vgpr23
	s_delay_alu instid0(VALU_DEP_3)
	v_cmpx_ne_u32_e64 v89, v90
	s_xor_b32 s13, exec_lo, s13
; %bb.1172:                             ;   in Loop: Header=BB6_393 Depth=4
	s_delay_alu instid0(VALU_DEP_2) | instskip(SKIP_2) | instid1(VALU_DEP_2)
	v_cmp_lt_u32_e32 vcc_lo, 0xffffff, v88
	v_sub_nc_u32_e32 v23, v89, v90
	v_cndmask_b32_e64 v89, 0, 1, vcc_lo
	v_add_co_ci_u32_e32 v23, vcc_lo, 0, v23, vcc_lo
	s_delay_alu instid0(VALU_DEP_2)
	v_lshrrev_b32_e32 v88, v89, v88
; %bb.1173:                             ;   in Loop: Header=BB6_393 Depth=4
	s_and_not1_saveexec_b32 s13, s13
; %bb.1174:                             ;   in Loop: Header=BB6_393 Depth=4
	s_delay_alu instid0(VALU_DEP_1)
	v_bfe_u32 v23, v88, 23, 1
; %bb.1175:                             ;   in Loop: Header=BB6_393 Depth=4
	s_or_b32 exec_lo, exec_lo, s13
	v_lshrrev_b32_e32 v88, 20, v88
	s_delay_alu instid0(VALU_DEP_2) | instskip(SKIP_2) | instid1(VALU_DEP_2)
	v_cmp_gt_i32_e32 vcc_lo, 16, v23
	v_lshrrev_b32_e32 v79, 24, v79
	v_min_i32_e32 v89, 15, v23
	v_dual_cndmask_b32 v88, 7, v88 :: v_dual_and_b32 v79, 0x80, v79
	s_delay_alu instid0(VALU_DEP_2) | instskip(NEXT) | instid1(VALU_DEP_2)
	v_lshlrev_b32_e32 v89, 3, v89
	v_or_b32_e32 v23, v23, v88
	s_delay_alu instid0(VALU_DEP_1) | instskip(SKIP_1) | instid1(VALU_DEP_1)
	v_cmp_ne_u32_e32 vcc_lo, 0, v23
	v_and_b32_e32 v90, 7, v88
	v_or3_b32 v79, v89, v79, v90
	s_delay_alu instid0(VALU_DEP_1)
	v_cndmask_b32_e32 v23, 0, v79, vcc_lo
.LBB6_1176:                             ;   in Loop: Header=BB6_393 Depth=4
	s_or_b32 exec_lo, exec_lo, s34
.LBB6_1177:                             ;   in Loop: Header=BB6_393 Depth=4
	s_delay_alu instid0(SALU_CYCLE_1) | instskip(SKIP_3) | instid1(VALU_DEP_1)
	s_or_b32 exec_lo, exec_lo, s31
	v_lshrrev_b16 v88, 8, v12
	s_mov_b32 s13, 0
	s_mov_b32 s34, exec_lo
                                        ; implicit-def: $sgpr31
	v_cmpx_lt_i16_e32 0x7f, v88
	s_xor_b32 s34, exec_lo, s34
	s_cbranch_execnz .LBB6_1807
; %bb.1178:                             ;   in Loop: Header=BB6_393 Depth=4
	s_or_saveexec_b32 s34, s34
	v_mov_b32_e32 v79, s31
	s_xor_b32 exec_lo, exec_lo, s34
	s_cbranch_execnz .LBB6_1810
.LBB6_1179:                             ;   in Loop: Header=BB6_393 Depth=4
	s_or_b32 exec_lo, exec_lo, s34
	s_and_saveexec_b32 s31, s13
	s_cbranch_execz .LBB6_1181
.LBB6_1180:                             ;   in Loop: Header=BB6_393 Depth=4
	v_and_b32_e32 v79, 0xffff, v88
	s_delay_alu instid0(VALU_DEP_1) | instskip(NEXT) | instid1(VALU_DEP_1)
	v_and_b32_e32 v89, 7, v79
	v_clz_i32_u32_e32 v90, v89
	s_delay_alu instid0(VALU_DEP_1) | instskip(NEXT) | instid1(VALU_DEP_1)
	v_min_u32_e32 v90, 32, v90
	v_subrev_nc_u32_e32 v91, 28, v90
	v_sub_nc_u32_e32 v90, 29, v90
	s_delay_alu instid0(VALU_DEP_2) | instskip(SKIP_1) | instid1(VALU_DEP_2)
	v_lshlrev_b32_e32 v91, v91, v79
	v_bfe_u32 v79, v79, 3, 4
	v_and_b32_e32 v91, 7, v91
	s_delay_alu instid0(VALU_DEP_2) | instskip(SKIP_1) | instid1(VALU_DEP_1)
	v_cmp_eq_u32_e32 vcc_lo, 0, v79
	v_dual_cndmask_b32 v79, v79, v90 :: v_dual_lshlrev_b32 v88, 24, v88
	v_dual_cndmask_b32 v89, v89, v91 :: v_dual_and_b32 v88, 0x80000000, v88
	s_delay_alu instid0(VALU_DEP_2) | instskip(NEXT) | instid1(VALU_DEP_2)
	v_lshl_add_u32 v79, v79, 23, 0x3b800000
	v_lshlrev_b32_e32 v89, 20, v89
	s_delay_alu instid0(VALU_DEP_1)
	v_or3_b32 v79, v88, v79, v89
.LBB6_1181:                             ;   in Loop: Header=BB6_393 Depth=4
	s_or_b32 exec_lo, exec_lo, s31
	v_lshrrev_b16 v88, 8, v8
	s_mov_b32 s13, 0
	s_mov_b32 s34, exec_lo
                                        ; implicit-def: $sgpr31
	s_delay_alu instid0(VALU_DEP_1)
	v_cmpx_lt_i16_e32 0x7f, v88
	s_xor_b32 s34, exec_lo, s34
	s_cbranch_execnz .LBB6_1811
; %bb.1182:                             ;   in Loop: Header=BB6_393 Depth=4
	s_or_saveexec_b32 s34, s34
	v_mov_b32_e32 v89, s31
	s_xor_b32 exec_lo, exec_lo, s34
	s_cbranch_execnz .LBB6_1814
.LBB6_1183:                             ;   in Loop: Header=BB6_393 Depth=4
	s_or_b32 exec_lo, exec_lo, s34
	s_and_saveexec_b32 s31, s13
	s_cbranch_execz .LBB6_1185
.LBB6_1184:                             ;   in Loop: Header=BB6_393 Depth=4
	v_and_b32_e32 v89, 0xffff, v88
	v_lshlrev_b32_e32 v88, 24, v88
	s_delay_alu instid0(VALU_DEP_2) | instskip(NEXT) | instid1(VALU_DEP_2)
	v_and_b32_e32 v90, 7, v89
	v_and_b32_e32 v88, 0x80000000, v88
	s_delay_alu instid0(VALU_DEP_2) | instskip(NEXT) | instid1(VALU_DEP_1)
	v_clz_i32_u32_e32 v91, v90
	v_min_u32_e32 v91, 32, v91
	s_delay_alu instid0(VALU_DEP_1) | instskip(SKIP_1) | instid1(VALU_DEP_2)
	v_subrev_nc_u32_e32 v92, 28, v91
	v_sub_nc_u32_e32 v91, 29, v91
	v_lshlrev_b32_e32 v92, v92, v89
	v_bfe_u32 v89, v89, 3, 4
	s_delay_alu instid0(VALU_DEP_2) | instskip(NEXT) | instid1(VALU_DEP_2)
	v_and_b32_e32 v92, 7, v92
	v_cmp_eq_u32_e32 vcc_lo, 0, v89
	s_delay_alu instid0(VALU_DEP_2) | instskip(NEXT) | instid1(VALU_DEP_1)
	v_dual_cndmask_b32 v89, v89, v91 :: v_dual_cndmask_b32 v90, v90, v92
	v_lshl_add_u32 v89, v89, 23, 0x3b800000
	s_delay_alu instid0(VALU_DEP_2) | instskip(NEXT) | instid1(VALU_DEP_1)
	v_lshlrev_b32_e32 v90, 20, v90
	v_or3_b32 v89, v88, v89, v90
.LBB6_1185:                             ;   in Loop: Header=BB6_393 Depth=4
	s_or_b32 exec_lo, exec_lo, s31
	s_delay_alu instid0(VALU_DEP_1) | instskip(NEXT) | instid1(VALU_DEP_1)
	v_add_f32_e32 v88, v79, v89
	v_and_b32_e32 v79, 0x7f800000, v88
	s_delay_alu instid0(VALU_DEP_1)
	v_cmp_ne_u32_e32 vcc_lo, 0x7f800000, v79
	v_mov_b32_e32 v79, 0x80
	s_and_saveexec_b32 s31, vcc_lo
	s_cbranch_execz .LBB6_1193
; %bb.1186:                             ;   in Loop: Header=BB6_393 Depth=4
	v_mov_b32_e32 v79, 0
	s_mov_b32 s34, exec_lo
	v_cmpx_ne_u32_e32 0, v88
	s_cbranch_execz .LBB6_1192
; %bb.1187:                             ;   in Loop: Header=BB6_393 Depth=4
	v_bfe_u32 v79, v88, 23, 8
	s_delay_alu instid0(VALU_DEP_1) | instskip(SKIP_1) | instid1(VALU_DEP_2)
	v_sub_nc_u32_e32 v90, 0x78, v79
	v_cmp_gt_u32_e32 vcc_lo, 0x79, v79
	v_dual_cndmask_b32 v90, 0, v90 :: v_dual_and_b32 v89, 0x7fffff, v88
	s_delay_alu instid0(VALU_DEP_1) | instskip(SKIP_2) | instid1(VALU_DEP_4)
	v_or_b32_e32 v91, 0x800000, v89
	v_cmp_eq_u32_e32 vcc_lo, 0, v79
	v_add_nc_u32_e32 v79, 0xffffff89, v79
	v_cndmask_b32_e64 v90, v90, 0x77, vcc_lo
	s_delay_alu instid0(VALU_DEP_2) | instskip(SKIP_1) | instid1(VALU_DEP_3)
	v_cndmask_b32_e64 v79, v79, 0xffffff8a, vcc_lo
	v_cndmask_b32_e32 v89, v91, v89, vcc_lo
	v_lshl_add_u32 v91, 0x100000, v90, -1
	v_lshlrev_b32_e64 v94, v90, 0x80000
	s_delay_alu instid0(VALU_DEP_3) | instskip(SKIP_1) | instid1(VALU_DEP_4)
	v_lshrrev_b32_e32 v92, v90, v89
	v_add_nc_u32_e32 v90, v90, v79
	v_and_b32_e32 v89, v91, v89
	s_delay_alu instid0(VALU_DEP_3) | instskip(NEXT) | instid1(VALU_DEP_2)
	v_bfe_u32 v93, v92, 20, 1
	v_cmp_eq_u32_e64 s13, v89, v94
	s_delay_alu instid0(VALU_DEP_2) | instskip(NEXT) | instid1(VALU_DEP_1)
	v_add_nc_u32_e32 v91, -1, v93
	v_cndmask_b32_e64 v89, 0, v91, s13
	v_lshrrev_b32_e32 v91, 23, v92
	s_mov_b32 s13, exec_lo
	s_delay_alu instid0(VALU_DEP_2) | instskip(NEXT) | instid1(VALU_DEP_2)
	v_add_nc_u32_e32 v89, v89, v92
	v_xor_b32_e32 v91, 1, v91
	s_delay_alu instid0(VALU_DEP_2) | instskip(NEXT) | instid1(VALU_DEP_1)
	v_and_b32_e32 v79, 0xfffff, v89
	v_add_nc_u32_e32 v89, v79, v92
                                        ; implicit-def: $vgpr79
	s_delay_alu instid0(VALU_DEP_3)
	v_cmpx_ne_u32_e64 v90, v91
	s_xor_b32 s13, exec_lo, s13
; %bb.1188:                             ;   in Loop: Header=BB6_393 Depth=4
	s_delay_alu instid0(VALU_DEP_2) | instskip(SKIP_2) | instid1(VALU_DEP_2)
	v_cmp_lt_u32_e32 vcc_lo, 0xffffff, v89
	v_sub_nc_u32_e32 v79, v90, v91
	v_cndmask_b32_e64 v90, 0, 1, vcc_lo
	v_add_co_ci_u32_e32 v79, vcc_lo, 0, v79, vcc_lo
	s_delay_alu instid0(VALU_DEP_2)
	v_lshrrev_b32_e32 v89, v90, v89
; %bb.1189:                             ;   in Loop: Header=BB6_393 Depth=4
	s_and_not1_saveexec_b32 s13, s13
; %bb.1190:                             ;   in Loop: Header=BB6_393 Depth=4
	s_delay_alu instid0(VALU_DEP_1)
	v_bfe_u32 v79, v89, 23, 1
; %bb.1191:                             ;   in Loop: Header=BB6_393 Depth=4
	s_or_b32 exec_lo, exec_lo, s13
	v_lshrrev_b32_e32 v89, 20, v89
	s_delay_alu instid0(VALU_DEP_2) | instskip(SKIP_2) | instid1(VALU_DEP_2)
	v_cmp_gt_i32_e32 vcc_lo, 16, v79
	v_lshrrev_b32_e32 v88, 24, v88
	v_min_i32_e32 v90, 15, v79
	v_dual_cndmask_b32 v89, 7, v89 :: v_dual_and_b32 v88, 0x80, v88
	s_delay_alu instid0(VALU_DEP_1) | instskip(SKIP_1) | instid1(VALU_DEP_2)
	v_or_b32_e32 v79, v79, v89
	v_and_b32_e32 v91, 7, v89
	v_cmp_ne_u32_e32 vcc_lo, 0, v79
	v_lshlrev_b32_e32 v90, 3, v90
	s_delay_alu instid0(VALU_DEP_1) | instskip(NEXT) | instid1(VALU_DEP_1)
	v_or3_b32 v88, v90, v88, v91
	v_cndmask_b32_e32 v79, 0, v88, vcc_lo
.LBB6_1192:                             ;   in Loop: Header=BB6_393 Depth=4
	s_or_b32 exec_lo, exec_lo, s34
.LBB6_1193:                             ;   in Loop: Header=BB6_393 Depth=4
	s_delay_alu instid0(SALU_CYCLE_1) | instskip(SKIP_3) | instid1(VALU_DEP_1)
	s_or_b32 exec_lo, exec_lo, s31
	v_lshrrev_b32_e32 v89, 16, v12
	s_mov_b32 s13, 0
	s_mov_b32 s34, exec_lo
                                        ; implicit-def: $sgpr31
	v_and_b32_e32 v90, 0xff, v89
	s_delay_alu instid0(VALU_DEP_1)
	v_cmpx_lt_i16_e32 0x7f, v90
	s_xor_b32 s34, exec_lo, s34
	s_cbranch_execnz .LBB6_1815
; %bb.1194:                             ;   in Loop: Header=BB6_393 Depth=4
	s_or_saveexec_b32 s34, s34
	v_mov_b32_e32 v88, s31
	s_xor_b32 exec_lo, exec_lo, s34
	s_cbranch_execnz .LBB6_1818
.LBB6_1195:                             ;   in Loop: Header=BB6_393 Depth=4
	s_or_b32 exec_lo, exec_lo, s34
	s_and_saveexec_b32 s31, s13
	s_cbranch_execz .LBB6_1197
.LBB6_1196:                             ;   in Loop: Header=BB6_393 Depth=4
	v_bfe_u32 v88, v12, 16, 3
	v_lshlrev_b32_e32 v92, 8, v12
	s_delay_alu instid0(VALU_DEP_2) | instskip(NEXT) | instid1(VALU_DEP_1)
	v_clz_i32_u32_e32 v90, v88
	v_min_u32_e32 v90, 32, v90
	s_delay_alu instid0(VALU_DEP_1) | instskip(SKIP_1) | instid1(VALU_DEP_2)
	v_subrev_nc_u32_e32 v91, 28, v90
	v_sub_nc_u32_e32 v90, 29, v90
	v_lshlrev_b32_e32 v89, v91, v89
	v_bfe_u32 v91, v12, 19, 4
	s_delay_alu instid0(VALU_DEP_1) | instskip(NEXT) | instid1(VALU_DEP_3)
	v_cmp_eq_u32_e32 vcc_lo, 0, v91
	v_dual_cndmask_b32 v90, v91, v90 :: v_dual_and_b32 v89, 7, v89
	s_delay_alu instid0(VALU_DEP_1) | instskip(NEXT) | instid1(VALU_DEP_2)
	v_dual_cndmask_b32 v88, v88, v89 :: v_dual_and_b32 v89, 0x80000000, v92
	v_lshl_add_u32 v90, v90, 23, 0x3b800000
	s_delay_alu instid0(VALU_DEP_2) | instskip(NEXT) | instid1(VALU_DEP_1)
	v_lshlrev_b32_e32 v88, 20, v88
	v_or3_b32 v88, v89, v90, v88
.LBB6_1197:                             ;   in Loop: Header=BB6_393 Depth=4
	s_or_b32 exec_lo, exec_lo, s31
	v_lshrrev_b32_e32 v89, 16, v8
	s_mov_b32 s13, 0
	s_mov_b32 s34, exec_lo
                                        ; implicit-def: $sgpr31
	s_delay_alu instid0(VALU_DEP_1) | instskip(NEXT) | instid1(VALU_DEP_1)
	v_and_b32_e32 v91, 0xff, v89
	v_cmpx_lt_i16_e32 0x7f, v91
	s_xor_b32 s34, exec_lo, s34
	s_cbranch_execnz .LBB6_1819
; %bb.1198:                             ;   in Loop: Header=BB6_393 Depth=4
	s_or_saveexec_b32 s34, s34
	v_mov_b32_e32 v90, s31
	s_xor_b32 exec_lo, exec_lo, s34
	s_cbranch_execnz .LBB6_1822
.LBB6_1199:                             ;   in Loop: Header=BB6_393 Depth=4
	s_or_b32 exec_lo, exec_lo, s34
	s_and_saveexec_b32 s31, s13
	s_cbranch_execz .LBB6_1201
.LBB6_1200:                             ;   in Loop: Header=BB6_393 Depth=4
	v_bfe_u32 v90, v8, 16, 3
	v_lshlrev_b32_e32 v93, 8, v8
	s_delay_alu instid0(VALU_DEP_2) | instskip(NEXT) | instid1(VALU_DEP_1)
	v_clz_i32_u32_e32 v91, v90
	v_min_u32_e32 v91, 32, v91
	s_delay_alu instid0(VALU_DEP_1) | instskip(SKIP_1) | instid1(VALU_DEP_2)
	v_subrev_nc_u32_e32 v92, 28, v91
	v_sub_nc_u32_e32 v91, 29, v91
	v_lshlrev_b32_e32 v89, v92, v89
	v_bfe_u32 v92, v8, 19, 4
	s_delay_alu instid0(VALU_DEP_2) | instskip(NEXT) | instid1(VALU_DEP_2)
	v_and_b32_e32 v89, 7, v89
	v_cmp_eq_u32_e32 vcc_lo, 0, v92
	v_cndmask_b32_e32 v91, v92, v91, vcc_lo
	s_delay_alu instid0(VALU_DEP_3) | instskip(SKIP_1) | instid1(VALU_DEP_3)
	v_cndmask_b32_e32 v89, v90, v89, vcc_lo
	v_and_b32_e32 v90, 0x80000000, v93
	v_lshl_add_u32 v91, v91, 23, 0x3b800000
	s_delay_alu instid0(VALU_DEP_3) | instskip(NEXT) | instid1(VALU_DEP_1)
	v_lshlrev_b32_e32 v89, 20, v89
	v_or3_b32 v90, v90, v91, v89
.LBB6_1201:                             ;   in Loop: Header=BB6_393 Depth=4
	s_or_b32 exec_lo, exec_lo, s31
	s_delay_alu instid0(VALU_DEP_1) | instskip(NEXT) | instid1(VALU_DEP_1)
	v_add_f32_e32 v89, v88, v90
	v_and_b32_e32 v88, 0x7f800000, v89
	s_delay_alu instid0(VALU_DEP_1)
	v_cmp_ne_u32_e32 vcc_lo, 0x7f800000, v88
	v_mov_b32_e32 v88, 0x80
	s_and_saveexec_b32 s31, vcc_lo
	s_cbranch_execz .LBB6_1209
; %bb.1202:                             ;   in Loop: Header=BB6_393 Depth=4
	v_mov_b32_e32 v88, 0
	s_mov_b32 s34, exec_lo
	v_cmpx_ne_u32_e32 0, v89
	s_cbranch_execz .LBB6_1208
; %bb.1203:                             ;   in Loop: Header=BB6_393 Depth=4
	v_bfe_u32 v88, v89, 23, 8
	s_delay_alu instid0(VALU_DEP_1) | instskip(SKIP_1) | instid1(VALU_DEP_2)
	v_sub_nc_u32_e32 v91, 0x78, v88
	v_cmp_gt_u32_e32 vcc_lo, 0x79, v88
	v_dual_cndmask_b32 v91, 0, v91 :: v_dual_and_b32 v90, 0x7fffff, v89
	s_delay_alu instid0(VALU_DEP_1) | instskip(SKIP_2) | instid1(VALU_DEP_4)
	v_or_b32_e32 v92, 0x800000, v90
	v_cmp_eq_u32_e32 vcc_lo, 0, v88
	v_add_nc_u32_e32 v88, 0xffffff89, v88
	v_cndmask_b32_e64 v91, v91, 0x77, vcc_lo
	s_delay_alu instid0(VALU_DEP_2) | instskip(SKIP_1) | instid1(VALU_DEP_3)
	v_cndmask_b32_e64 v88, v88, 0xffffff8a, vcc_lo
	v_cndmask_b32_e32 v90, v92, v90, vcc_lo
	v_lshl_add_u32 v92, 0x100000, v91, -1
	v_lshlrev_b32_e64 v95, v91, 0x80000
	s_delay_alu instid0(VALU_DEP_3) | instskip(SKIP_1) | instid1(VALU_DEP_4)
	v_lshrrev_b32_e32 v93, v91, v90
	v_add_nc_u32_e32 v91, v91, v88
	v_and_b32_e32 v90, v92, v90
	s_delay_alu instid0(VALU_DEP_3) | instskip(NEXT) | instid1(VALU_DEP_2)
	v_bfe_u32 v94, v93, 20, 1
	v_cmp_eq_u32_e64 s13, v90, v95
	s_delay_alu instid0(VALU_DEP_2) | instskip(NEXT) | instid1(VALU_DEP_1)
	v_add_nc_u32_e32 v92, -1, v94
	v_cndmask_b32_e64 v90, 0, v92, s13
	v_lshrrev_b32_e32 v92, 23, v93
	s_mov_b32 s13, exec_lo
	s_delay_alu instid0(VALU_DEP_2) | instskip(NEXT) | instid1(VALU_DEP_2)
	v_add_nc_u32_e32 v90, v90, v93
	v_xor_b32_e32 v92, 1, v92
	s_delay_alu instid0(VALU_DEP_2) | instskip(NEXT) | instid1(VALU_DEP_1)
	v_and_b32_e32 v88, 0xfffff, v90
	v_add_nc_u32_e32 v90, v88, v93
                                        ; implicit-def: $vgpr88
	s_delay_alu instid0(VALU_DEP_3)
	v_cmpx_ne_u32_e64 v91, v92
	s_xor_b32 s13, exec_lo, s13
; %bb.1204:                             ;   in Loop: Header=BB6_393 Depth=4
	s_delay_alu instid0(VALU_DEP_2) | instskip(SKIP_2) | instid1(VALU_DEP_2)
	v_cmp_lt_u32_e32 vcc_lo, 0xffffff, v90
	v_sub_nc_u32_e32 v88, v91, v92
	v_cndmask_b32_e64 v91, 0, 1, vcc_lo
	v_add_co_ci_u32_e32 v88, vcc_lo, 0, v88, vcc_lo
	s_delay_alu instid0(VALU_DEP_2)
	v_lshrrev_b32_e32 v90, v91, v90
; %bb.1205:                             ;   in Loop: Header=BB6_393 Depth=4
	s_and_not1_saveexec_b32 s13, s13
; %bb.1206:                             ;   in Loop: Header=BB6_393 Depth=4
	s_delay_alu instid0(VALU_DEP_1)
	v_bfe_u32 v88, v90, 23, 1
; %bb.1207:                             ;   in Loop: Header=BB6_393 Depth=4
	s_or_b32 exec_lo, exec_lo, s13
	v_lshrrev_b32_e32 v90, 20, v90
	s_delay_alu instid0(VALU_DEP_2) | instskip(SKIP_2) | instid1(VALU_DEP_2)
	v_cmp_gt_i32_e32 vcc_lo, 16, v88
	v_lshrrev_b32_e32 v89, 24, v89
	v_min_i32_e32 v91, 15, v88
	v_dual_cndmask_b32 v90, 7, v90 :: v_dual_and_b32 v89, 0x80, v89
	s_delay_alu instid0(VALU_DEP_1) | instskip(SKIP_1) | instid1(VALU_DEP_2)
	v_or_b32_e32 v88, v88, v90
	v_and_b32_e32 v92, 7, v90
	v_cmp_ne_u32_e32 vcc_lo, 0, v88
	v_lshlrev_b32_e32 v91, 3, v91
	s_delay_alu instid0(VALU_DEP_1) | instskip(NEXT) | instid1(VALU_DEP_1)
	v_or3_b32 v89, v91, v89, v92
	v_cndmask_b32_e32 v88, 0, v89, vcc_lo
.LBB6_1208:                             ;   in Loop: Header=BB6_393 Depth=4
	s_or_b32 exec_lo, exec_lo, s34
.LBB6_1209:                             ;   in Loop: Header=BB6_393 Depth=4
	s_delay_alu instid0(SALU_CYCLE_1) | instskip(SKIP_3) | instid1(VALU_DEP_1)
	s_or_b32 exec_lo, exec_lo, s31
	v_lshrrev_b32_e32 v90, 24, v12
	s_mov_b32 s13, 0
	s_mov_b32 s34, exec_lo
                                        ; implicit-def: $sgpr31
	v_cmpx_lt_i16_e32 0x7f, v90
	s_xor_b32 s34, exec_lo, s34
	s_cbranch_execnz .LBB6_1823
; %bb.1210:                             ;   in Loop: Header=BB6_393 Depth=4
	s_or_saveexec_b32 s34, s34
	v_mov_b32_e32 v89, s31
	s_xor_b32 exec_lo, exec_lo, s34
	s_cbranch_execnz .LBB6_1826
.LBB6_1211:                             ;   in Loop: Header=BB6_393 Depth=4
	s_or_b32 exec_lo, exec_lo, s34
	s_and_saveexec_b32 s31, s13
	s_cbranch_execz .LBB6_1213
.LBB6_1212:                             ;   in Loop: Header=BB6_393 Depth=4
	v_bfe_u32 v89, v12, 24, 3
	s_delay_alu instid0(VALU_DEP_1) | instskip(NEXT) | instid1(VALU_DEP_1)
	v_clz_i32_u32_e32 v91, v89
	v_min_u32_e32 v91, 32, v91
	s_delay_alu instid0(VALU_DEP_1) | instskip(SKIP_1) | instid1(VALU_DEP_2)
	v_subrev_nc_u32_e32 v92, 28, v91
	v_sub_nc_u32_e32 v91, 29, v91
	v_lshlrev_b32_e32 v90, v92, v90
	v_bfe_u32 v92, v12, 27, 4
	v_and_b32_e32 v12, 0x80000000, v12
	s_delay_alu instid0(VALU_DEP_2) | instskip(NEXT) | instid1(VALU_DEP_4)
	v_cmp_eq_u32_e32 vcc_lo, 0, v92
	v_dual_cndmask_b32 v91, v92, v91 :: v_dual_and_b32 v90, 7, v90
	s_delay_alu instid0(VALU_DEP_1) | instskip(NEXT) | instid1(VALU_DEP_2)
	v_cndmask_b32_e32 v89, v89, v90, vcc_lo
	v_lshl_add_u32 v90, v91, 23, 0x3b800000
	s_delay_alu instid0(VALU_DEP_2) | instskip(NEXT) | instid1(VALU_DEP_1)
	v_lshlrev_b32_e32 v89, 20, v89
	v_or3_b32 v89, v12, v90, v89
.LBB6_1213:                             ;   in Loop: Header=BB6_393 Depth=4
	s_or_b32 exec_lo, exec_lo, s31
	v_lshrrev_b32_e32 v12, 24, v8
	s_mov_b32 s13, 0
	s_mov_b32 s34, exec_lo
                                        ; implicit-def: $sgpr31
	s_delay_alu instid0(VALU_DEP_1)
	v_cmpx_lt_i16_e32 0x7f, v12
	s_xor_b32 s34, exec_lo, s34
	s_cbranch_execnz .LBB6_1827
; %bb.1214:                             ;   in Loop: Header=BB6_393 Depth=4
	s_or_saveexec_b32 s34, s34
	v_mov_b32_e32 v90, s31
	s_xor_b32 exec_lo, exec_lo, s34
	s_cbranch_execnz .LBB6_1830
.LBB6_1215:                             ;   in Loop: Header=BB6_393 Depth=4
	s_or_b32 exec_lo, exec_lo, s34
	s_and_saveexec_b32 s31, s13
	s_cbranch_execz .LBB6_1217
.LBB6_1216:                             ;   in Loop: Header=BB6_393 Depth=4
	v_bfe_u32 v90, v8, 24, 3
	s_delay_alu instid0(VALU_DEP_1) | instskip(NEXT) | instid1(VALU_DEP_1)
	v_clz_i32_u32_e32 v91, v90
	v_min_u32_e32 v91, 32, v91
	s_delay_alu instid0(VALU_DEP_1) | instskip(SKIP_1) | instid1(VALU_DEP_2)
	v_subrev_nc_u32_e32 v92, 28, v91
	v_sub_nc_u32_e32 v91, 29, v91
	v_lshlrev_b32_e32 v12, v92, v12
	v_bfe_u32 v92, v8, 27, 4
	v_and_b32_e32 v8, 0x80000000, v8
	s_delay_alu instid0(VALU_DEP_2) | instskip(NEXT) | instid1(VALU_DEP_4)
	v_cmp_eq_u32_e32 vcc_lo, 0, v92
	v_dual_cndmask_b32 v91, v92, v91 :: v_dual_and_b32 v12, 7, v12
	s_delay_alu instid0(VALU_DEP_1) | instskip(NEXT) | instid1(VALU_DEP_2)
	v_cndmask_b32_e32 v12, v90, v12, vcc_lo
	v_lshl_add_u32 v90, v91, 23, 0x3b800000
	s_delay_alu instid0(VALU_DEP_2) | instskip(NEXT) | instid1(VALU_DEP_1)
	v_lshlrev_b32_e32 v12, 20, v12
	v_or3_b32 v90, v8, v90, v12
.LBB6_1217:                             ;   in Loop: Header=BB6_393 Depth=4
	s_or_b32 exec_lo, exec_lo, s31
	s_delay_alu instid0(VALU_DEP_1) | instskip(NEXT) | instid1(VALU_DEP_1)
	v_add_f32_e32 v12, v89, v90
	v_and_b32_e32 v8, 0x7f800000, v12
	s_delay_alu instid0(VALU_DEP_1)
	v_cmp_ne_u32_e32 vcc_lo, 0x7f800000, v8
	v_mov_b32_e32 v8, 0x80
	s_and_saveexec_b32 s31, vcc_lo
	s_cbranch_execz .LBB6_1225
; %bb.1218:                             ;   in Loop: Header=BB6_393 Depth=4
	v_mov_b32_e32 v8, 0
	s_mov_b32 s34, exec_lo
	v_cmpx_ne_u32_e32 0, v12
	s_cbranch_execz .LBB6_1224
; %bb.1219:                             ;   in Loop: Header=BB6_393 Depth=4
	v_bfe_u32 v8, v12, 23, 8
	s_delay_alu instid0(VALU_DEP_1) | instskip(SKIP_1) | instid1(VALU_DEP_2)
	v_sub_nc_u32_e32 v90, 0x78, v8
	v_cmp_gt_u32_e32 vcc_lo, 0x79, v8
	v_dual_cndmask_b32 v90, 0, v90 :: v_dual_and_b32 v89, 0x7fffff, v12
	s_delay_alu instid0(VALU_DEP_1) | instskip(SKIP_2) | instid1(VALU_DEP_4)
	v_or_b32_e32 v91, 0x800000, v89
	v_cmp_eq_u32_e32 vcc_lo, 0, v8
	v_add_nc_u32_e32 v8, 0xffffff89, v8
	v_cndmask_b32_e64 v90, v90, 0x77, vcc_lo
	s_delay_alu instid0(VALU_DEP_4) | instskip(NEXT) | instid1(VALU_DEP_3)
	v_cndmask_b32_e32 v89, v91, v89, vcc_lo
	v_cndmask_b32_e64 v8, v8, 0xffffff8a, vcc_lo
	s_delay_alu instid0(VALU_DEP_3) | instskip(NEXT) | instid1(VALU_DEP_3)
	v_lshl_add_u32 v91, 0x100000, v90, -1
	v_lshrrev_b32_e32 v92, v90, v89
	v_lshlrev_b32_e64 v94, v90, 0x80000
	s_delay_alu instid0(VALU_DEP_4) | instskip(NEXT) | instid1(VALU_DEP_4)
	v_add_nc_u32_e32 v90, v90, v8
	v_and_b32_e32 v89, v91, v89
	s_delay_alu instid0(VALU_DEP_4) | instskip(NEXT) | instid1(VALU_DEP_2)
	v_bfe_u32 v93, v92, 20, 1
	v_cmp_eq_u32_e64 s13, v89, v94
	s_delay_alu instid0(VALU_DEP_2) | instskip(NEXT) | instid1(VALU_DEP_1)
	v_add_nc_u32_e32 v91, -1, v93
	v_cndmask_b32_e64 v89, 0, v91, s13
	v_lshrrev_b32_e32 v91, 23, v92
	s_mov_b32 s13, exec_lo
	s_delay_alu instid0(VALU_DEP_2) | instskip(NEXT) | instid1(VALU_DEP_2)
	v_add_nc_u32_e32 v89, v89, v92
	v_xor_b32_e32 v91, 1, v91
	s_delay_alu instid0(VALU_DEP_2) | instskip(NEXT) | instid1(VALU_DEP_1)
	v_and_b32_e32 v8, 0xfffff, v89
	v_add_nc_u32_e32 v89, v8, v92
                                        ; implicit-def: $vgpr8
	s_delay_alu instid0(VALU_DEP_3)
	v_cmpx_ne_u32_e64 v90, v91
	s_xor_b32 s13, exec_lo, s13
; %bb.1220:                             ;   in Loop: Header=BB6_393 Depth=4
	s_delay_alu instid0(VALU_DEP_2) | instskip(SKIP_2) | instid1(VALU_DEP_2)
	v_cmp_lt_u32_e32 vcc_lo, 0xffffff, v89
	v_sub_nc_u32_e32 v8, v90, v91
	v_cndmask_b32_e64 v90, 0, 1, vcc_lo
	v_add_co_ci_u32_e32 v8, vcc_lo, 0, v8, vcc_lo
	s_delay_alu instid0(VALU_DEP_2)
	v_lshrrev_b32_e32 v89, v90, v89
; %bb.1221:                             ;   in Loop: Header=BB6_393 Depth=4
	s_and_not1_saveexec_b32 s13, s13
; %bb.1222:                             ;   in Loop: Header=BB6_393 Depth=4
	s_delay_alu instid0(VALU_DEP_1)
	v_bfe_u32 v8, v89, 23, 1
; %bb.1223:                             ;   in Loop: Header=BB6_393 Depth=4
	s_or_b32 exec_lo, exec_lo, s13
	v_lshrrev_b32_e32 v89, 20, v89
	s_delay_alu instid0(VALU_DEP_2) | instskip(SKIP_2) | instid1(VALU_DEP_2)
	v_cmp_gt_i32_e32 vcc_lo, 16, v8
	v_lshrrev_b32_e32 v12, 24, v12
	v_min_i32_e32 v90, 15, v8
	v_dual_cndmask_b32 v89, 7, v89 :: v_dual_and_b32 v12, 0x80, v12
	s_delay_alu instid0(VALU_DEP_2) | instskip(NEXT) | instid1(VALU_DEP_2)
	v_lshlrev_b32_e32 v90, 3, v90
	v_or_b32_e32 v8, v8, v89
	s_delay_alu instid0(VALU_DEP_1) | instskip(SKIP_1) | instid1(VALU_DEP_1)
	v_cmp_ne_u32_e32 vcc_lo, 0, v8
	v_and_b32_e32 v91, 7, v89
	v_or3_b32 v12, v90, v12, v91
	s_delay_alu instid0(VALU_DEP_1)
	v_cndmask_b32_e32 v8, 0, v12, vcc_lo
.LBB6_1224:                             ;   in Loop: Header=BB6_393 Depth=4
	s_or_b32 exec_lo, exec_lo, s34
.LBB6_1225:                             ;   in Loop: Header=BB6_393 Depth=4
	s_delay_alu instid0(SALU_CYCLE_1) | instskip(SKIP_3) | instid1(VALU_DEP_1)
	s_or_b32 exec_lo, exec_lo, s31
	v_and_b32_e32 v89, 0xff, v13
	s_mov_b32 s13, 0
	s_mov_b32 s34, exec_lo
                                        ; implicit-def: $sgpr31
	v_cmpx_lt_i16_e32 0x7f, v89
	s_xor_b32 s34, exec_lo, s34
	s_cbranch_execnz .LBB6_1831
; %bb.1226:                             ;   in Loop: Header=BB6_393 Depth=4
	s_or_saveexec_b32 s34, s34
	v_mov_b32_e32 v12, s31
	s_xor_b32 exec_lo, exec_lo, s34
	s_cbranch_execnz .LBB6_1834
.LBB6_1227:                             ;   in Loop: Header=BB6_393 Depth=4
	s_or_b32 exec_lo, exec_lo, s34
	s_and_saveexec_b32 s31, s13
	s_cbranch_execz .LBB6_1229
.LBB6_1228:                             ;   in Loop: Header=BB6_393 Depth=4
	v_and_b32_e32 v12, 7, v13
	v_bfe_u32 v91, v13, 3, 4
	v_lshlrev_b32_e32 v92, 24, v13
	s_delay_alu instid0(VALU_DEP_3) | instskip(NEXT) | instid1(VALU_DEP_3)
	v_clz_i32_u32_e32 v89, v12
	v_cmp_eq_u32_e32 vcc_lo, 0, v91
	s_delay_alu instid0(VALU_DEP_2) | instskip(NEXT) | instid1(VALU_DEP_1)
	v_min_u32_e32 v89, 32, v89
	v_subrev_nc_u32_e32 v90, 28, v89
	v_sub_nc_u32_e32 v89, 29, v89
	s_delay_alu instid0(VALU_DEP_2) | instskip(NEXT) | instid1(VALU_DEP_1)
	v_lshlrev_b32_e32 v90, v90, v13
	v_dual_cndmask_b32 v89, v91, v89 :: v_dual_and_b32 v90, 7, v90
	s_delay_alu instid0(VALU_DEP_1) | instskip(NEXT) | instid1(VALU_DEP_2)
	v_lshl_add_u32 v89, v89, 23, 0x3b800000
	v_cndmask_b32_e32 v12, v12, v90, vcc_lo
	v_and_b32_e32 v90, 0x80000000, v92
	s_delay_alu instid0(VALU_DEP_2) | instskip(NEXT) | instid1(VALU_DEP_1)
	v_lshlrev_b32_e32 v12, 20, v12
	v_or3_b32 v12, v90, v89, v12
.LBB6_1229:                             ;   in Loop: Header=BB6_393 Depth=4
	s_or_b32 exec_lo, exec_lo, s31
	v_and_b32_e32 v90, 0xff, v9
	s_mov_b32 s13, 0
	s_mov_b32 s34, exec_lo
                                        ; implicit-def: $sgpr31
	s_delay_alu instid0(VALU_DEP_1)
	v_cmpx_lt_i16_e32 0x7f, v90
	s_xor_b32 s34, exec_lo, s34
	s_cbranch_execnz .LBB6_1835
; %bb.1230:                             ;   in Loop: Header=BB6_393 Depth=4
	s_or_saveexec_b32 s34, s34
	v_mov_b32_e32 v89, s31
	s_xor_b32 exec_lo, exec_lo, s34
	s_cbranch_execnz .LBB6_1838
.LBB6_1231:                             ;   in Loop: Header=BB6_393 Depth=4
	s_or_b32 exec_lo, exec_lo, s34
	s_and_saveexec_b32 s31, s13
	s_cbranch_execz .LBB6_1233
.LBB6_1232:                             ;   in Loop: Header=BB6_393 Depth=4
	v_bfe_u32 v92, v9, 3, 4
	v_lshlrev_b32_e32 v93, 24, v9
	s_delay_alu instid0(VALU_DEP_2) | instskip(SKIP_1) | instid1(VALU_DEP_1)
	v_cmp_eq_u32_e32 vcc_lo, 0, v92
	v_and_b32_e32 v89, 7, v9
	v_clz_i32_u32_e32 v90, v89
	s_delay_alu instid0(VALU_DEP_1) | instskip(NEXT) | instid1(VALU_DEP_1)
	v_min_u32_e32 v90, 32, v90
	v_subrev_nc_u32_e32 v91, 28, v90
	v_sub_nc_u32_e32 v90, 29, v90
	s_delay_alu instid0(VALU_DEP_1) | instskip(NEXT) | instid1(VALU_DEP_1)
	v_dual_cndmask_b32 v90, v92, v90 :: v_dual_lshlrev_b32 v91, v91, v9
	v_and_b32_e32 v91, 7, v91
	s_delay_alu instid0(VALU_DEP_2) | instskip(NEXT) | instid1(VALU_DEP_2)
	v_lshl_add_u32 v90, v90, 23, 0x3b800000
	v_cndmask_b32_e32 v89, v89, v91, vcc_lo
	v_and_b32_e32 v91, 0x80000000, v93
	s_delay_alu instid0(VALU_DEP_2) | instskip(NEXT) | instid1(VALU_DEP_1)
	v_lshlrev_b32_e32 v89, 20, v89
	v_or3_b32 v89, v91, v90, v89
.LBB6_1233:                             ;   in Loop: Header=BB6_393 Depth=4
	s_or_b32 exec_lo, exec_lo, s31
	s_delay_alu instid0(VALU_DEP_1) | instskip(NEXT) | instid1(VALU_DEP_1)
	v_add_f32_e32 v89, v12, v89
	v_and_b32_e32 v12, 0x7f800000, v89
	s_delay_alu instid0(VALU_DEP_1)
	v_cmp_ne_u32_e32 vcc_lo, 0x7f800000, v12
	v_mov_b32_e32 v12, 0x80
	s_and_saveexec_b32 s31, vcc_lo
	s_cbranch_execz .LBB6_1241
; %bb.1234:                             ;   in Loop: Header=BB6_393 Depth=4
	v_mov_b32_e32 v12, 0
	s_mov_b32 s34, exec_lo
	v_cmpx_ne_u32_e32 0, v89
	s_cbranch_execz .LBB6_1240
; %bb.1235:                             ;   in Loop: Header=BB6_393 Depth=4
	v_bfe_u32 v12, v89, 23, 8
	s_delay_alu instid0(VALU_DEP_1) | instskip(SKIP_1) | instid1(VALU_DEP_2)
	v_sub_nc_u32_e32 v91, 0x78, v12
	v_cmp_gt_u32_e32 vcc_lo, 0x79, v12
	v_dual_cndmask_b32 v91, 0, v91 :: v_dual_and_b32 v90, 0x7fffff, v89
	s_delay_alu instid0(VALU_DEP_1) | instskip(SKIP_2) | instid1(VALU_DEP_4)
	v_or_b32_e32 v92, 0x800000, v90
	v_cmp_eq_u32_e32 vcc_lo, 0, v12
	v_add_nc_u32_e32 v12, 0xffffff89, v12
	v_cndmask_b32_e64 v91, v91, 0x77, vcc_lo
	s_delay_alu instid0(VALU_DEP_2) | instskip(SKIP_1) | instid1(VALU_DEP_3)
	v_cndmask_b32_e64 v12, v12, 0xffffff8a, vcc_lo
	v_cndmask_b32_e32 v90, v92, v90, vcc_lo
	v_lshl_add_u32 v92, 0x100000, v91, -1
	v_lshlrev_b32_e64 v95, v91, 0x80000
	s_delay_alu instid0(VALU_DEP_3) | instskip(SKIP_1) | instid1(VALU_DEP_4)
	v_lshrrev_b32_e32 v93, v91, v90
	v_add_nc_u32_e32 v91, v91, v12
	v_and_b32_e32 v90, v92, v90
	s_delay_alu instid0(VALU_DEP_3) | instskip(NEXT) | instid1(VALU_DEP_2)
	v_bfe_u32 v94, v93, 20, 1
	v_cmp_eq_u32_e64 s13, v90, v95
	s_delay_alu instid0(VALU_DEP_2) | instskip(NEXT) | instid1(VALU_DEP_1)
	v_add_nc_u32_e32 v92, -1, v94
	v_cndmask_b32_e64 v90, 0, v92, s13
	v_lshrrev_b32_e32 v92, 23, v93
	s_mov_b32 s13, exec_lo
	s_delay_alu instid0(VALU_DEP_2) | instskip(NEXT) | instid1(VALU_DEP_2)
	v_add_nc_u32_e32 v90, v90, v93
	v_xor_b32_e32 v92, 1, v92
	s_delay_alu instid0(VALU_DEP_2) | instskip(NEXT) | instid1(VALU_DEP_1)
	v_and_b32_e32 v12, 0xfffff, v90
	v_add_nc_u32_e32 v90, v12, v93
                                        ; implicit-def: $vgpr12
	s_delay_alu instid0(VALU_DEP_3)
	v_cmpx_ne_u32_e64 v91, v92
	s_xor_b32 s13, exec_lo, s13
; %bb.1236:                             ;   in Loop: Header=BB6_393 Depth=4
	s_delay_alu instid0(VALU_DEP_2) | instskip(SKIP_2) | instid1(VALU_DEP_2)
	v_cmp_lt_u32_e32 vcc_lo, 0xffffff, v90
	v_sub_nc_u32_e32 v12, v91, v92
	v_cndmask_b32_e64 v91, 0, 1, vcc_lo
	v_add_co_ci_u32_e32 v12, vcc_lo, 0, v12, vcc_lo
	s_delay_alu instid0(VALU_DEP_2)
	v_lshrrev_b32_e32 v90, v91, v90
; %bb.1237:                             ;   in Loop: Header=BB6_393 Depth=4
	s_and_not1_saveexec_b32 s13, s13
; %bb.1238:                             ;   in Loop: Header=BB6_393 Depth=4
	s_delay_alu instid0(VALU_DEP_1)
	v_bfe_u32 v12, v90, 23, 1
; %bb.1239:                             ;   in Loop: Header=BB6_393 Depth=4
	s_or_b32 exec_lo, exec_lo, s13
	v_lshrrev_b32_e32 v90, 20, v90
	s_delay_alu instid0(VALU_DEP_2) | instskip(SKIP_2) | instid1(VALU_DEP_2)
	v_cmp_gt_i32_e32 vcc_lo, 16, v12
	v_lshrrev_b32_e32 v89, 24, v89
	v_min_i32_e32 v91, 15, v12
	v_dual_cndmask_b32 v90, 7, v90 :: v_dual_and_b32 v89, 0x80, v89
	s_delay_alu instid0(VALU_DEP_1) | instskip(SKIP_1) | instid1(VALU_DEP_2)
	v_or_b32_e32 v12, v12, v90
	v_and_b32_e32 v92, 7, v90
	v_cmp_ne_u32_e32 vcc_lo, 0, v12
	v_lshlrev_b32_e32 v91, 3, v91
	s_delay_alu instid0(VALU_DEP_1) | instskip(NEXT) | instid1(VALU_DEP_1)
	v_or3_b32 v89, v91, v89, v92
	v_cndmask_b32_e32 v12, 0, v89, vcc_lo
.LBB6_1240:                             ;   in Loop: Header=BB6_393 Depth=4
	s_or_b32 exec_lo, exec_lo, s34
.LBB6_1241:                             ;   in Loop: Header=BB6_393 Depth=4
	s_delay_alu instid0(SALU_CYCLE_1) | instskip(SKIP_3) | instid1(VALU_DEP_1)
	s_or_b32 exec_lo, exec_lo, s31
	v_lshrrev_b16 v90, 8, v13
	s_mov_b32 s13, 0
	s_mov_b32 s34, exec_lo
                                        ; implicit-def: $sgpr31
	v_cmpx_lt_i16_e32 0x7f, v90
	s_xor_b32 s34, exec_lo, s34
	s_cbranch_execnz .LBB6_1839
; %bb.1242:                             ;   in Loop: Header=BB6_393 Depth=4
	s_or_saveexec_b32 s34, s34
	v_mov_b32_e32 v89, s31
	s_xor_b32 exec_lo, exec_lo, s34
	s_cbranch_execnz .LBB6_1842
.LBB6_1243:                             ;   in Loop: Header=BB6_393 Depth=4
	s_or_b32 exec_lo, exec_lo, s34
	s_and_saveexec_b32 s31, s13
	s_cbranch_execz .LBB6_1245
.LBB6_1244:                             ;   in Loop: Header=BB6_393 Depth=4
	v_and_b32_e32 v89, 0xffff, v90
	s_delay_alu instid0(VALU_DEP_1) | instskip(NEXT) | instid1(VALU_DEP_1)
	v_and_b32_e32 v91, 7, v89
	v_clz_i32_u32_e32 v92, v91
	s_delay_alu instid0(VALU_DEP_1) | instskip(NEXT) | instid1(VALU_DEP_1)
	v_min_u32_e32 v92, 32, v92
	v_subrev_nc_u32_e32 v93, 28, v92
	v_sub_nc_u32_e32 v92, 29, v92
	s_delay_alu instid0(VALU_DEP_2) | instskip(SKIP_1) | instid1(VALU_DEP_2)
	v_lshlrev_b32_e32 v93, v93, v89
	v_bfe_u32 v89, v89, 3, 4
	v_and_b32_e32 v93, 7, v93
	s_delay_alu instid0(VALU_DEP_2) | instskip(SKIP_1) | instid1(VALU_DEP_1)
	v_cmp_eq_u32_e32 vcc_lo, 0, v89
	v_dual_cndmask_b32 v89, v89, v92 :: v_dual_lshlrev_b32 v90, 24, v90
	v_dual_cndmask_b32 v91, v91, v93 :: v_dual_and_b32 v90, 0x80000000, v90
	s_delay_alu instid0(VALU_DEP_2) | instskip(NEXT) | instid1(VALU_DEP_2)
	v_lshl_add_u32 v89, v89, 23, 0x3b800000
	v_lshlrev_b32_e32 v91, 20, v91
	s_delay_alu instid0(VALU_DEP_1)
	v_or3_b32 v89, v90, v89, v91
.LBB6_1245:                             ;   in Loop: Header=BB6_393 Depth=4
	s_or_b32 exec_lo, exec_lo, s31
	v_lshrrev_b16 v90, 8, v9
	s_mov_b32 s13, 0
	s_mov_b32 s34, exec_lo
                                        ; implicit-def: $sgpr31
	s_delay_alu instid0(VALU_DEP_1)
	v_cmpx_lt_i16_e32 0x7f, v90
	s_xor_b32 s34, exec_lo, s34
	s_cbranch_execnz .LBB6_1843
; %bb.1246:                             ;   in Loop: Header=BB6_393 Depth=4
	s_or_saveexec_b32 s34, s34
	v_mov_b32_e32 v91, s31
	s_xor_b32 exec_lo, exec_lo, s34
	s_cbranch_execnz .LBB6_1846
.LBB6_1247:                             ;   in Loop: Header=BB6_393 Depth=4
	s_or_b32 exec_lo, exec_lo, s34
	s_and_saveexec_b32 s31, s13
	s_cbranch_execz .LBB6_1249
.LBB6_1248:                             ;   in Loop: Header=BB6_393 Depth=4
	v_and_b32_e32 v91, 0xffff, v90
	v_lshlrev_b32_e32 v90, 24, v90
	s_delay_alu instid0(VALU_DEP_2) | instskip(NEXT) | instid1(VALU_DEP_2)
	v_and_b32_e32 v92, 7, v91
	v_and_b32_e32 v90, 0x80000000, v90
	s_delay_alu instid0(VALU_DEP_2) | instskip(NEXT) | instid1(VALU_DEP_1)
	v_clz_i32_u32_e32 v93, v92
	v_min_u32_e32 v93, 32, v93
	s_delay_alu instid0(VALU_DEP_1) | instskip(SKIP_1) | instid1(VALU_DEP_2)
	v_subrev_nc_u32_e32 v94, 28, v93
	v_sub_nc_u32_e32 v93, 29, v93
	v_lshlrev_b32_e32 v94, v94, v91
	v_bfe_u32 v91, v91, 3, 4
	s_delay_alu instid0(VALU_DEP_2) | instskip(NEXT) | instid1(VALU_DEP_2)
	v_and_b32_e32 v94, 7, v94
	v_cmp_eq_u32_e32 vcc_lo, 0, v91
	s_delay_alu instid0(VALU_DEP_2) | instskip(NEXT) | instid1(VALU_DEP_1)
	v_dual_cndmask_b32 v91, v91, v93 :: v_dual_cndmask_b32 v92, v92, v94
	v_lshl_add_u32 v91, v91, 23, 0x3b800000
	s_delay_alu instid0(VALU_DEP_2) | instskip(NEXT) | instid1(VALU_DEP_1)
	v_lshlrev_b32_e32 v92, 20, v92
	v_or3_b32 v91, v90, v91, v92
.LBB6_1249:                             ;   in Loop: Header=BB6_393 Depth=4
	s_or_b32 exec_lo, exec_lo, s31
	s_delay_alu instid0(VALU_DEP_1) | instskip(NEXT) | instid1(VALU_DEP_1)
	v_add_f32_e32 v90, v89, v91
	v_and_b32_e32 v89, 0x7f800000, v90
	s_delay_alu instid0(VALU_DEP_1)
	v_cmp_ne_u32_e32 vcc_lo, 0x7f800000, v89
	v_mov_b32_e32 v89, 0x8000
	s_and_saveexec_b32 s31, vcc_lo
	s_cbranch_execz .LBB6_1257
; %bb.1250:                             ;   in Loop: Header=BB6_393 Depth=4
	v_mov_b32_e32 v89, 0
	s_mov_b32 s34, exec_lo
	v_cmpx_ne_u32_e32 0, v90
	s_cbranch_execz .LBB6_1256
; %bb.1251:                             ;   in Loop: Header=BB6_393 Depth=4
	v_bfe_u32 v89, v90, 23, 8
	s_delay_alu instid0(VALU_DEP_1) | instskip(SKIP_1) | instid1(VALU_DEP_2)
	v_sub_nc_u32_e32 v92, 0x78, v89
	v_cmp_gt_u32_e32 vcc_lo, 0x79, v89
	v_dual_cndmask_b32 v92, 0, v92 :: v_dual_and_b32 v91, 0x7fffff, v90
	s_delay_alu instid0(VALU_DEP_1) | instskip(SKIP_2) | instid1(VALU_DEP_4)
	v_or_b32_e32 v93, 0x800000, v91
	v_cmp_eq_u32_e32 vcc_lo, 0, v89
	v_add_nc_u32_e32 v89, 0xffffff89, v89
	v_cndmask_b32_e64 v92, v92, 0x77, vcc_lo
	s_delay_alu instid0(VALU_DEP_2) | instskip(SKIP_1) | instid1(VALU_DEP_3)
	v_cndmask_b32_e64 v89, v89, 0xffffff8a, vcc_lo
	v_cndmask_b32_e32 v91, v93, v91, vcc_lo
	v_lshl_add_u32 v93, 0x100000, v92, -1
	v_lshlrev_b32_e64 v104, v92, 0x80000
	s_delay_alu instid0(VALU_DEP_3) | instskip(SKIP_1) | instid1(VALU_DEP_4)
	v_lshrrev_b32_e32 v94, v92, v91
	v_add_nc_u32_e32 v92, v92, v89
	v_and_b32_e32 v91, v93, v91
	s_delay_alu instid0(VALU_DEP_3) | instskip(NEXT) | instid1(VALU_DEP_2)
	v_bfe_u32 v95, v94, 20, 1
	v_cmp_eq_u32_e64 s13, v91, v104
	s_delay_alu instid0(VALU_DEP_2) | instskip(NEXT) | instid1(VALU_DEP_1)
	v_add_nc_u32_e32 v93, -1, v95
	v_cndmask_b32_e64 v91, 0, v93, s13
	v_lshrrev_b32_e32 v93, 23, v94
	s_mov_b32 s13, exec_lo
	s_delay_alu instid0(VALU_DEP_2) | instskip(NEXT) | instid1(VALU_DEP_2)
	v_add_nc_u32_e32 v91, v91, v94
	v_xor_b32_e32 v93, 1, v93
	s_delay_alu instid0(VALU_DEP_2) | instskip(NEXT) | instid1(VALU_DEP_1)
	v_and_b32_e32 v89, 0xfffff, v91
	v_add_nc_u32_e32 v91, v89, v94
                                        ; implicit-def: $vgpr89
	s_delay_alu instid0(VALU_DEP_3)
	v_cmpx_ne_u32_e64 v92, v93
	s_xor_b32 s13, exec_lo, s13
; %bb.1252:                             ;   in Loop: Header=BB6_393 Depth=4
	s_delay_alu instid0(VALU_DEP_2) | instskip(SKIP_2) | instid1(VALU_DEP_2)
	v_cmp_lt_u32_e32 vcc_lo, 0xffffff, v91
	v_sub_nc_u32_e32 v89, v92, v93
	v_cndmask_b32_e64 v92, 0, 1, vcc_lo
	v_add_co_ci_u32_e32 v89, vcc_lo, 0, v89, vcc_lo
	s_delay_alu instid0(VALU_DEP_2)
	v_lshrrev_b32_e32 v91, v92, v91
; %bb.1253:                             ;   in Loop: Header=BB6_393 Depth=4
	s_and_not1_saveexec_b32 s13, s13
; %bb.1254:                             ;   in Loop: Header=BB6_393 Depth=4
	s_delay_alu instid0(VALU_DEP_1)
	v_bfe_u32 v89, v91, 23, 1
; %bb.1255:                             ;   in Loop: Header=BB6_393 Depth=4
	s_or_b32 exec_lo, exec_lo, s13
	v_lshrrev_b32_e32 v91, 20, v91
	s_delay_alu instid0(VALU_DEP_2) | instskip(SKIP_2) | instid1(VALU_DEP_2)
	v_cmp_gt_i32_e32 vcc_lo, 16, v89
	v_min_i32_e32 v92, 15, v89
	v_lshrrev_b32_e32 v90, 24, v90
	v_dual_cndmask_b32 v91, 7, v91 :: v_dual_lshlrev_b32 v92, 3, v92
	s_delay_alu instid0(VALU_DEP_2) | instskip(NEXT) | instid1(VALU_DEP_2)
	v_and_b32_e32 v90, 0x80, v90
	v_or_b32_e32 v89, v89, v91
	v_and_b32_e32 v93, 7, v91
	s_delay_alu instid0(VALU_DEP_2) | instskip(SKIP_1) | instid1(VALU_DEP_1)
	v_cmp_ne_u32_e32 vcc_lo, 0, v89
	v_and_b32_e32 v92, 0xf8, v92
	v_or3_b32 v90, v90, v92, v93
	s_delay_alu instid0(VALU_DEP_1) | instskip(NEXT) | instid1(VALU_DEP_1)
	v_lshlrev_b32_e32 v90, 8, v90
	v_cndmask_b32_e32 v89, 0, v90, vcc_lo
.LBB6_1256:                             ;   in Loop: Header=BB6_393 Depth=4
	s_or_b32 exec_lo, exec_lo, s34
.LBB6_1257:                             ;   in Loop: Header=BB6_393 Depth=4
	s_delay_alu instid0(SALU_CYCLE_1) | instskip(SKIP_3) | instid1(VALU_DEP_1)
	s_or_b32 exec_lo, exec_lo, s31
	v_lshrrev_b32_e32 v91, 16, v13
	s_mov_b32 s13, 0
	s_mov_b32 s34, exec_lo
                                        ; implicit-def: $sgpr31
	v_and_b32_e32 v92, 0xff, v91
	s_delay_alu instid0(VALU_DEP_1)
	v_cmpx_lt_i16_e32 0x7f, v92
	s_xor_b32 s34, exec_lo, s34
	s_cbranch_execnz .LBB6_1847
; %bb.1258:                             ;   in Loop: Header=BB6_393 Depth=4
	s_or_saveexec_b32 s34, s34
	v_mov_b32_e32 v90, s31
	s_xor_b32 exec_lo, exec_lo, s34
	s_cbranch_execnz .LBB6_1850
.LBB6_1259:                             ;   in Loop: Header=BB6_393 Depth=4
	s_or_b32 exec_lo, exec_lo, s34
	s_and_saveexec_b32 s31, s13
	s_cbranch_execz .LBB6_1261
.LBB6_1260:                             ;   in Loop: Header=BB6_393 Depth=4
	v_bfe_u32 v90, v13, 16, 3
	v_lshlrev_b32_e32 v94, 8, v13
	s_delay_alu instid0(VALU_DEP_2) | instskip(NEXT) | instid1(VALU_DEP_1)
	v_clz_i32_u32_e32 v92, v90
	v_min_u32_e32 v92, 32, v92
	s_delay_alu instid0(VALU_DEP_1) | instskip(SKIP_1) | instid1(VALU_DEP_2)
	v_subrev_nc_u32_e32 v93, 28, v92
	v_sub_nc_u32_e32 v92, 29, v92
	v_lshlrev_b32_e32 v91, v93, v91
	v_bfe_u32 v93, v13, 19, 4
	s_delay_alu instid0(VALU_DEP_1) | instskip(NEXT) | instid1(VALU_DEP_3)
	v_cmp_eq_u32_e32 vcc_lo, 0, v93
	v_dual_cndmask_b32 v92, v93, v92 :: v_dual_and_b32 v91, 7, v91
	s_delay_alu instid0(VALU_DEP_1) | instskip(NEXT) | instid1(VALU_DEP_2)
	v_dual_cndmask_b32 v90, v90, v91 :: v_dual_and_b32 v91, 0x80000000, v94
	v_lshl_add_u32 v92, v92, 23, 0x3b800000
	s_delay_alu instid0(VALU_DEP_2) | instskip(NEXT) | instid1(VALU_DEP_1)
	v_lshlrev_b32_e32 v90, 20, v90
	v_or3_b32 v90, v91, v92, v90
.LBB6_1261:                             ;   in Loop: Header=BB6_393 Depth=4
	s_or_b32 exec_lo, exec_lo, s31
	v_lshrrev_b32_e32 v91, 16, v9
	s_mov_b32 s13, 0
	s_mov_b32 s34, exec_lo
                                        ; implicit-def: $sgpr31
	s_delay_alu instid0(VALU_DEP_1) | instskip(NEXT) | instid1(VALU_DEP_1)
	v_and_b32_e32 v93, 0xff, v91
	v_cmpx_lt_i16_e32 0x7f, v93
	s_xor_b32 s34, exec_lo, s34
	s_cbranch_execnz .LBB6_1851
; %bb.1262:                             ;   in Loop: Header=BB6_393 Depth=4
	s_or_saveexec_b32 s34, s34
	v_mov_b32_e32 v92, s31
	s_xor_b32 exec_lo, exec_lo, s34
	s_cbranch_execnz .LBB6_1854
.LBB6_1263:                             ;   in Loop: Header=BB6_393 Depth=4
	s_or_b32 exec_lo, exec_lo, s34
	s_and_saveexec_b32 s31, s13
	s_cbranch_execz .LBB6_1265
.LBB6_1264:                             ;   in Loop: Header=BB6_393 Depth=4
	v_bfe_u32 v92, v9, 16, 3
	v_lshlrev_b32_e32 v95, 8, v9
	s_delay_alu instid0(VALU_DEP_2) | instskip(NEXT) | instid1(VALU_DEP_1)
	v_clz_i32_u32_e32 v93, v92
	v_min_u32_e32 v93, 32, v93
	s_delay_alu instid0(VALU_DEP_1) | instskip(SKIP_1) | instid1(VALU_DEP_2)
	v_subrev_nc_u32_e32 v94, 28, v93
	v_sub_nc_u32_e32 v93, 29, v93
	v_lshlrev_b32_e32 v91, v94, v91
	v_bfe_u32 v94, v9, 19, 4
	s_delay_alu instid0(VALU_DEP_2) | instskip(NEXT) | instid1(VALU_DEP_2)
	v_and_b32_e32 v91, 7, v91
	v_cmp_eq_u32_e32 vcc_lo, 0, v94
	v_cndmask_b32_e32 v93, v94, v93, vcc_lo
	s_delay_alu instid0(VALU_DEP_3) | instskip(SKIP_1) | instid1(VALU_DEP_3)
	v_cndmask_b32_e32 v91, v92, v91, vcc_lo
	v_and_b32_e32 v92, 0x80000000, v95
	v_lshl_add_u32 v93, v93, 23, 0x3b800000
	s_delay_alu instid0(VALU_DEP_3) | instskip(NEXT) | instid1(VALU_DEP_1)
	v_lshlrev_b32_e32 v91, 20, v91
	v_or3_b32 v92, v92, v93, v91
.LBB6_1265:                             ;   in Loop: Header=BB6_393 Depth=4
	s_or_b32 exec_lo, exec_lo, s31
	s_delay_alu instid0(VALU_DEP_1) | instskip(NEXT) | instid1(VALU_DEP_1)
	v_add_f32_e32 v91, v90, v92
	v_and_b32_e32 v90, 0x7f800000, v91
	s_delay_alu instid0(VALU_DEP_1)
	v_cmp_ne_u32_e32 vcc_lo, 0x7f800000, v90
	v_mov_b32_e32 v90, 0x80
	s_and_saveexec_b32 s31, vcc_lo
	s_cbranch_execz .LBB6_1273
; %bb.1266:                             ;   in Loop: Header=BB6_393 Depth=4
	v_mov_b32_e32 v90, 0
	s_mov_b32 s34, exec_lo
	v_cmpx_ne_u32_e32 0, v91
	s_cbranch_execz .LBB6_1272
; %bb.1267:                             ;   in Loop: Header=BB6_393 Depth=4
	v_bfe_u32 v90, v91, 23, 8
	s_delay_alu instid0(VALU_DEP_1) | instskip(SKIP_1) | instid1(VALU_DEP_2)
	v_sub_nc_u32_e32 v93, 0x78, v90
	v_cmp_gt_u32_e32 vcc_lo, 0x79, v90
	v_dual_cndmask_b32 v93, 0, v93 :: v_dual_and_b32 v92, 0x7fffff, v91
	s_delay_alu instid0(VALU_DEP_1) | instskip(SKIP_2) | instid1(VALU_DEP_4)
	v_or_b32_e32 v94, 0x800000, v92
	v_cmp_eq_u32_e32 vcc_lo, 0, v90
	v_add_nc_u32_e32 v90, 0xffffff89, v90
	v_cndmask_b32_e64 v93, v93, 0x77, vcc_lo
	s_delay_alu instid0(VALU_DEP_2) | instskip(SKIP_1) | instid1(VALU_DEP_3)
	v_cndmask_b32_e64 v90, v90, 0xffffff8a, vcc_lo
	v_cndmask_b32_e32 v92, v94, v92, vcc_lo
	v_lshl_add_u32 v94, 0x100000, v93, -1
	v_lshlrev_b32_e64 v105, v93, 0x80000
	s_delay_alu instid0(VALU_DEP_3) | instskip(SKIP_1) | instid1(VALU_DEP_4)
	v_lshrrev_b32_e32 v95, v93, v92
	v_add_nc_u32_e32 v93, v93, v90
	v_and_b32_e32 v92, v94, v92
	s_delay_alu instid0(VALU_DEP_3) | instskip(NEXT) | instid1(VALU_DEP_2)
	v_bfe_u32 v104, v95, 20, 1
	v_cmp_eq_u32_e64 s13, v92, v105
	s_delay_alu instid0(VALU_DEP_2) | instskip(NEXT) | instid1(VALU_DEP_1)
	v_add_nc_u32_e32 v94, -1, v104
	v_cndmask_b32_e64 v92, 0, v94, s13
	v_lshrrev_b32_e32 v94, 23, v95
	s_mov_b32 s13, exec_lo
	s_delay_alu instid0(VALU_DEP_2) | instskip(NEXT) | instid1(VALU_DEP_2)
	v_add_nc_u32_e32 v92, v92, v95
	v_xor_b32_e32 v94, 1, v94
	s_delay_alu instid0(VALU_DEP_2) | instskip(NEXT) | instid1(VALU_DEP_1)
	v_and_b32_e32 v90, 0xfffff, v92
	v_add_nc_u32_e32 v92, v90, v95
                                        ; implicit-def: $vgpr90
	s_delay_alu instid0(VALU_DEP_3)
	v_cmpx_ne_u32_e64 v93, v94
	s_xor_b32 s13, exec_lo, s13
; %bb.1268:                             ;   in Loop: Header=BB6_393 Depth=4
	s_delay_alu instid0(VALU_DEP_2) | instskip(SKIP_2) | instid1(VALU_DEP_2)
	v_cmp_lt_u32_e32 vcc_lo, 0xffffff, v92
	v_sub_nc_u32_e32 v90, v93, v94
	v_cndmask_b32_e64 v93, 0, 1, vcc_lo
	v_add_co_ci_u32_e32 v90, vcc_lo, 0, v90, vcc_lo
	s_delay_alu instid0(VALU_DEP_2)
	v_lshrrev_b32_e32 v92, v93, v92
; %bb.1269:                             ;   in Loop: Header=BB6_393 Depth=4
	s_and_not1_saveexec_b32 s13, s13
; %bb.1270:                             ;   in Loop: Header=BB6_393 Depth=4
	s_delay_alu instid0(VALU_DEP_1)
	v_bfe_u32 v90, v92, 23, 1
; %bb.1271:                             ;   in Loop: Header=BB6_393 Depth=4
	s_or_b32 exec_lo, exec_lo, s13
	v_lshrrev_b32_e32 v92, 20, v92
	s_delay_alu instid0(VALU_DEP_2) | instskip(SKIP_2) | instid1(VALU_DEP_2)
	v_cmp_gt_i32_e32 vcc_lo, 16, v90
	v_min_i32_e32 v93, 15, v90
	v_lshrrev_b32_e32 v91, 24, v91
	v_dual_cndmask_b32 v92, 7, v92 :: v_dual_lshlrev_b32 v93, 3, v93
	s_delay_alu instid0(VALU_DEP_2) | instskip(NEXT) | instid1(VALU_DEP_2)
	v_and_b32_e32 v91, 0x80, v91
	v_or_b32_e32 v90, v90, v92
	v_and_b32_e32 v94, 7, v92
	s_delay_alu instid0(VALU_DEP_2) | instskip(SKIP_1) | instid1(VALU_DEP_1)
	v_cmp_ne_u32_e32 vcc_lo, 0, v90
	v_and_b32_e32 v93, 0xf8, v93
	v_or3_b32 v91, v93, v91, v94
	s_delay_alu instid0(VALU_DEP_1)
	v_cndmask_b32_e32 v90, 0, v91, vcc_lo
.LBB6_1272:                             ;   in Loop: Header=BB6_393 Depth=4
	s_or_b32 exec_lo, exec_lo, s34
.LBB6_1273:                             ;   in Loop: Header=BB6_393 Depth=4
	s_delay_alu instid0(SALU_CYCLE_1) | instskip(SKIP_3) | instid1(VALU_DEP_1)
	s_or_b32 exec_lo, exec_lo, s31
	v_lshrrev_b32_e32 v92, 24, v13
	s_mov_b32 s13, 0
	s_mov_b32 s34, exec_lo
                                        ; implicit-def: $sgpr31
	v_cmpx_lt_i16_e32 0x7f, v92
	s_xor_b32 s34, exec_lo, s34
	s_cbranch_execnz .LBB6_1855
; %bb.1274:                             ;   in Loop: Header=BB6_393 Depth=4
	s_or_saveexec_b32 s34, s34
	v_mov_b32_e32 v91, s31
	s_xor_b32 exec_lo, exec_lo, s34
	s_cbranch_execnz .LBB6_1858
.LBB6_1275:                             ;   in Loop: Header=BB6_393 Depth=4
	s_or_b32 exec_lo, exec_lo, s34
	s_and_saveexec_b32 s31, s13
	s_cbranch_execz .LBB6_1277
.LBB6_1276:                             ;   in Loop: Header=BB6_393 Depth=4
	v_bfe_u32 v91, v13, 24, 3
	s_delay_alu instid0(VALU_DEP_1) | instskip(NEXT) | instid1(VALU_DEP_1)
	v_clz_i32_u32_e32 v93, v91
	v_min_u32_e32 v93, 32, v93
	s_delay_alu instid0(VALU_DEP_1) | instskip(SKIP_1) | instid1(VALU_DEP_2)
	v_subrev_nc_u32_e32 v94, 28, v93
	v_sub_nc_u32_e32 v93, 29, v93
	v_lshlrev_b32_e32 v92, v94, v92
	v_bfe_u32 v94, v13, 27, 4
	v_and_b32_e32 v13, 0x80000000, v13
	s_delay_alu instid0(VALU_DEP_2) | instskip(NEXT) | instid1(VALU_DEP_4)
	v_cmp_eq_u32_e32 vcc_lo, 0, v94
	v_dual_cndmask_b32 v93, v94, v93 :: v_dual_and_b32 v92, 7, v92
	s_delay_alu instid0(VALU_DEP_1) | instskip(NEXT) | instid1(VALU_DEP_2)
	v_cndmask_b32_e32 v91, v91, v92, vcc_lo
	v_lshl_add_u32 v92, v93, 23, 0x3b800000
	s_delay_alu instid0(VALU_DEP_2) | instskip(NEXT) | instid1(VALU_DEP_1)
	v_lshlrev_b32_e32 v91, 20, v91
	v_or3_b32 v91, v13, v92, v91
.LBB6_1277:                             ;   in Loop: Header=BB6_393 Depth=4
	s_or_b32 exec_lo, exec_lo, s31
	v_lshrrev_b32_e32 v13, 24, v9
	s_mov_b32 s13, 0
	s_mov_b32 s34, exec_lo
                                        ; implicit-def: $sgpr31
	s_delay_alu instid0(VALU_DEP_1)
	v_cmpx_lt_i16_e32 0x7f, v13
	s_xor_b32 s34, exec_lo, s34
	s_cbranch_execnz .LBB6_1859
; %bb.1278:                             ;   in Loop: Header=BB6_393 Depth=4
	s_or_saveexec_b32 s34, s34
	v_mov_b32_e32 v92, s31
	s_xor_b32 exec_lo, exec_lo, s34
	s_cbranch_execnz .LBB6_1862
.LBB6_1279:                             ;   in Loop: Header=BB6_393 Depth=4
	s_or_b32 exec_lo, exec_lo, s34
	s_and_saveexec_b32 s31, s13
	s_cbranch_execz .LBB6_1281
.LBB6_1280:                             ;   in Loop: Header=BB6_393 Depth=4
	v_bfe_u32 v92, v9, 24, 3
	s_delay_alu instid0(VALU_DEP_1) | instskip(NEXT) | instid1(VALU_DEP_1)
	v_clz_i32_u32_e32 v93, v92
	v_min_u32_e32 v93, 32, v93
	s_delay_alu instid0(VALU_DEP_1) | instskip(SKIP_1) | instid1(VALU_DEP_2)
	v_subrev_nc_u32_e32 v94, 28, v93
	v_sub_nc_u32_e32 v93, 29, v93
	v_lshlrev_b32_e32 v13, v94, v13
	v_bfe_u32 v94, v9, 27, 4
	v_and_b32_e32 v9, 0x80000000, v9
	s_delay_alu instid0(VALU_DEP_3) | instskip(NEXT) | instid1(VALU_DEP_3)
	v_and_b32_e32 v13, 7, v13
	v_cmp_eq_u32_e32 vcc_lo, 0, v94
	v_cndmask_b32_e32 v93, v94, v93, vcc_lo
	s_delay_alu instid0(VALU_DEP_3) | instskip(NEXT) | instid1(VALU_DEP_2)
	v_cndmask_b32_e32 v13, v92, v13, vcc_lo
	v_lshl_add_u32 v92, v93, 23, 0x3b800000
	s_delay_alu instid0(VALU_DEP_2) | instskip(NEXT) | instid1(VALU_DEP_1)
	v_lshlrev_b32_e32 v13, 20, v13
	v_or3_b32 v92, v9, v92, v13
.LBB6_1281:                             ;   in Loop: Header=BB6_393 Depth=4
	s_or_b32 exec_lo, exec_lo, s31
	s_delay_alu instid0(VALU_DEP_1) | instskip(NEXT) | instid1(VALU_DEP_1)
	v_add_f32_e32 v13, v91, v92
	v_and_b32_e32 v9, 0x7f800000, v13
	s_delay_alu instid0(VALU_DEP_1)
	v_cmp_ne_u32_e32 vcc_lo, 0x7f800000, v9
	v_mov_b32_e32 v9, 0x8000
	s_and_saveexec_b32 s31, vcc_lo
	s_cbranch_execz .LBB6_1289
; %bb.1282:                             ;   in Loop: Header=BB6_393 Depth=4
	v_mov_b32_e32 v9, 0
	s_mov_b32 s34, exec_lo
	v_cmpx_ne_u32_e32 0, v13
	s_cbranch_execz .LBB6_1288
; %bb.1283:                             ;   in Loop: Header=BB6_393 Depth=4
	v_bfe_u32 v9, v13, 23, 8
	s_delay_alu instid0(VALU_DEP_1) | instskip(SKIP_1) | instid1(VALU_DEP_2)
	v_sub_nc_u32_e32 v92, 0x78, v9
	v_cmp_gt_u32_e32 vcc_lo, 0x79, v9
	v_dual_cndmask_b32 v92, 0, v92 :: v_dual_and_b32 v91, 0x7fffff, v13
	s_delay_alu instid0(VALU_DEP_1) | instskip(SKIP_2) | instid1(VALU_DEP_4)
	v_or_b32_e32 v93, 0x800000, v91
	v_cmp_eq_u32_e32 vcc_lo, 0, v9
	v_add_nc_u32_e32 v9, 0xffffff89, v9
	v_cndmask_b32_e64 v92, v92, 0x77, vcc_lo
	s_delay_alu instid0(VALU_DEP_2) | instskip(SKIP_1) | instid1(VALU_DEP_3)
	v_cndmask_b32_e64 v9, v9, 0xffffff8a, vcc_lo
	v_cndmask_b32_e32 v91, v93, v91, vcc_lo
	v_lshl_add_u32 v93, 0x100000, v92, -1
	v_lshlrev_b32_e64 v104, v92, 0x80000
	s_delay_alu instid0(VALU_DEP_3) | instskip(SKIP_1) | instid1(VALU_DEP_4)
	v_lshrrev_b32_e32 v94, v92, v91
	v_add_nc_u32_e32 v92, v92, v9
	v_and_b32_e32 v91, v93, v91
	s_delay_alu instid0(VALU_DEP_3) | instskip(NEXT) | instid1(VALU_DEP_2)
	v_bfe_u32 v95, v94, 20, 1
	v_cmp_eq_u32_e64 s13, v91, v104
	s_delay_alu instid0(VALU_DEP_2) | instskip(NEXT) | instid1(VALU_DEP_1)
	v_add_nc_u32_e32 v93, -1, v95
	v_cndmask_b32_e64 v91, 0, v93, s13
	v_lshrrev_b32_e32 v93, 23, v94
	s_mov_b32 s13, exec_lo
	s_delay_alu instid0(VALU_DEP_2) | instskip(NEXT) | instid1(VALU_DEP_2)
	v_add_nc_u32_e32 v91, v91, v94
	v_xor_b32_e32 v93, 1, v93
	s_delay_alu instid0(VALU_DEP_2) | instskip(NEXT) | instid1(VALU_DEP_1)
	v_and_b32_e32 v9, 0xfffff, v91
	v_add_nc_u32_e32 v91, v9, v94
                                        ; implicit-def: $vgpr9
	s_delay_alu instid0(VALU_DEP_3)
	v_cmpx_ne_u32_e64 v92, v93
	s_xor_b32 s13, exec_lo, s13
; %bb.1284:                             ;   in Loop: Header=BB6_393 Depth=4
	s_delay_alu instid0(VALU_DEP_2) | instskip(SKIP_2) | instid1(VALU_DEP_2)
	v_cmp_lt_u32_e32 vcc_lo, 0xffffff, v91
	v_sub_nc_u32_e32 v9, v92, v93
	v_cndmask_b32_e64 v92, 0, 1, vcc_lo
	v_add_co_ci_u32_e32 v9, vcc_lo, 0, v9, vcc_lo
	s_delay_alu instid0(VALU_DEP_2)
	v_lshrrev_b32_e32 v91, v92, v91
; %bb.1285:                             ;   in Loop: Header=BB6_393 Depth=4
	s_and_not1_saveexec_b32 s13, s13
; %bb.1286:                             ;   in Loop: Header=BB6_393 Depth=4
	s_delay_alu instid0(VALU_DEP_1)
	v_bfe_u32 v9, v91, 23, 1
; %bb.1287:                             ;   in Loop: Header=BB6_393 Depth=4
	s_or_b32 exec_lo, exec_lo, s13
	v_lshrrev_b32_e32 v91, 20, v91
	s_delay_alu instid0(VALU_DEP_2) | instskip(SKIP_2) | instid1(VALU_DEP_2)
	v_cmp_gt_i32_e32 vcc_lo, 16, v9
	v_min_i32_e32 v92, 15, v9
	v_lshrrev_b32_e32 v13, 24, v13
	v_dual_cndmask_b32 v91, 7, v91 :: v_dual_lshlrev_b32 v92, 3, v92
	s_delay_alu instid0(VALU_DEP_2) | instskip(NEXT) | instid1(VALU_DEP_2)
	v_and_b32_e32 v13, 0x80, v13
	v_or_b32_e32 v9, v9, v91
	v_and_b32_e32 v93, 7, v91
	s_delay_alu instid0(VALU_DEP_2) | instskip(SKIP_1) | instid1(VALU_DEP_1)
	v_cmp_ne_u32_e32 vcc_lo, 0, v9
	v_and_b32_e32 v92, 0xf8, v92
	v_or3_b32 v13, v13, v92, v93
	s_delay_alu instid0(VALU_DEP_1) | instskip(NEXT) | instid1(VALU_DEP_1)
	v_lshlrev_b32_e32 v13, 8, v13
	v_cndmask_b32_e32 v9, 0, v13, vcc_lo
.LBB6_1288:                             ;   in Loop: Header=BB6_393 Depth=4
	s_or_b32 exec_lo, exec_lo, s34
.LBB6_1289:                             ;   in Loop: Header=BB6_393 Depth=4
	s_delay_alu instid0(SALU_CYCLE_1) | instskip(SKIP_3) | instid1(VALU_DEP_1)
	s_or_b32 exec_lo, exec_lo, s31
	v_and_b32_e32 v91, 0xff, v14
	s_mov_b32 s13, 0
	s_mov_b32 s34, exec_lo
                                        ; implicit-def: $sgpr31
	v_cmpx_lt_i16_e32 0x7f, v91
	s_xor_b32 s34, exec_lo, s34
	s_cbranch_execnz .LBB6_1863
; %bb.1290:                             ;   in Loop: Header=BB6_393 Depth=4
	s_or_saveexec_b32 s34, s34
	v_mov_b32_e32 v13, s31
	s_xor_b32 exec_lo, exec_lo, s34
	s_cbranch_execnz .LBB6_1866
.LBB6_1291:                             ;   in Loop: Header=BB6_393 Depth=4
	s_or_b32 exec_lo, exec_lo, s34
	s_and_saveexec_b32 s31, s13
	s_cbranch_execz .LBB6_1293
.LBB6_1292:                             ;   in Loop: Header=BB6_393 Depth=4
	v_and_b32_e32 v13, 7, v14
	v_bfe_u32 v93, v14, 3, 4
	s_delay_alu instid0(VALU_DEP_2) | instskip(NEXT) | instid1(VALU_DEP_2)
	v_clz_i32_u32_e32 v91, v13
	v_cmp_eq_u32_e32 vcc_lo, 0, v93
	s_delay_alu instid0(VALU_DEP_2) | instskip(NEXT) | instid1(VALU_DEP_1)
	v_min_u32_e32 v91, 32, v91
	v_subrev_nc_u32_e32 v92, 28, v91
	v_sub_nc_u32_e32 v91, 29, v91
	s_delay_alu instid0(VALU_DEP_1) | instskip(NEXT) | instid1(VALU_DEP_1)
	v_dual_cndmask_b32 v91, v93, v91 :: v_dual_lshlrev_b32 v92, v92, v14
	v_and_b32_e32 v92, 7, v92
	v_lshlrev_b32_e32 v94, 24, v14
	s_delay_alu instid0(VALU_DEP_3) | instskip(NEXT) | instid1(VALU_DEP_2)
	v_lshl_add_u32 v91, v91, 23, 0x3b800000
	v_dual_cndmask_b32 v13, v13, v92 :: v_dual_and_b32 v92, 0x80000000, v94
	s_delay_alu instid0(VALU_DEP_1) | instskip(NEXT) | instid1(VALU_DEP_1)
	v_lshlrev_b32_e32 v13, 20, v13
	v_or3_b32 v13, v92, v91, v13
.LBB6_1293:                             ;   in Loop: Header=BB6_393 Depth=4
	s_or_b32 exec_lo, exec_lo, s31
	v_and_b32_e32 v92, 0xff, v10
	s_mov_b32 s13, 0
	s_mov_b32 s34, exec_lo
                                        ; implicit-def: $sgpr31
	s_delay_alu instid0(VALU_DEP_1)
	v_cmpx_lt_i16_e32 0x7f, v92
	s_xor_b32 s34, exec_lo, s34
	s_cbranch_execnz .LBB6_1867
; %bb.1294:                             ;   in Loop: Header=BB6_393 Depth=4
	s_or_saveexec_b32 s34, s34
	v_mov_b32_e32 v91, s31
	s_xor_b32 exec_lo, exec_lo, s34
	s_cbranch_execnz .LBB6_1870
.LBB6_1295:                             ;   in Loop: Header=BB6_393 Depth=4
	s_or_b32 exec_lo, exec_lo, s34
	s_and_saveexec_b32 s31, s13
	s_cbranch_execz .LBB6_1297
.LBB6_1296:                             ;   in Loop: Header=BB6_393 Depth=4
	v_bfe_u32 v94, v10, 3, 4
	v_lshlrev_b32_e32 v95, 24, v10
	s_delay_alu instid0(VALU_DEP_2) | instskip(SKIP_1) | instid1(VALU_DEP_1)
	v_cmp_eq_u32_e32 vcc_lo, 0, v94
	v_and_b32_e32 v91, 7, v10
	v_clz_i32_u32_e32 v92, v91
	s_delay_alu instid0(VALU_DEP_1) | instskip(NEXT) | instid1(VALU_DEP_1)
	v_min_u32_e32 v92, 32, v92
	v_subrev_nc_u32_e32 v93, 28, v92
	v_sub_nc_u32_e32 v92, 29, v92
	s_delay_alu instid0(VALU_DEP_1) | instskip(NEXT) | instid1(VALU_DEP_1)
	v_dual_cndmask_b32 v92, v94, v92 :: v_dual_lshlrev_b32 v93, v93, v10
	v_and_b32_e32 v93, 7, v93
	s_delay_alu instid0(VALU_DEP_2) | instskip(NEXT) | instid1(VALU_DEP_2)
	v_lshl_add_u32 v92, v92, 23, 0x3b800000
	v_cndmask_b32_e32 v91, v91, v93, vcc_lo
	v_and_b32_e32 v93, 0x80000000, v95
	s_delay_alu instid0(VALU_DEP_2) | instskip(NEXT) | instid1(VALU_DEP_1)
	v_lshlrev_b32_e32 v91, 20, v91
	v_or3_b32 v91, v93, v92, v91
.LBB6_1297:                             ;   in Loop: Header=BB6_393 Depth=4
	s_or_b32 exec_lo, exec_lo, s31
	s_delay_alu instid0(VALU_DEP_1) | instskip(NEXT) | instid1(VALU_DEP_1)
	v_add_f32_e32 v91, v13, v91
	v_and_b32_e32 v13, 0x7f800000, v91
	s_delay_alu instid0(VALU_DEP_1)
	v_cmp_ne_u32_e32 vcc_lo, 0x7f800000, v13
	v_mov_b32_e32 v13, 0x80
	s_and_saveexec_b32 s31, vcc_lo
	s_cbranch_execz .LBB6_1305
; %bb.1298:                             ;   in Loop: Header=BB6_393 Depth=4
	v_mov_b32_e32 v13, 0
	s_mov_b32 s34, exec_lo
	v_cmpx_ne_u32_e32 0, v91
	s_cbranch_execz .LBB6_1304
; %bb.1299:                             ;   in Loop: Header=BB6_393 Depth=4
	v_bfe_u32 v13, v91, 23, 8
	s_delay_alu instid0(VALU_DEP_1) | instskip(SKIP_1) | instid1(VALU_DEP_2)
	v_sub_nc_u32_e32 v93, 0x78, v13
	v_cmp_gt_u32_e32 vcc_lo, 0x79, v13
	v_dual_cndmask_b32 v93, 0, v93 :: v_dual_and_b32 v92, 0x7fffff, v91
	s_delay_alu instid0(VALU_DEP_1) | instskip(SKIP_2) | instid1(VALU_DEP_4)
	v_or_b32_e32 v94, 0x800000, v92
	v_cmp_eq_u32_e32 vcc_lo, 0, v13
	v_add_nc_u32_e32 v13, 0xffffff89, v13
	v_cndmask_b32_e64 v93, v93, 0x77, vcc_lo
	s_delay_alu instid0(VALU_DEP_4) | instskip(NEXT) | instid1(VALU_DEP_3)
	v_cndmask_b32_e32 v92, v94, v92, vcc_lo
	v_cndmask_b32_e64 v13, v13, 0xffffff8a, vcc_lo
	s_delay_alu instid0(VALU_DEP_3) | instskip(NEXT) | instid1(VALU_DEP_3)
	v_lshl_add_u32 v94, 0x100000, v93, -1
	v_lshrrev_b32_e32 v95, v93, v92
	v_lshlrev_b32_e64 v105, v93, 0x80000
	s_delay_alu instid0(VALU_DEP_4) | instskip(NEXT) | instid1(VALU_DEP_4)
	v_add_nc_u32_e32 v93, v93, v13
	v_and_b32_e32 v92, v94, v92
	s_delay_alu instid0(VALU_DEP_4) | instskip(NEXT) | instid1(VALU_DEP_2)
	v_bfe_u32 v104, v95, 20, 1
	v_cmp_eq_u32_e64 s13, v92, v105
	s_delay_alu instid0(VALU_DEP_2) | instskip(NEXT) | instid1(VALU_DEP_1)
	v_add_nc_u32_e32 v94, -1, v104
	v_cndmask_b32_e64 v92, 0, v94, s13
	v_lshrrev_b32_e32 v94, 23, v95
	s_mov_b32 s13, exec_lo
	s_delay_alu instid0(VALU_DEP_2) | instskip(NEXT) | instid1(VALU_DEP_2)
	v_add_nc_u32_e32 v92, v92, v95
	v_xor_b32_e32 v94, 1, v94
	s_delay_alu instid0(VALU_DEP_2) | instskip(NEXT) | instid1(VALU_DEP_1)
	v_and_b32_e32 v13, 0xfffff, v92
	v_add_nc_u32_e32 v92, v13, v95
                                        ; implicit-def: $vgpr13
	s_delay_alu instid0(VALU_DEP_3)
	v_cmpx_ne_u32_e64 v93, v94
	s_xor_b32 s13, exec_lo, s13
; %bb.1300:                             ;   in Loop: Header=BB6_393 Depth=4
	s_delay_alu instid0(VALU_DEP_2) | instskip(SKIP_2) | instid1(VALU_DEP_2)
	v_cmp_lt_u32_e32 vcc_lo, 0xffffff, v92
	v_sub_nc_u32_e32 v13, v93, v94
	v_cndmask_b32_e64 v93, 0, 1, vcc_lo
	v_add_co_ci_u32_e32 v13, vcc_lo, 0, v13, vcc_lo
	s_delay_alu instid0(VALU_DEP_2)
	v_lshrrev_b32_e32 v92, v93, v92
; %bb.1301:                             ;   in Loop: Header=BB6_393 Depth=4
	s_and_not1_saveexec_b32 s13, s13
; %bb.1302:                             ;   in Loop: Header=BB6_393 Depth=4
	s_delay_alu instid0(VALU_DEP_1)
	v_bfe_u32 v13, v92, 23, 1
; %bb.1303:                             ;   in Loop: Header=BB6_393 Depth=4
	s_or_b32 exec_lo, exec_lo, s13
	v_lshrrev_b32_e32 v92, 20, v92
	s_delay_alu instid0(VALU_DEP_2) | instskip(SKIP_2) | instid1(VALU_DEP_2)
	v_cmp_gt_i32_e32 vcc_lo, 16, v13
	v_lshrrev_b32_e32 v91, 24, v91
	v_min_i32_e32 v93, 15, v13
	v_dual_cndmask_b32 v92, 7, v92 :: v_dual_and_b32 v91, 0x80, v91
	s_delay_alu instid0(VALU_DEP_2) | instskip(NEXT) | instid1(VALU_DEP_2)
	v_lshlrev_b32_e32 v93, 3, v93
	v_or_b32_e32 v13, v13, v92
	s_delay_alu instid0(VALU_DEP_1) | instskip(SKIP_1) | instid1(VALU_DEP_1)
	v_cmp_ne_u32_e32 vcc_lo, 0, v13
	v_and_b32_e32 v94, 7, v92
	v_or3_b32 v91, v93, v91, v94
	s_delay_alu instid0(VALU_DEP_1)
	v_cndmask_b32_e32 v13, 0, v91, vcc_lo
.LBB6_1304:                             ;   in Loop: Header=BB6_393 Depth=4
	s_or_b32 exec_lo, exec_lo, s34
.LBB6_1305:                             ;   in Loop: Header=BB6_393 Depth=4
	s_delay_alu instid0(SALU_CYCLE_1) | instskip(SKIP_3) | instid1(VALU_DEP_1)
	s_or_b32 exec_lo, exec_lo, s31
	v_lshrrev_b16 v92, 8, v14
	s_mov_b32 s13, 0
	s_mov_b32 s34, exec_lo
                                        ; implicit-def: $sgpr31
	v_cmpx_lt_i16_e32 0x7f, v92
	s_xor_b32 s34, exec_lo, s34
	s_cbranch_execnz .LBB6_1871
; %bb.1306:                             ;   in Loop: Header=BB6_393 Depth=4
	s_or_saveexec_b32 s34, s34
	v_mov_b32_e32 v91, s31
	s_xor_b32 exec_lo, exec_lo, s34
	s_cbranch_execnz .LBB6_1874
.LBB6_1307:                             ;   in Loop: Header=BB6_393 Depth=4
	s_or_b32 exec_lo, exec_lo, s34
	s_and_saveexec_b32 s31, s13
	s_cbranch_execz .LBB6_1309
.LBB6_1308:                             ;   in Loop: Header=BB6_393 Depth=4
	v_and_b32_e32 v91, 0xffff, v92
	s_delay_alu instid0(VALU_DEP_1) | instskip(NEXT) | instid1(VALU_DEP_1)
	v_and_b32_e32 v93, 7, v91
	v_clz_i32_u32_e32 v94, v93
	s_delay_alu instid0(VALU_DEP_1) | instskip(NEXT) | instid1(VALU_DEP_1)
	v_min_u32_e32 v94, 32, v94
	v_subrev_nc_u32_e32 v95, 28, v94
	v_sub_nc_u32_e32 v94, 29, v94
	s_delay_alu instid0(VALU_DEP_2) | instskip(SKIP_1) | instid1(VALU_DEP_2)
	v_lshlrev_b32_e32 v95, v95, v91
	v_bfe_u32 v91, v91, 3, 4
	v_and_b32_e32 v95, 7, v95
	s_delay_alu instid0(VALU_DEP_2) | instskip(SKIP_1) | instid1(VALU_DEP_1)
	v_cmp_eq_u32_e32 vcc_lo, 0, v91
	v_dual_cndmask_b32 v91, v91, v94 :: v_dual_lshlrev_b32 v92, 24, v92
	v_dual_cndmask_b32 v93, v93, v95 :: v_dual_and_b32 v92, 0x80000000, v92
	s_delay_alu instid0(VALU_DEP_2) | instskip(NEXT) | instid1(VALU_DEP_2)
	v_lshl_add_u32 v91, v91, 23, 0x3b800000
	v_lshlrev_b32_e32 v93, 20, v93
	s_delay_alu instid0(VALU_DEP_1)
	v_or3_b32 v91, v92, v91, v93
.LBB6_1309:                             ;   in Loop: Header=BB6_393 Depth=4
	s_or_b32 exec_lo, exec_lo, s31
	v_lshrrev_b16 v92, 8, v10
	s_mov_b32 s13, 0
	s_mov_b32 s34, exec_lo
                                        ; implicit-def: $sgpr31
	s_delay_alu instid0(VALU_DEP_1)
	v_cmpx_lt_i16_e32 0x7f, v92
	s_xor_b32 s34, exec_lo, s34
	s_cbranch_execnz .LBB6_1875
; %bb.1310:                             ;   in Loop: Header=BB6_393 Depth=4
	s_or_saveexec_b32 s34, s34
	v_mov_b32_e32 v93, s31
	s_xor_b32 exec_lo, exec_lo, s34
	s_cbranch_execnz .LBB6_1878
.LBB6_1311:                             ;   in Loop: Header=BB6_393 Depth=4
	s_or_b32 exec_lo, exec_lo, s34
	s_and_saveexec_b32 s31, s13
	s_cbranch_execz .LBB6_1313
.LBB6_1312:                             ;   in Loop: Header=BB6_393 Depth=4
	v_and_b32_e32 v93, 0xffff, v92
	v_lshlrev_b32_e32 v92, 24, v92
	s_delay_alu instid0(VALU_DEP_2) | instskip(NEXT) | instid1(VALU_DEP_2)
	v_and_b32_e32 v94, 7, v93
	v_and_b32_e32 v92, 0x80000000, v92
	s_delay_alu instid0(VALU_DEP_2) | instskip(NEXT) | instid1(VALU_DEP_1)
	v_clz_i32_u32_e32 v95, v94
	v_min_u32_e32 v95, 32, v95
	s_delay_alu instid0(VALU_DEP_1) | instskip(SKIP_1) | instid1(VALU_DEP_2)
	v_subrev_nc_u32_e32 v104, 28, v95
	v_sub_nc_u32_e32 v95, 29, v95
	v_lshlrev_b32_e32 v104, v104, v93
	v_bfe_u32 v93, v93, 3, 4
	s_delay_alu instid0(VALU_DEP_2) | instskip(NEXT) | instid1(VALU_DEP_2)
	v_and_b32_e32 v104, 7, v104
	v_cmp_eq_u32_e32 vcc_lo, 0, v93
	s_delay_alu instid0(VALU_DEP_2) | instskip(NEXT) | instid1(VALU_DEP_1)
	v_dual_cndmask_b32 v93, v93, v95 :: v_dual_cndmask_b32 v94, v94, v104
	v_lshl_add_u32 v93, v93, 23, 0x3b800000
	s_delay_alu instid0(VALU_DEP_2) | instskip(NEXT) | instid1(VALU_DEP_1)
	v_lshlrev_b32_e32 v94, 20, v94
	v_or3_b32 v93, v92, v93, v94
.LBB6_1313:                             ;   in Loop: Header=BB6_393 Depth=4
	s_or_b32 exec_lo, exec_lo, s31
	s_delay_alu instid0(VALU_DEP_1) | instskip(NEXT) | instid1(VALU_DEP_1)
	v_add_f32_e32 v92, v91, v93
	v_and_b32_e32 v91, 0x7f800000, v92
	s_delay_alu instid0(VALU_DEP_1)
	v_cmp_ne_u32_e32 vcc_lo, 0x7f800000, v91
	v_mov_b32_e32 v91, 0x80
	s_and_saveexec_b32 s31, vcc_lo
	s_cbranch_execz .LBB6_1321
; %bb.1314:                             ;   in Loop: Header=BB6_393 Depth=4
	v_mov_b32_e32 v91, 0
	s_mov_b32 s34, exec_lo
	v_cmpx_ne_u32_e32 0, v92
	s_cbranch_execz .LBB6_1320
; %bb.1315:                             ;   in Loop: Header=BB6_393 Depth=4
	v_bfe_u32 v91, v92, 23, 8
	s_delay_alu instid0(VALU_DEP_1) | instskip(SKIP_1) | instid1(VALU_DEP_2)
	v_sub_nc_u32_e32 v94, 0x78, v91
	v_cmp_gt_u32_e32 vcc_lo, 0x79, v91
	v_dual_cndmask_b32 v94, 0, v94 :: v_dual_and_b32 v93, 0x7fffff, v92
	s_delay_alu instid0(VALU_DEP_1) | instskip(SKIP_2) | instid1(VALU_DEP_4)
	v_or_b32_e32 v95, 0x800000, v93
	v_cmp_eq_u32_e32 vcc_lo, 0, v91
	v_add_nc_u32_e32 v91, 0xffffff89, v91
	v_cndmask_b32_e64 v94, v94, 0x77, vcc_lo
	s_delay_alu instid0(VALU_DEP_2) | instskip(SKIP_1) | instid1(VALU_DEP_3)
	v_cndmask_b32_e64 v91, v91, 0xffffff8a, vcc_lo
	v_cndmask_b32_e32 v93, v95, v93, vcc_lo
	v_lshl_add_u32 v95, 0x100000, v94, -1
	v_lshlrev_b32_e64 v106, v94, 0x80000
	s_delay_alu instid0(VALU_DEP_3) | instskip(SKIP_1) | instid1(VALU_DEP_4)
	v_lshrrev_b32_e32 v104, v94, v93
	v_add_nc_u32_e32 v94, v94, v91
	v_and_b32_e32 v93, v95, v93
	s_delay_alu instid0(VALU_DEP_3) | instskip(NEXT) | instid1(VALU_DEP_2)
	v_bfe_u32 v105, v104, 20, 1
	v_cmp_eq_u32_e64 s13, v93, v106
	s_delay_alu instid0(VALU_DEP_2) | instskip(NEXT) | instid1(VALU_DEP_1)
	v_add_nc_u32_e32 v95, -1, v105
	v_cndmask_b32_e64 v93, 0, v95, s13
	v_lshrrev_b32_e32 v95, 23, v104
	s_mov_b32 s13, exec_lo
	s_delay_alu instid0(VALU_DEP_2) | instskip(NEXT) | instid1(VALU_DEP_2)
	v_add_nc_u32_e32 v93, v93, v104
	v_xor_b32_e32 v95, 1, v95
	s_delay_alu instid0(VALU_DEP_2) | instskip(NEXT) | instid1(VALU_DEP_1)
	v_and_b32_e32 v91, 0xfffff, v93
	v_add_nc_u32_e32 v93, v91, v104
                                        ; implicit-def: $vgpr91
	s_delay_alu instid0(VALU_DEP_3)
	v_cmpx_ne_u32_e64 v94, v95
	s_xor_b32 s13, exec_lo, s13
; %bb.1316:                             ;   in Loop: Header=BB6_393 Depth=4
	s_delay_alu instid0(VALU_DEP_2) | instskip(SKIP_2) | instid1(VALU_DEP_2)
	v_cmp_lt_u32_e32 vcc_lo, 0xffffff, v93
	v_sub_nc_u32_e32 v91, v94, v95
	v_cndmask_b32_e64 v94, 0, 1, vcc_lo
	v_add_co_ci_u32_e32 v91, vcc_lo, 0, v91, vcc_lo
	s_delay_alu instid0(VALU_DEP_2)
	v_lshrrev_b32_e32 v93, v94, v93
; %bb.1317:                             ;   in Loop: Header=BB6_393 Depth=4
	s_and_not1_saveexec_b32 s13, s13
; %bb.1318:                             ;   in Loop: Header=BB6_393 Depth=4
	s_delay_alu instid0(VALU_DEP_1)
	v_bfe_u32 v91, v93, 23, 1
; %bb.1319:                             ;   in Loop: Header=BB6_393 Depth=4
	s_or_b32 exec_lo, exec_lo, s13
	v_lshrrev_b32_e32 v93, 20, v93
	s_delay_alu instid0(VALU_DEP_2) | instskip(SKIP_2) | instid1(VALU_DEP_2)
	v_cmp_gt_i32_e32 vcc_lo, 16, v91
	v_lshrrev_b32_e32 v92, 24, v92
	v_min_i32_e32 v94, 15, v91
	v_dual_cndmask_b32 v93, 7, v93 :: v_dual_and_b32 v92, 0x80, v92
	s_delay_alu instid0(VALU_DEP_1) | instskip(SKIP_1) | instid1(VALU_DEP_2)
	v_or_b32_e32 v91, v91, v93
	v_and_b32_e32 v95, 7, v93
	v_cmp_ne_u32_e32 vcc_lo, 0, v91
	v_lshlrev_b32_e32 v94, 3, v94
	s_delay_alu instid0(VALU_DEP_1) | instskip(NEXT) | instid1(VALU_DEP_1)
	v_or3_b32 v92, v94, v92, v95
	v_cndmask_b32_e32 v91, 0, v92, vcc_lo
.LBB6_1320:                             ;   in Loop: Header=BB6_393 Depth=4
	s_or_b32 exec_lo, exec_lo, s34
.LBB6_1321:                             ;   in Loop: Header=BB6_393 Depth=4
	s_delay_alu instid0(SALU_CYCLE_1) | instskip(SKIP_3) | instid1(VALU_DEP_1)
	s_or_b32 exec_lo, exec_lo, s31
	v_lshrrev_b32_e32 v93, 16, v14
	s_mov_b32 s13, 0
	s_mov_b32 s34, exec_lo
                                        ; implicit-def: $sgpr31
	v_and_b32_e32 v94, 0xff, v93
	s_delay_alu instid0(VALU_DEP_1)
	v_cmpx_lt_i16_e32 0x7f, v94
	s_xor_b32 s34, exec_lo, s34
	s_cbranch_execnz .LBB6_1879
; %bb.1322:                             ;   in Loop: Header=BB6_393 Depth=4
	s_or_saveexec_b32 s34, s34
	v_mov_b32_e32 v92, s31
	s_xor_b32 exec_lo, exec_lo, s34
	s_cbranch_execnz .LBB6_1882
.LBB6_1323:                             ;   in Loop: Header=BB6_393 Depth=4
	s_or_b32 exec_lo, exec_lo, s34
	s_and_saveexec_b32 s31, s13
	s_cbranch_execz .LBB6_1325
.LBB6_1324:                             ;   in Loop: Header=BB6_393 Depth=4
	v_bfe_u32 v92, v14, 16, 3
	v_lshlrev_b32_e32 v104, 8, v14
	s_delay_alu instid0(VALU_DEP_2) | instskip(NEXT) | instid1(VALU_DEP_1)
	v_clz_i32_u32_e32 v94, v92
	v_min_u32_e32 v94, 32, v94
	s_delay_alu instid0(VALU_DEP_1) | instskip(SKIP_1) | instid1(VALU_DEP_2)
	v_subrev_nc_u32_e32 v95, 28, v94
	v_sub_nc_u32_e32 v94, 29, v94
	v_lshlrev_b32_e32 v93, v95, v93
	v_bfe_u32 v95, v14, 19, 4
	s_delay_alu instid0(VALU_DEP_1) | instskip(NEXT) | instid1(VALU_DEP_3)
	v_cmp_eq_u32_e32 vcc_lo, 0, v95
	v_dual_cndmask_b32 v94, v95, v94 :: v_dual_and_b32 v93, 7, v93
	s_delay_alu instid0(VALU_DEP_1) | instskip(NEXT) | instid1(VALU_DEP_2)
	v_dual_cndmask_b32 v92, v92, v93 :: v_dual_and_b32 v93, 0x80000000, v104
	v_lshl_add_u32 v94, v94, 23, 0x3b800000
	s_delay_alu instid0(VALU_DEP_2) | instskip(NEXT) | instid1(VALU_DEP_1)
	v_lshlrev_b32_e32 v92, 20, v92
	v_or3_b32 v92, v93, v94, v92
.LBB6_1325:                             ;   in Loop: Header=BB6_393 Depth=4
	s_or_b32 exec_lo, exec_lo, s31
	v_lshrrev_b32_e32 v93, 16, v10
	s_mov_b32 s13, 0
	s_mov_b32 s34, exec_lo
                                        ; implicit-def: $sgpr31
	s_delay_alu instid0(VALU_DEP_1) | instskip(NEXT) | instid1(VALU_DEP_1)
	v_and_b32_e32 v95, 0xff, v93
	v_cmpx_lt_i16_e32 0x7f, v95
	s_xor_b32 s34, exec_lo, s34
	s_cbranch_execnz .LBB6_1883
; %bb.1326:                             ;   in Loop: Header=BB6_393 Depth=4
	s_or_saveexec_b32 s34, s34
	v_mov_b32_e32 v94, s31
	s_xor_b32 exec_lo, exec_lo, s34
	s_cbranch_execnz .LBB6_1886
.LBB6_1327:                             ;   in Loop: Header=BB6_393 Depth=4
	s_or_b32 exec_lo, exec_lo, s34
	s_and_saveexec_b32 s31, s13
	s_cbranch_execz .LBB6_1329
.LBB6_1328:                             ;   in Loop: Header=BB6_393 Depth=4
	v_bfe_u32 v94, v10, 16, 3
	v_lshlrev_b32_e32 v105, 8, v10
	s_delay_alu instid0(VALU_DEP_2) | instskip(NEXT) | instid1(VALU_DEP_1)
	v_clz_i32_u32_e32 v95, v94
	v_min_u32_e32 v95, 32, v95
	s_delay_alu instid0(VALU_DEP_1) | instskip(SKIP_1) | instid1(VALU_DEP_2)
	v_subrev_nc_u32_e32 v104, 28, v95
	v_sub_nc_u32_e32 v95, 29, v95
	v_lshlrev_b32_e32 v93, v104, v93
	v_bfe_u32 v104, v10, 19, 4
	s_delay_alu instid0(VALU_DEP_2) | instskip(NEXT) | instid1(VALU_DEP_2)
	v_and_b32_e32 v93, 7, v93
	v_cmp_eq_u32_e32 vcc_lo, 0, v104
	v_cndmask_b32_e32 v95, v104, v95, vcc_lo
	s_delay_alu instid0(VALU_DEP_3) | instskip(SKIP_1) | instid1(VALU_DEP_3)
	v_cndmask_b32_e32 v93, v94, v93, vcc_lo
	v_and_b32_e32 v94, 0x80000000, v105
	v_lshl_add_u32 v95, v95, 23, 0x3b800000
	s_delay_alu instid0(VALU_DEP_3) | instskip(NEXT) | instid1(VALU_DEP_1)
	v_lshlrev_b32_e32 v93, 20, v93
	v_or3_b32 v94, v94, v95, v93
.LBB6_1329:                             ;   in Loop: Header=BB6_393 Depth=4
	s_or_b32 exec_lo, exec_lo, s31
	s_delay_alu instid0(VALU_DEP_1) | instskip(NEXT) | instid1(VALU_DEP_1)
	v_add_f32_e32 v93, v92, v94
	v_and_b32_e32 v92, 0x7f800000, v93
	s_delay_alu instid0(VALU_DEP_1)
	v_cmp_ne_u32_e32 vcc_lo, 0x7f800000, v92
	v_mov_b32_e32 v92, 0x80
	s_and_saveexec_b32 s31, vcc_lo
	s_cbranch_execz .LBB6_1337
; %bb.1330:                             ;   in Loop: Header=BB6_393 Depth=4
	v_mov_b32_e32 v92, 0
	s_mov_b32 s34, exec_lo
	v_cmpx_ne_u32_e32 0, v93
	s_cbranch_execz .LBB6_1336
; %bb.1331:                             ;   in Loop: Header=BB6_393 Depth=4
	v_bfe_u32 v92, v93, 23, 8
	s_delay_alu instid0(VALU_DEP_1) | instskip(SKIP_1) | instid1(VALU_DEP_2)
	v_sub_nc_u32_e32 v95, 0x78, v92
	v_cmp_gt_u32_e32 vcc_lo, 0x79, v92
	v_dual_cndmask_b32 v95, 0, v95 :: v_dual_and_b32 v94, 0x7fffff, v93
	s_delay_alu instid0(VALU_DEP_1) | instskip(SKIP_2) | instid1(VALU_DEP_4)
	v_or_b32_e32 v104, 0x800000, v94
	v_cmp_eq_u32_e32 vcc_lo, 0, v92
	v_add_nc_u32_e32 v92, 0xffffff89, v92
	v_cndmask_b32_e64 v95, v95, 0x77, vcc_lo
	s_delay_alu instid0(VALU_DEP_2) | instskip(SKIP_1) | instid1(VALU_DEP_3)
	v_cndmask_b32_e64 v92, v92, 0xffffff8a, vcc_lo
	v_cndmask_b32_e32 v94, v104, v94, vcc_lo
	v_lshl_add_u32 v104, 0x100000, v95, -1
	v_lshlrev_b32_e64 v107, v95, 0x80000
	s_delay_alu instid0(VALU_DEP_3) | instskip(SKIP_1) | instid1(VALU_DEP_4)
	v_lshrrev_b32_e32 v105, v95, v94
	v_add_nc_u32_e32 v95, v95, v92
	v_and_b32_e32 v94, v104, v94
	s_delay_alu instid0(VALU_DEP_3) | instskip(NEXT) | instid1(VALU_DEP_2)
	v_bfe_u32 v106, v105, 20, 1
	v_cmp_eq_u32_e64 s13, v94, v107
	s_delay_alu instid0(VALU_DEP_2) | instskip(NEXT) | instid1(VALU_DEP_1)
	v_add_nc_u32_e32 v104, -1, v106
	v_cndmask_b32_e64 v94, 0, v104, s13
	v_lshrrev_b32_e32 v104, 23, v105
	s_mov_b32 s13, exec_lo
	s_delay_alu instid0(VALU_DEP_2) | instskip(NEXT) | instid1(VALU_DEP_2)
	v_add_nc_u32_e32 v94, v94, v105
	v_xor_b32_e32 v104, 1, v104
	s_delay_alu instid0(VALU_DEP_2) | instskip(NEXT) | instid1(VALU_DEP_1)
	v_and_b32_e32 v92, 0xfffff, v94
	v_add_nc_u32_e32 v94, v92, v105
                                        ; implicit-def: $vgpr92
	s_delay_alu instid0(VALU_DEP_3)
	v_cmpx_ne_u32_e64 v95, v104
	s_xor_b32 s13, exec_lo, s13
; %bb.1332:                             ;   in Loop: Header=BB6_393 Depth=4
	s_delay_alu instid0(VALU_DEP_2) | instskip(SKIP_2) | instid1(VALU_DEP_2)
	v_cmp_lt_u32_e32 vcc_lo, 0xffffff, v94
	v_sub_nc_u32_e32 v92, v95, v104
	v_cndmask_b32_e64 v95, 0, 1, vcc_lo
	v_add_co_ci_u32_e32 v92, vcc_lo, 0, v92, vcc_lo
	s_delay_alu instid0(VALU_DEP_2)
	v_lshrrev_b32_e32 v94, v95, v94
; %bb.1333:                             ;   in Loop: Header=BB6_393 Depth=4
	s_and_not1_saveexec_b32 s13, s13
; %bb.1334:                             ;   in Loop: Header=BB6_393 Depth=4
	s_delay_alu instid0(VALU_DEP_1)
	v_bfe_u32 v92, v94, 23, 1
; %bb.1335:                             ;   in Loop: Header=BB6_393 Depth=4
	s_or_b32 exec_lo, exec_lo, s13
	v_lshrrev_b32_e32 v94, 20, v94
	s_delay_alu instid0(VALU_DEP_2) | instskip(SKIP_2) | instid1(VALU_DEP_2)
	v_cmp_gt_i32_e32 vcc_lo, 16, v92
	v_lshrrev_b32_e32 v93, 24, v93
	v_min_i32_e32 v95, 15, v92
	v_dual_cndmask_b32 v94, 7, v94 :: v_dual_and_b32 v93, 0x80, v93
	s_delay_alu instid0(VALU_DEP_1) | instskip(SKIP_1) | instid1(VALU_DEP_2)
	v_or_b32_e32 v92, v92, v94
	v_and_b32_e32 v104, 7, v94
	v_cmp_ne_u32_e32 vcc_lo, 0, v92
	v_lshlrev_b32_e32 v95, 3, v95
	s_delay_alu instid0(VALU_DEP_1) | instskip(NEXT) | instid1(VALU_DEP_1)
	v_or3_b32 v93, v95, v93, v104
	v_cndmask_b32_e32 v92, 0, v93, vcc_lo
.LBB6_1336:                             ;   in Loop: Header=BB6_393 Depth=4
	s_or_b32 exec_lo, exec_lo, s34
.LBB6_1337:                             ;   in Loop: Header=BB6_393 Depth=4
	s_delay_alu instid0(SALU_CYCLE_1) | instskip(SKIP_3) | instid1(VALU_DEP_1)
	s_or_b32 exec_lo, exec_lo, s31
	v_lshrrev_b32_e32 v94, 24, v14
	s_mov_b32 s13, 0
	s_mov_b32 s34, exec_lo
                                        ; implicit-def: $sgpr31
	v_cmpx_lt_i16_e32 0x7f, v94
	s_xor_b32 s34, exec_lo, s34
	s_cbranch_execnz .LBB6_1887
; %bb.1338:                             ;   in Loop: Header=BB6_393 Depth=4
	s_or_saveexec_b32 s34, s34
	v_mov_b32_e32 v93, s31
	s_xor_b32 exec_lo, exec_lo, s34
	s_cbranch_execnz .LBB6_1890
.LBB6_1339:                             ;   in Loop: Header=BB6_393 Depth=4
	s_or_b32 exec_lo, exec_lo, s34
	s_and_saveexec_b32 s31, s13
	s_cbranch_execz .LBB6_1341
.LBB6_1340:                             ;   in Loop: Header=BB6_393 Depth=4
	v_bfe_u32 v93, v14, 24, 3
	s_delay_alu instid0(VALU_DEP_1) | instskip(NEXT) | instid1(VALU_DEP_1)
	v_clz_i32_u32_e32 v95, v93
	v_min_u32_e32 v95, 32, v95
	s_delay_alu instid0(VALU_DEP_1) | instskip(SKIP_1) | instid1(VALU_DEP_2)
	v_subrev_nc_u32_e32 v104, 28, v95
	v_sub_nc_u32_e32 v95, 29, v95
	v_lshlrev_b32_e32 v94, v104, v94
	v_bfe_u32 v104, v14, 27, 4
	v_and_b32_e32 v14, 0x80000000, v14
	s_delay_alu instid0(VALU_DEP_2) | instskip(NEXT) | instid1(VALU_DEP_4)
	v_cmp_eq_u32_e32 vcc_lo, 0, v104
	v_dual_cndmask_b32 v95, v104, v95 :: v_dual_and_b32 v94, 7, v94
	s_delay_alu instid0(VALU_DEP_1) | instskip(NEXT) | instid1(VALU_DEP_2)
	v_cndmask_b32_e32 v93, v93, v94, vcc_lo
	v_lshl_add_u32 v94, v95, 23, 0x3b800000
	s_delay_alu instid0(VALU_DEP_2) | instskip(NEXT) | instid1(VALU_DEP_1)
	v_lshlrev_b32_e32 v93, 20, v93
	v_or3_b32 v93, v14, v94, v93
.LBB6_1341:                             ;   in Loop: Header=BB6_393 Depth=4
	s_or_b32 exec_lo, exec_lo, s31
	v_lshrrev_b32_e32 v14, 24, v10
	s_mov_b32 s13, 0
	s_mov_b32 s34, exec_lo
                                        ; implicit-def: $sgpr31
	s_delay_alu instid0(VALU_DEP_1)
	v_cmpx_lt_i16_e32 0x7f, v14
	s_xor_b32 s34, exec_lo, s34
	s_cbranch_execnz .LBB6_1891
; %bb.1342:                             ;   in Loop: Header=BB6_393 Depth=4
	s_or_saveexec_b32 s34, s34
	v_mov_b32_e32 v94, s31
	s_xor_b32 exec_lo, exec_lo, s34
	s_cbranch_execnz .LBB6_1894
.LBB6_1343:                             ;   in Loop: Header=BB6_393 Depth=4
	s_or_b32 exec_lo, exec_lo, s34
	s_and_saveexec_b32 s31, s13
	s_cbranch_execz .LBB6_1345
.LBB6_1344:                             ;   in Loop: Header=BB6_393 Depth=4
	v_bfe_u32 v94, v10, 24, 3
	s_delay_alu instid0(VALU_DEP_1) | instskip(NEXT) | instid1(VALU_DEP_1)
	v_clz_i32_u32_e32 v95, v94
	v_min_u32_e32 v95, 32, v95
	s_delay_alu instid0(VALU_DEP_1) | instskip(SKIP_1) | instid1(VALU_DEP_2)
	v_subrev_nc_u32_e32 v104, 28, v95
	v_sub_nc_u32_e32 v95, 29, v95
	v_lshlrev_b32_e32 v14, v104, v14
	v_bfe_u32 v104, v10, 27, 4
	v_and_b32_e32 v10, 0x80000000, v10
	s_delay_alu instid0(VALU_DEP_2) | instskip(NEXT) | instid1(VALU_DEP_4)
	v_cmp_eq_u32_e32 vcc_lo, 0, v104
	v_dual_cndmask_b32 v95, v104, v95 :: v_dual_and_b32 v14, 7, v14
	s_delay_alu instid0(VALU_DEP_1) | instskip(NEXT) | instid1(VALU_DEP_2)
	v_cndmask_b32_e32 v14, v94, v14, vcc_lo
	v_lshl_add_u32 v94, v95, 23, 0x3b800000
	s_delay_alu instid0(VALU_DEP_2) | instskip(NEXT) | instid1(VALU_DEP_1)
	v_lshlrev_b32_e32 v14, 20, v14
	v_or3_b32 v94, v10, v94, v14
.LBB6_1345:                             ;   in Loop: Header=BB6_393 Depth=4
	s_or_b32 exec_lo, exec_lo, s31
	s_delay_alu instid0(VALU_DEP_1) | instskip(NEXT) | instid1(VALU_DEP_1)
	v_add_f32_e32 v14, v93, v94
	v_and_b32_e32 v10, 0x7f800000, v14
	s_delay_alu instid0(VALU_DEP_1)
	v_cmp_ne_u32_e32 vcc_lo, 0x7f800000, v10
	v_mov_b32_e32 v10, 0x80
	s_and_saveexec_b32 s31, vcc_lo
	s_cbranch_execz .LBB6_1353
; %bb.1346:                             ;   in Loop: Header=BB6_393 Depth=4
	v_mov_b32_e32 v10, 0
	s_mov_b32 s34, exec_lo
	v_cmpx_ne_u32_e32 0, v14
	s_cbranch_execz .LBB6_1352
; %bb.1347:                             ;   in Loop: Header=BB6_393 Depth=4
	v_bfe_u32 v10, v14, 23, 8
	v_and_b32_e32 v93, 0x7fffff, v14
	s_delay_alu instid0(VALU_DEP_2) | instskip(SKIP_1) | instid1(VALU_DEP_3)
	v_sub_nc_u32_e32 v94, 0x78, v10
	v_cmp_gt_u32_e32 vcc_lo, 0x79, v10
	v_or_b32_e32 v95, 0x800000, v93
	s_delay_alu instid0(VALU_DEP_3) | instskip(SKIP_1) | instid1(VALU_DEP_3)
	v_cndmask_b32_e32 v94, 0, v94, vcc_lo
	v_cmp_eq_u32_e32 vcc_lo, 0, v10
	v_dual_cndmask_b32 v93, v95, v93 :: v_dual_add_nc_u32 v10, 0xffffff89, v10
	s_delay_alu instid0(VALU_DEP_3) | instskip(NEXT) | instid1(VALU_DEP_2)
	v_cndmask_b32_e64 v94, v94, 0x77, vcc_lo
	v_cndmask_b32_e64 v10, v10, 0xffffff8a, vcc_lo
	s_delay_alu instid0(VALU_DEP_2) | instskip(SKIP_2) | instid1(VALU_DEP_4)
	v_lshrrev_b32_e32 v104, v94, v93
	v_lshl_add_u32 v95, 0x100000, v94, -1
	v_lshlrev_b32_e64 v106, v94, 0x80000
	v_add_nc_u32_e32 v94, v94, v10
	s_delay_alu instid0(VALU_DEP_4) | instskip(NEXT) | instid1(VALU_DEP_4)
	v_bfe_u32 v105, v104, 20, 1
	v_and_b32_e32 v93, v95, v93
	s_delay_alu instid0(VALU_DEP_2) | instskip(NEXT) | instid1(VALU_DEP_2)
	v_add_nc_u32_e32 v95, -1, v105
	v_cmp_eq_u32_e64 s13, v93, v106
	s_delay_alu instid0(VALU_DEP_1) | instskip(SKIP_2) | instid1(VALU_DEP_2)
	v_cndmask_b32_e64 v93, 0, v95, s13
	v_lshrrev_b32_e32 v95, 23, v104
	s_mov_b32 s13, exec_lo
	v_add_nc_u32_e32 v93, v93, v104
	s_delay_alu instid0(VALU_DEP_2) | instskip(NEXT) | instid1(VALU_DEP_2)
	v_xor_b32_e32 v95, 1, v95
	v_and_b32_e32 v10, 0xfffff, v93
	s_delay_alu instid0(VALU_DEP_1) | instskip(NEXT) | instid1(VALU_DEP_3)
	v_add_nc_u32_e32 v93, v10, v104
                                        ; implicit-def: $vgpr10
	v_cmpx_ne_u32_e64 v94, v95
	s_xor_b32 s13, exec_lo, s13
; %bb.1348:                             ;   in Loop: Header=BB6_393 Depth=4
	s_delay_alu instid0(VALU_DEP_2) | instskip(SKIP_2) | instid1(VALU_DEP_2)
	v_cmp_lt_u32_e32 vcc_lo, 0xffffff, v93
	v_sub_nc_u32_e32 v10, v94, v95
	v_cndmask_b32_e64 v94, 0, 1, vcc_lo
	v_add_co_ci_u32_e32 v10, vcc_lo, 0, v10, vcc_lo
	s_delay_alu instid0(VALU_DEP_2)
	v_lshrrev_b32_e32 v93, v94, v93
; %bb.1349:                             ;   in Loop: Header=BB6_393 Depth=4
	s_and_not1_saveexec_b32 s13, s13
; %bb.1350:                             ;   in Loop: Header=BB6_393 Depth=4
	s_delay_alu instid0(VALU_DEP_1)
	v_bfe_u32 v10, v93, 23, 1
; %bb.1351:                             ;   in Loop: Header=BB6_393 Depth=4
	s_or_b32 exec_lo, exec_lo, s13
	v_lshrrev_b32_e32 v93, 20, v93
	s_delay_alu instid0(VALU_DEP_2) | instskip(SKIP_2) | instid1(VALU_DEP_2)
	v_cmp_gt_i32_e32 vcc_lo, 16, v10
	v_lshrrev_b32_e32 v14, 24, v14
	v_min_i32_e32 v94, 15, v10
	v_dual_cndmask_b32 v93, 7, v93 :: v_dual_and_b32 v14, 0x80, v14
	s_delay_alu instid0(VALU_DEP_2) | instskip(NEXT) | instid1(VALU_DEP_2)
	v_lshlrev_b32_e32 v94, 3, v94
	v_or_b32_e32 v10, v10, v93
	s_delay_alu instid0(VALU_DEP_1) | instskip(SKIP_1) | instid1(VALU_DEP_1)
	v_cmp_ne_u32_e32 vcc_lo, 0, v10
	v_and_b32_e32 v95, 7, v93
	v_or3_b32 v14, v94, v14, v95
	s_delay_alu instid0(VALU_DEP_1)
	v_cndmask_b32_e32 v10, 0, v14, vcc_lo
.LBB6_1352:                             ;   in Loop: Header=BB6_393 Depth=4
	s_or_b32 exec_lo, exec_lo, s34
.LBB6_1353:                             ;   in Loop: Header=BB6_393 Depth=4
	s_delay_alu instid0(SALU_CYCLE_1) | instskip(SKIP_3) | instid1(VALU_DEP_1)
	s_or_b32 exec_lo, exec_lo, s31
	v_and_b32_e32 v93, 0xff, v15
	s_mov_b32 s13, 0
	s_mov_b32 s34, exec_lo
                                        ; implicit-def: $sgpr31
	v_cmpx_lt_i16_e32 0x7f, v93
	s_xor_b32 s34, exec_lo, s34
	s_cbranch_execnz .LBB6_1895
; %bb.1354:                             ;   in Loop: Header=BB6_393 Depth=4
	s_or_saveexec_b32 s34, s34
	v_mov_b32_e32 v14, s31
	s_xor_b32 exec_lo, exec_lo, s34
	s_cbranch_execnz .LBB6_1898
.LBB6_1355:                             ;   in Loop: Header=BB6_393 Depth=4
	s_or_b32 exec_lo, exec_lo, s34
	s_and_saveexec_b32 s31, s13
	s_cbranch_execz .LBB6_1357
.LBB6_1356:                             ;   in Loop: Header=BB6_393 Depth=4
	v_bfe_u32 v95, v15, 3, 4
	v_lshlrev_b32_e32 v104, 24, v15
	s_delay_alu instid0(VALU_DEP_2) | instskip(SKIP_1) | instid1(VALU_DEP_1)
	v_cmp_eq_u32_e32 vcc_lo, 0, v95
	v_and_b32_e32 v14, 7, v15
	v_clz_i32_u32_e32 v93, v14
	s_delay_alu instid0(VALU_DEP_1) | instskip(NEXT) | instid1(VALU_DEP_1)
	v_min_u32_e32 v93, 32, v93
	v_subrev_nc_u32_e32 v94, 28, v93
	v_sub_nc_u32_e32 v93, 29, v93
	s_delay_alu instid0(VALU_DEP_1) | instskip(NEXT) | instid1(VALU_DEP_1)
	v_dual_cndmask_b32 v93, v95, v93 :: v_dual_lshlrev_b32 v94, v94, v15
	v_and_b32_e32 v94, 7, v94
	s_delay_alu instid0(VALU_DEP_2) | instskip(NEXT) | instid1(VALU_DEP_2)
	v_lshl_add_u32 v93, v93, 23, 0x3b800000
	v_cndmask_b32_e32 v14, v14, v94, vcc_lo
	v_and_b32_e32 v94, 0x80000000, v104
	s_delay_alu instid0(VALU_DEP_2) | instskip(NEXT) | instid1(VALU_DEP_1)
	v_lshlrev_b32_e32 v14, 20, v14
	v_or3_b32 v14, v94, v93, v14
.LBB6_1357:                             ;   in Loop: Header=BB6_393 Depth=4
	s_or_b32 exec_lo, exec_lo, s31
	v_and_b32_e32 v94, 0xff, v11
	s_mov_b32 s13, 0
	s_mov_b32 s34, exec_lo
                                        ; implicit-def: $sgpr31
	s_delay_alu instid0(VALU_DEP_1)
	v_cmpx_lt_i16_e32 0x7f, v94
	s_xor_b32 s34, exec_lo, s34
	s_cbranch_execnz .LBB6_1899
; %bb.1358:                             ;   in Loop: Header=BB6_393 Depth=4
	s_or_saveexec_b32 s34, s34
	v_mov_b32_e32 v93, s31
	s_xor_b32 exec_lo, exec_lo, s34
	s_cbranch_execnz .LBB6_1902
.LBB6_1359:                             ;   in Loop: Header=BB6_393 Depth=4
	s_or_b32 exec_lo, exec_lo, s34
	s_and_saveexec_b32 s31, s13
	s_cbranch_execz .LBB6_1361
.LBB6_1360:                             ;   in Loop: Header=BB6_393 Depth=4
	v_bfe_u32 v104, v11, 3, 4
	v_lshlrev_b32_e32 v105, 24, v11
	s_delay_alu instid0(VALU_DEP_2) | instskip(SKIP_1) | instid1(VALU_DEP_1)
	v_cmp_eq_u32_e32 vcc_lo, 0, v104
	v_and_b32_e32 v93, 7, v11
	v_clz_i32_u32_e32 v94, v93
	s_delay_alu instid0(VALU_DEP_1) | instskip(NEXT) | instid1(VALU_DEP_1)
	v_min_u32_e32 v94, 32, v94
	v_subrev_nc_u32_e32 v95, 28, v94
	v_sub_nc_u32_e32 v94, 29, v94
	s_delay_alu instid0(VALU_DEP_1) | instskip(NEXT) | instid1(VALU_DEP_1)
	v_dual_cndmask_b32 v94, v104, v94 :: v_dual_lshlrev_b32 v95, v95, v11
	v_and_b32_e32 v95, 7, v95
	s_delay_alu instid0(VALU_DEP_2) | instskip(NEXT) | instid1(VALU_DEP_2)
	v_lshl_add_u32 v94, v94, 23, 0x3b800000
	v_cndmask_b32_e32 v93, v93, v95, vcc_lo
	v_and_b32_e32 v95, 0x80000000, v105
	s_delay_alu instid0(VALU_DEP_2) | instskip(NEXT) | instid1(VALU_DEP_1)
	v_lshlrev_b32_e32 v93, 20, v93
	v_or3_b32 v93, v95, v94, v93
.LBB6_1361:                             ;   in Loop: Header=BB6_393 Depth=4
	s_or_b32 exec_lo, exec_lo, s31
	s_delay_alu instid0(VALU_DEP_1) | instskip(NEXT) | instid1(VALU_DEP_1)
	v_add_f32_e32 v93, v14, v93
	v_and_b32_e32 v14, 0x7f800000, v93
	s_delay_alu instid0(VALU_DEP_1)
	v_cmp_ne_u32_e32 vcc_lo, 0x7f800000, v14
	v_mov_b32_e32 v14, 0x80
	s_and_saveexec_b32 s31, vcc_lo
	s_cbranch_execz .LBB6_1369
; %bb.1362:                             ;   in Loop: Header=BB6_393 Depth=4
	v_mov_b32_e32 v14, 0
	s_mov_b32 s34, exec_lo
	v_cmpx_ne_u32_e32 0, v93
	s_cbranch_execz .LBB6_1368
; %bb.1363:                             ;   in Loop: Header=BB6_393 Depth=4
	v_bfe_u32 v14, v93, 23, 8
	s_delay_alu instid0(VALU_DEP_1) | instskip(SKIP_1) | instid1(VALU_DEP_2)
	v_sub_nc_u32_e32 v95, 0x78, v14
	v_cmp_gt_u32_e32 vcc_lo, 0x79, v14
	v_dual_cndmask_b32 v95, 0, v95 :: v_dual_and_b32 v94, 0x7fffff, v93
	s_delay_alu instid0(VALU_DEP_1) | instskip(SKIP_2) | instid1(VALU_DEP_4)
	v_or_b32_e32 v104, 0x800000, v94
	v_cmp_eq_u32_e32 vcc_lo, 0, v14
	v_add_nc_u32_e32 v14, 0xffffff89, v14
	v_cndmask_b32_e64 v95, v95, 0x77, vcc_lo
	s_delay_alu instid0(VALU_DEP_4) | instskip(NEXT) | instid1(VALU_DEP_3)
	v_cndmask_b32_e32 v94, v104, v94, vcc_lo
	v_cndmask_b32_e64 v14, v14, 0xffffff8a, vcc_lo
	s_delay_alu instid0(VALU_DEP_3) | instskip(NEXT) | instid1(VALU_DEP_3)
	v_lshl_add_u32 v104, 0x100000, v95, -1
	v_lshrrev_b32_e32 v105, v95, v94
	v_lshlrev_b32_e64 v107, v95, 0x80000
	s_delay_alu instid0(VALU_DEP_4) | instskip(NEXT) | instid1(VALU_DEP_4)
	v_add_nc_u32_e32 v95, v95, v14
	v_and_b32_e32 v94, v104, v94
	s_delay_alu instid0(VALU_DEP_4) | instskip(NEXT) | instid1(VALU_DEP_2)
	v_bfe_u32 v106, v105, 20, 1
	v_cmp_eq_u32_e64 s13, v94, v107
	s_delay_alu instid0(VALU_DEP_2) | instskip(NEXT) | instid1(VALU_DEP_1)
	v_add_nc_u32_e32 v104, -1, v106
	v_cndmask_b32_e64 v94, 0, v104, s13
	v_lshrrev_b32_e32 v104, 23, v105
	s_mov_b32 s13, exec_lo
	s_delay_alu instid0(VALU_DEP_2) | instskip(NEXT) | instid1(VALU_DEP_2)
	v_add_nc_u32_e32 v94, v94, v105
	v_xor_b32_e32 v104, 1, v104
	s_delay_alu instid0(VALU_DEP_2) | instskip(NEXT) | instid1(VALU_DEP_1)
	v_and_b32_e32 v14, 0xfffff, v94
	v_add_nc_u32_e32 v94, v14, v105
                                        ; implicit-def: $vgpr14
	s_delay_alu instid0(VALU_DEP_3)
	v_cmpx_ne_u32_e64 v95, v104
	s_xor_b32 s13, exec_lo, s13
; %bb.1364:                             ;   in Loop: Header=BB6_393 Depth=4
	s_delay_alu instid0(VALU_DEP_2) | instskip(SKIP_2) | instid1(VALU_DEP_2)
	v_cmp_lt_u32_e32 vcc_lo, 0xffffff, v94
	v_sub_nc_u32_e32 v14, v95, v104
	v_cndmask_b32_e64 v95, 0, 1, vcc_lo
	v_add_co_ci_u32_e32 v14, vcc_lo, 0, v14, vcc_lo
	s_delay_alu instid0(VALU_DEP_2)
	v_lshrrev_b32_e32 v94, v95, v94
; %bb.1365:                             ;   in Loop: Header=BB6_393 Depth=4
	s_and_not1_saveexec_b32 s13, s13
; %bb.1366:                             ;   in Loop: Header=BB6_393 Depth=4
	s_delay_alu instid0(VALU_DEP_1)
	v_bfe_u32 v14, v94, 23, 1
; %bb.1367:                             ;   in Loop: Header=BB6_393 Depth=4
	s_or_b32 exec_lo, exec_lo, s13
	v_lshrrev_b32_e32 v94, 20, v94
	s_delay_alu instid0(VALU_DEP_2) | instskip(SKIP_2) | instid1(VALU_DEP_2)
	v_cmp_gt_i32_e32 vcc_lo, 16, v14
	v_lshrrev_b32_e32 v93, 24, v93
	v_min_i32_e32 v95, 15, v14
	v_dual_cndmask_b32 v94, 7, v94 :: v_dual_and_b32 v93, 0x80, v93
	s_delay_alu instid0(VALU_DEP_1) | instskip(SKIP_1) | instid1(VALU_DEP_2)
	v_or_b32_e32 v14, v14, v94
	v_and_b32_e32 v104, 7, v94
	v_cmp_ne_u32_e32 vcc_lo, 0, v14
	v_lshlrev_b32_e32 v95, 3, v95
	s_delay_alu instid0(VALU_DEP_1) | instskip(NEXT) | instid1(VALU_DEP_1)
	v_or3_b32 v93, v95, v93, v104
	v_cndmask_b32_e32 v14, 0, v93, vcc_lo
.LBB6_1368:                             ;   in Loop: Header=BB6_393 Depth=4
	s_or_b32 exec_lo, exec_lo, s34
.LBB6_1369:                             ;   in Loop: Header=BB6_393 Depth=4
	s_delay_alu instid0(SALU_CYCLE_1) | instskip(SKIP_3) | instid1(VALU_DEP_1)
	s_or_b32 exec_lo, exec_lo, s31
	v_lshrrev_b16 v94, 8, v15
	s_mov_b32 s13, 0
	s_mov_b32 s34, exec_lo
                                        ; implicit-def: $sgpr31
	v_cmpx_lt_i16_e32 0x7f, v94
	s_xor_b32 s34, exec_lo, s34
	s_cbranch_execnz .LBB6_1903
; %bb.1370:                             ;   in Loop: Header=BB6_393 Depth=4
	s_or_saveexec_b32 s34, s34
	v_mov_b32_e32 v93, s31
	s_xor_b32 exec_lo, exec_lo, s34
	s_cbranch_execnz .LBB6_1906
.LBB6_1371:                             ;   in Loop: Header=BB6_393 Depth=4
	s_or_b32 exec_lo, exec_lo, s34
	s_and_saveexec_b32 s31, s13
	s_cbranch_execz .LBB6_1373
.LBB6_1372:                             ;   in Loop: Header=BB6_393 Depth=4
	v_and_b32_e32 v93, 0xffff, v94
	s_delay_alu instid0(VALU_DEP_1) | instskip(NEXT) | instid1(VALU_DEP_1)
	v_and_b32_e32 v95, 7, v93
	v_clz_i32_u32_e32 v104, v95
	s_delay_alu instid0(VALU_DEP_1) | instskip(NEXT) | instid1(VALU_DEP_1)
	v_min_u32_e32 v104, 32, v104
	v_subrev_nc_u32_e32 v105, 28, v104
	v_sub_nc_u32_e32 v104, 29, v104
	s_delay_alu instid0(VALU_DEP_2) | instskip(SKIP_1) | instid1(VALU_DEP_2)
	v_lshlrev_b32_e32 v105, v105, v93
	v_bfe_u32 v93, v93, 3, 4
	v_and_b32_e32 v105, 7, v105
	s_delay_alu instid0(VALU_DEP_2) | instskip(SKIP_1) | instid1(VALU_DEP_1)
	v_cmp_eq_u32_e32 vcc_lo, 0, v93
	v_dual_cndmask_b32 v93, v93, v104 :: v_dual_lshlrev_b32 v94, 24, v94
	v_dual_cndmask_b32 v95, v95, v105 :: v_dual_and_b32 v94, 0x80000000, v94
	s_delay_alu instid0(VALU_DEP_2) | instskip(NEXT) | instid1(VALU_DEP_2)
	v_lshl_add_u32 v93, v93, 23, 0x3b800000
	v_lshlrev_b32_e32 v95, 20, v95
	s_delay_alu instid0(VALU_DEP_1)
	v_or3_b32 v93, v94, v93, v95
.LBB6_1373:                             ;   in Loop: Header=BB6_393 Depth=4
	s_or_b32 exec_lo, exec_lo, s31
	v_lshrrev_b16 v94, 8, v11
	s_mov_b32 s13, 0
	s_mov_b32 s34, exec_lo
                                        ; implicit-def: $sgpr31
	s_delay_alu instid0(VALU_DEP_1)
	v_cmpx_lt_i16_e32 0x7f, v94
	s_xor_b32 s34, exec_lo, s34
	s_cbranch_execnz .LBB6_1907
; %bb.1374:                             ;   in Loop: Header=BB6_393 Depth=4
	s_or_saveexec_b32 s34, s34
	v_mov_b32_e32 v95, s31
	s_xor_b32 exec_lo, exec_lo, s34
	s_cbranch_execnz .LBB6_1910
.LBB6_1375:                             ;   in Loop: Header=BB6_393 Depth=4
	s_or_b32 exec_lo, exec_lo, s34
	s_and_saveexec_b32 s31, s13
	s_cbranch_execz .LBB6_1377
.LBB6_1376:                             ;   in Loop: Header=BB6_393 Depth=4
	v_and_b32_e32 v95, 0xffff, v94
	v_lshlrev_b32_e32 v94, 24, v94
	s_delay_alu instid0(VALU_DEP_2) | instskip(NEXT) | instid1(VALU_DEP_2)
	v_and_b32_e32 v104, 7, v95
	v_and_b32_e32 v94, 0x80000000, v94
	s_delay_alu instid0(VALU_DEP_2) | instskip(NEXT) | instid1(VALU_DEP_1)
	v_clz_i32_u32_e32 v105, v104
	v_min_u32_e32 v105, 32, v105
	s_delay_alu instid0(VALU_DEP_1) | instskip(SKIP_1) | instid1(VALU_DEP_2)
	v_subrev_nc_u32_e32 v106, 28, v105
	v_sub_nc_u32_e32 v105, 29, v105
	v_lshlrev_b32_e32 v106, v106, v95
	v_bfe_u32 v95, v95, 3, 4
	s_delay_alu instid0(VALU_DEP_2) | instskip(NEXT) | instid1(VALU_DEP_2)
	v_and_b32_e32 v106, 7, v106
	v_cmp_eq_u32_e32 vcc_lo, 0, v95
	s_delay_alu instid0(VALU_DEP_2) | instskip(NEXT) | instid1(VALU_DEP_1)
	v_dual_cndmask_b32 v95, v95, v105 :: v_dual_cndmask_b32 v104, v104, v106
	v_lshl_add_u32 v95, v95, 23, 0x3b800000
	s_delay_alu instid0(VALU_DEP_2) | instskip(NEXT) | instid1(VALU_DEP_1)
	v_lshlrev_b32_e32 v104, 20, v104
	v_or3_b32 v95, v94, v95, v104
.LBB6_1377:                             ;   in Loop: Header=BB6_393 Depth=4
	s_or_b32 exec_lo, exec_lo, s31
	s_delay_alu instid0(VALU_DEP_1) | instskip(NEXT) | instid1(VALU_DEP_1)
	v_add_f32_e32 v94, v93, v95
	v_and_b32_e32 v93, 0x7f800000, v94
	s_delay_alu instid0(VALU_DEP_1)
	v_cmp_ne_u32_e32 vcc_lo, 0x7f800000, v93
	v_mov_b32_e32 v93, 0x8000
	s_and_saveexec_b32 s31, vcc_lo
	s_cbranch_execz .LBB6_1385
; %bb.1378:                             ;   in Loop: Header=BB6_393 Depth=4
	v_mov_b32_e32 v93, 0
	s_mov_b32 s34, exec_lo
	v_cmpx_ne_u32_e32 0, v94
	s_cbranch_execz .LBB6_1384
; %bb.1379:                             ;   in Loop: Header=BB6_393 Depth=4
	v_bfe_u32 v93, v94, 23, 8
	s_delay_alu instid0(VALU_DEP_1) | instskip(SKIP_1) | instid1(VALU_DEP_2)
	v_sub_nc_u32_e32 v104, 0x78, v93
	v_cmp_gt_u32_e32 vcc_lo, 0x79, v93
	v_dual_cndmask_b32 v104, 0, v104 :: v_dual_and_b32 v95, 0x7fffff, v94
	s_delay_alu instid0(VALU_DEP_1) | instskip(SKIP_2) | instid1(VALU_DEP_4)
	v_or_b32_e32 v105, 0x800000, v95
	v_cmp_eq_u32_e32 vcc_lo, 0, v93
	v_add_nc_u32_e32 v93, 0xffffff89, v93
	v_cndmask_b32_e64 v104, v104, 0x77, vcc_lo
	s_delay_alu instid0(VALU_DEP_2) | instskip(SKIP_1) | instid1(VALU_DEP_3)
	v_cndmask_b32_e64 v93, v93, 0xffffff8a, vcc_lo
	v_cndmask_b32_e32 v95, v105, v95, vcc_lo
	v_lshl_add_u32 v105, 0x100000, v104, -1
	v_lshlrev_b32_e64 v108, v104, 0x80000
	s_delay_alu instid0(VALU_DEP_3) | instskip(SKIP_1) | instid1(VALU_DEP_4)
	v_lshrrev_b32_e32 v106, v104, v95
	v_add_nc_u32_e32 v104, v104, v93
	v_and_b32_e32 v95, v105, v95
	s_delay_alu instid0(VALU_DEP_3) | instskip(NEXT) | instid1(VALU_DEP_2)
	v_bfe_u32 v107, v106, 20, 1
	v_cmp_eq_u32_e64 s13, v95, v108
	s_delay_alu instid0(VALU_DEP_2) | instskip(NEXT) | instid1(VALU_DEP_1)
	v_add_nc_u32_e32 v105, -1, v107
	v_cndmask_b32_e64 v95, 0, v105, s13
	v_lshrrev_b32_e32 v105, 23, v106
	s_mov_b32 s13, exec_lo
	s_delay_alu instid0(VALU_DEP_2) | instskip(NEXT) | instid1(VALU_DEP_2)
	v_add_nc_u32_e32 v95, v95, v106
	v_xor_b32_e32 v105, 1, v105
	s_delay_alu instid0(VALU_DEP_2) | instskip(NEXT) | instid1(VALU_DEP_1)
	v_and_b32_e32 v93, 0xfffff, v95
	v_add_nc_u32_e32 v95, v93, v106
                                        ; implicit-def: $vgpr93
	s_delay_alu instid0(VALU_DEP_3)
	v_cmpx_ne_u32_e64 v104, v105
	s_xor_b32 s13, exec_lo, s13
; %bb.1380:                             ;   in Loop: Header=BB6_393 Depth=4
	s_delay_alu instid0(VALU_DEP_2) | instskip(SKIP_2) | instid1(VALU_DEP_2)
	v_cmp_lt_u32_e32 vcc_lo, 0xffffff, v95
	v_sub_nc_u32_e32 v93, v104, v105
	v_cndmask_b32_e64 v104, 0, 1, vcc_lo
	v_add_co_ci_u32_e32 v93, vcc_lo, 0, v93, vcc_lo
	s_delay_alu instid0(VALU_DEP_2)
	v_lshrrev_b32_e32 v95, v104, v95
; %bb.1381:                             ;   in Loop: Header=BB6_393 Depth=4
	s_and_not1_saveexec_b32 s13, s13
; %bb.1382:                             ;   in Loop: Header=BB6_393 Depth=4
	s_delay_alu instid0(VALU_DEP_1)
	v_bfe_u32 v93, v95, 23, 1
; %bb.1383:                             ;   in Loop: Header=BB6_393 Depth=4
	s_or_b32 exec_lo, exec_lo, s13
	v_lshrrev_b32_e32 v95, 20, v95
	s_delay_alu instid0(VALU_DEP_2) | instskip(SKIP_2) | instid1(VALU_DEP_2)
	v_cmp_gt_i32_e32 vcc_lo, 16, v93
	v_min_i32_e32 v104, 15, v93
	v_lshrrev_b32_e32 v94, 24, v94
	v_dual_cndmask_b32 v95, 7, v95 :: v_dual_lshlrev_b32 v104, 3, v104
	s_delay_alu instid0(VALU_DEP_2) | instskip(NEXT) | instid1(VALU_DEP_2)
	v_and_b32_e32 v94, 0x80, v94
	v_or_b32_e32 v93, v93, v95
	v_and_b32_e32 v105, 7, v95
	s_delay_alu instid0(VALU_DEP_2) | instskip(SKIP_1) | instid1(VALU_DEP_1)
	v_cmp_ne_u32_e32 vcc_lo, 0, v93
	v_and_b32_e32 v104, 0xf8, v104
	v_or3_b32 v94, v94, v104, v105
	s_delay_alu instid0(VALU_DEP_1) | instskip(NEXT) | instid1(VALU_DEP_1)
	v_lshlrev_b32_e32 v94, 8, v94
	v_cndmask_b32_e32 v93, 0, v94, vcc_lo
.LBB6_1384:                             ;   in Loop: Header=BB6_393 Depth=4
	s_or_b32 exec_lo, exec_lo, s34
.LBB6_1385:                             ;   in Loop: Header=BB6_393 Depth=4
	s_delay_alu instid0(SALU_CYCLE_1) | instskip(SKIP_3) | instid1(VALU_DEP_1)
	s_or_b32 exec_lo, exec_lo, s31
	v_lshrrev_b32_e32 v95, 16, v15
	s_mov_b32 s13, 0
	s_mov_b32 s34, exec_lo
                                        ; implicit-def: $sgpr31
	v_and_b32_e32 v104, 0xff, v95
	s_delay_alu instid0(VALU_DEP_1)
	v_cmpx_lt_i16_e32 0x7f, v104
	s_xor_b32 s34, exec_lo, s34
	s_cbranch_execnz .LBB6_1911
; %bb.1386:                             ;   in Loop: Header=BB6_393 Depth=4
	s_or_saveexec_b32 s34, s34
	v_mov_b32_e32 v94, s31
	s_xor_b32 exec_lo, exec_lo, s34
	s_cbranch_execnz .LBB6_1914
.LBB6_1387:                             ;   in Loop: Header=BB6_393 Depth=4
	s_or_b32 exec_lo, exec_lo, s34
	s_and_saveexec_b32 s31, s13
	s_cbranch_execz .LBB6_1389
.LBB6_1388:                             ;   in Loop: Header=BB6_393 Depth=4
	v_bfe_u32 v94, v15, 16, 3
	v_lshlrev_b32_e32 v106, 8, v15
	s_delay_alu instid0(VALU_DEP_2) | instskip(NEXT) | instid1(VALU_DEP_1)
	v_clz_i32_u32_e32 v104, v94
	v_min_u32_e32 v104, 32, v104
	s_delay_alu instid0(VALU_DEP_1) | instskip(SKIP_1) | instid1(VALU_DEP_2)
	v_subrev_nc_u32_e32 v105, 28, v104
	v_sub_nc_u32_e32 v104, 29, v104
	v_lshlrev_b32_e32 v95, v105, v95
	v_bfe_u32 v105, v15, 19, 4
	s_delay_alu instid0(VALU_DEP_1) | instskip(NEXT) | instid1(VALU_DEP_3)
	v_cmp_eq_u32_e32 vcc_lo, 0, v105
	v_dual_cndmask_b32 v104, v105, v104 :: v_dual_and_b32 v95, 7, v95
	s_delay_alu instid0(VALU_DEP_1) | instskip(NEXT) | instid1(VALU_DEP_2)
	v_dual_cndmask_b32 v94, v94, v95 :: v_dual_and_b32 v95, 0x80000000, v106
	v_lshl_add_u32 v104, v104, 23, 0x3b800000
	s_delay_alu instid0(VALU_DEP_2) | instskip(NEXT) | instid1(VALU_DEP_1)
	v_lshlrev_b32_e32 v94, 20, v94
	v_or3_b32 v94, v95, v104, v94
.LBB6_1389:                             ;   in Loop: Header=BB6_393 Depth=4
	s_or_b32 exec_lo, exec_lo, s31
	v_lshrrev_b32_e32 v95, 16, v11
	s_mov_b32 s13, 0
	s_mov_b32 s34, exec_lo
                                        ; implicit-def: $sgpr31
	s_delay_alu instid0(VALU_DEP_1) | instskip(NEXT) | instid1(VALU_DEP_1)
	v_and_b32_e32 v105, 0xff, v95
	v_cmpx_lt_i16_e32 0x7f, v105
	s_xor_b32 s34, exec_lo, s34
	s_cbranch_execnz .LBB6_1915
; %bb.1390:                             ;   in Loop: Header=BB6_393 Depth=4
	s_or_saveexec_b32 s34, s34
	v_mov_b32_e32 v104, s31
	s_xor_b32 exec_lo, exec_lo, s34
	s_cbranch_execnz .LBB6_1918
.LBB6_1391:                             ;   in Loop: Header=BB6_393 Depth=4
	s_or_b32 exec_lo, exec_lo, s34
	s_and_saveexec_b32 s31, s13
	s_cbranch_execz .LBB6_1393
.LBB6_1392:                             ;   in Loop: Header=BB6_393 Depth=4
	v_bfe_u32 v104, v11, 16, 3
	v_lshlrev_b32_e32 v107, 8, v11
	s_delay_alu instid0(VALU_DEP_2) | instskip(NEXT) | instid1(VALU_DEP_1)
	v_clz_i32_u32_e32 v105, v104
	v_min_u32_e32 v105, 32, v105
	s_delay_alu instid0(VALU_DEP_1) | instskip(SKIP_1) | instid1(VALU_DEP_2)
	v_subrev_nc_u32_e32 v106, 28, v105
	v_sub_nc_u32_e32 v105, 29, v105
	v_lshlrev_b32_e32 v95, v106, v95
	v_bfe_u32 v106, v11, 19, 4
	s_delay_alu instid0(VALU_DEP_2) | instskip(NEXT) | instid1(VALU_DEP_2)
	v_and_b32_e32 v95, 7, v95
	v_cmp_eq_u32_e32 vcc_lo, 0, v106
	v_cndmask_b32_e32 v105, v106, v105, vcc_lo
	s_delay_alu instid0(VALU_DEP_3) | instskip(SKIP_1) | instid1(VALU_DEP_3)
	v_cndmask_b32_e32 v95, v104, v95, vcc_lo
	v_and_b32_e32 v104, 0x80000000, v107
	v_lshl_add_u32 v105, v105, 23, 0x3b800000
	s_delay_alu instid0(VALU_DEP_3) | instskip(NEXT) | instid1(VALU_DEP_1)
	v_lshlrev_b32_e32 v95, 20, v95
	v_or3_b32 v104, v104, v105, v95
.LBB6_1393:                             ;   in Loop: Header=BB6_393 Depth=4
	s_or_b32 exec_lo, exec_lo, s31
	s_delay_alu instid0(VALU_DEP_1) | instskip(NEXT) | instid1(VALU_DEP_1)
	v_add_f32_e32 v95, v94, v104
	v_and_b32_e32 v94, 0x7f800000, v95
	s_delay_alu instid0(VALU_DEP_1)
	v_cmp_ne_u32_e32 vcc_lo, 0x7f800000, v94
	v_mov_b32_e32 v94, 0x80
	s_and_saveexec_b32 s31, vcc_lo
	s_cbranch_execz .LBB6_1401
; %bb.1394:                             ;   in Loop: Header=BB6_393 Depth=4
	v_mov_b32_e32 v94, 0
	s_mov_b32 s34, exec_lo
	v_cmpx_ne_u32_e32 0, v95
	s_cbranch_execz .LBB6_1400
; %bb.1395:                             ;   in Loop: Header=BB6_393 Depth=4
	v_bfe_u32 v94, v95, 23, 8
	s_delay_alu instid0(VALU_DEP_1) | instskip(SKIP_1) | instid1(VALU_DEP_2)
	v_sub_nc_u32_e32 v105, 0x78, v94
	v_cmp_gt_u32_e32 vcc_lo, 0x79, v94
	v_dual_cndmask_b32 v105, 0, v105 :: v_dual_and_b32 v104, 0x7fffff, v95
	s_delay_alu instid0(VALU_DEP_1) | instskip(SKIP_2) | instid1(VALU_DEP_4)
	v_or_b32_e32 v106, 0x800000, v104
	v_cmp_eq_u32_e32 vcc_lo, 0, v94
	v_add_nc_u32_e32 v94, 0xffffff89, v94
	v_cndmask_b32_e64 v105, v105, 0x77, vcc_lo
	s_delay_alu instid0(VALU_DEP_2) | instskip(SKIP_1) | instid1(VALU_DEP_3)
	v_cndmask_b32_e64 v94, v94, 0xffffff8a, vcc_lo
	v_cndmask_b32_e32 v104, v106, v104, vcc_lo
	v_lshl_add_u32 v106, 0x100000, v105, -1
	v_lshlrev_b32_e64 v109, v105, 0x80000
	s_delay_alu instid0(VALU_DEP_3) | instskip(SKIP_1) | instid1(VALU_DEP_4)
	v_lshrrev_b32_e32 v107, v105, v104
	v_add_nc_u32_e32 v105, v105, v94
	v_and_b32_e32 v104, v106, v104
	s_delay_alu instid0(VALU_DEP_3) | instskip(NEXT) | instid1(VALU_DEP_2)
	v_bfe_u32 v108, v107, 20, 1
	v_cmp_eq_u32_e64 s13, v104, v109
	s_delay_alu instid0(VALU_DEP_2) | instskip(NEXT) | instid1(VALU_DEP_1)
	v_add_nc_u32_e32 v106, -1, v108
	v_cndmask_b32_e64 v104, 0, v106, s13
	v_lshrrev_b32_e32 v106, 23, v107
	s_mov_b32 s13, exec_lo
	s_delay_alu instid0(VALU_DEP_2) | instskip(NEXT) | instid1(VALU_DEP_2)
	v_add_nc_u32_e32 v104, v104, v107
	v_xor_b32_e32 v106, 1, v106
	s_delay_alu instid0(VALU_DEP_2) | instskip(NEXT) | instid1(VALU_DEP_1)
	v_and_b32_e32 v94, 0xfffff, v104
	v_add_nc_u32_e32 v104, v94, v107
                                        ; implicit-def: $vgpr94
	s_delay_alu instid0(VALU_DEP_3)
	v_cmpx_ne_u32_e64 v105, v106
	s_xor_b32 s13, exec_lo, s13
; %bb.1396:                             ;   in Loop: Header=BB6_393 Depth=4
	s_delay_alu instid0(VALU_DEP_2) | instskip(SKIP_2) | instid1(VALU_DEP_2)
	v_cmp_lt_u32_e32 vcc_lo, 0xffffff, v104
	v_sub_nc_u32_e32 v94, v105, v106
	v_cndmask_b32_e64 v105, 0, 1, vcc_lo
	v_add_co_ci_u32_e32 v94, vcc_lo, 0, v94, vcc_lo
	s_delay_alu instid0(VALU_DEP_2)
	v_lshrrev_b32_e32 v104, v105, v104
; %bb.1397:                             ;   in Loop: Header=BB6_393 Depth=4
	s_and_not1_saveexec_b32 s13, s13
; %bb.1398:                             ;   in Loop: Header=BB6_393 Depth=4
	s_delay_alu instid0(VALU_DEP_1)
	v_bfe_u32 v94, v104, 23, 1
; %bb.1399:                             ;   in Loop: Header=BB6_393 Depth=4
	s_or_b32 exec_lo, exec_lo, s13
	v_lshrrev_b32_e32 v104, 20, v104
	s_delay_alu instid0(VALU_DEP_2) | instskip(SKIP_2) | instid1(VALU_DEP_2)
	v_cmp_gt_i32_e32 vcc_lo, 16, v94
	v_min_i32_e32 v105, 15, v94
	v_lshrrev_b32_e32 v95, 24, v95
	v_dual_cndmask_b32 v104, 7, v104 :: v_dual_lshlrev_b32 v105, 3, v105
	s_delay_alu instid0(VALU_DEP_2) | instskip(NEXT) | instid1(VALU_DEP_2)
	v_and_b32_e32 v95, 0x80, v95
	v_or_b32_e32 v94, v94, v104
	v_and_b32_e32 v106, 7, v104
	s_delay_alu instid0(VALU_DEP_2) | instskip(SKIP_1) | instid1(VALU_DEP_1)
	v_cmp_ne_u32_e32 vcc_lo, 0, v94
	v_and_b32_e32 v105, 0xf8, v105
	v_or3_b32 v95, v105, v95, v106
	s_delay_alu instid0(VALU_DEP_1)
	v_cndmask_b32_e32 v94, 0, v95, vcc_lo
.LBB6_1400:                             ;   in Loop: Header=BB6_393 Depth=4
	s_or_b32 exec_lo, exec_lo, s34
.LBB6_1401:                             ;   in Loop: Header=BB6_393 Depth=4
	s_delay_alu instid0(SALU_CYCLE_1) | instskip(SKIP_3) | instid1(VALU_DEP_1)
	s_or_b32 exec_lo, exec_lo, s31
	v_lshrrev_b32_e32 v104, 24, v15
	s_mov_b32 s13, 0
	s_mov_b32 s34, exec_lo
                                        ; implicit-def: $sgpr31
	v_cmpx_lt_i16_e32 0x7f, v104
	s_xor_b32 s34, exec_lo, s34
	s_cbranch_execnz .LBB6_1919
; %bb.1402:                             ;   in Loop: Header=BB6_393 Depth=4
	s_or_saveexec_b32 s34, s34
	v_mov_b32_e32 v95, s31
	s_xor_b32 exec_lo, exec_lo, s34
	s_cbranch_execnz .LBB6_1922
.LBB6_1403:                             ;   in Loop: Header=BB6_393 Depth=4
	s_or_b32 exec_lo, exec_lo, s34
	s_and_saveexec_b32 s31, s13
	s_cbranch_execz .LBB6_1405
.LBB6_1404:                             ;   in Loop: Header=BB6_393 Depth=4
	v_bfe_u32 v95, v15, 24, 3
	s_delay_alu instid0(VALU_DEP_1) | instskip(NEXT) | instid1(VALU_DEP_1)
	v_clz_i32_u32_e32 v105, v95
	v_min_u32_e32 v105, 32, v105
	s_delay_alu instid0(VALU_DEP_1) | instskip(SKIP_1) | instid1(VALU_DEP_2)
	v_subrev_nc_u32_e32 v106, 28, v105
	v_sub_nc_u32_e32 v105, 29, v105
	v_lshlrev_b32_e32 v104, v106, v104
	v_bfe_u32 v106, v15, 27, 4
	v_and_b32_e32 v15, 0x80000000, v15
	s_delay_alu instid0(VALU_DEP_2) | instskip(NEXT) | instid1(VALU_DEP_4)
	v_cmp_eq_u32_e32 vcc_lo, 0, v106
	v_dual_cndmask_b32 v105, v106, v105 :: v_dual_and_b32 v104, 7, v104
	s_delay_alu instid0(VALU_DEP_1) | instskip(NEXT) | instid1(VALU_DEP_2)
	v_cndmask_b32_e32 v95, v95, v104, vcc_lo
	v_lshl_add_u32 v104, v105, 23, 0x3b800000
	s_delay_alu instid0(VALU_DEP_2) | instskip(NEXT) | instid1(VALU_DEP_1)
	v_lshlrev_b32_e32 v95, 20, v95
	v_or3_b32 v95, v15, v104, v95
.LBB6_1405:                             ;   in Loop: Header=BB6_393 Depth=4
	s_or_b32 exec_lo, exec_lo, s31
	v_lshrrev_b32_e32 v15, 24, v11
	s_mov_b32 s13, 0
	s_mov_b32 s34, exec_lo
                                        ; implicit-def: $sgpr31
	s_delay_alu instid0(VALU_DEP_1)
	v_cmpx_lt_i16_e32 0x7f, v15
	s_xor_b32 s34, exec_lo, s34
	s_cbranch_execnz .LBB6_1923
; %bb.1406:                             ;   in Loop: Header=BB6_393 Depth=4
	s_or_saveexec_b32 s34, s34
	v_mov_b32_e32 v104, s31
	s_xor_b32 exec_lo, exec_lo, s34
	s_cbranch_execnz .LBB6_1926
.LBB6_1407:                             ;   in Loop: Header=BB6_393 Depth=4
	s_or_b32 exec_lo, exec_lo, s34
	s_and_saveexec_b32 s31, s13
	s_cbranch_execz .LBB6_1409
.LBB6_1408:                             ;   in Loop: Header=BB6_393 Depth=4
	v_bfe_u32 v104, v11, 24, 3
	s_delay_alu instid0(VALU_DEP_1) | instskip(NEXT) | instid1(VALU_DEP_1)
	v_clz_i32_u32_e32 v105, v104
	v_min_u32_e32 v105, 32, v105
	s_delay_alu instid0(VALU_DEP_1) | instskip(SKIP_1) | instid1(VALU_DEP_2)
	v_subrev_nc_u32_e32 v106, 28, v105
	v_sub_nc_u32_e32 v105, 29, v105
	v_lshlrev_b32_e32 v15, v106, v15
	v_bfe_u32 v106, v11, 27, 4
	v_and_b32_e32 v11, 0x80000000, v11
	s_delay_alu instid0(VALU_DEP_3) | instskip(NEXT) | instid1(VALU_DEP_3)
	v_and_b32_e32 v15, 7, v15
	v_cmp_eq_u32_e32 vcc_lo, 0, v106
	v_cndmask_b32_e32 v105, v106, v105, vcc_lo
	s_delay_alu instid0(VALU_DEP_3) | instskip(NEXT) | instid1(VALU_DEP_2)
	v_cndmask_b32_e32 v15, v104, v15, vcc_lo
	v_lshl_add_u32 v104, v105, 23, 0x3b800000
	s_delay_alu instid0(VALU_DEP_2) | instskip(NEXT) | instid1(VALU_DEP_1)
	v_lshlrev_b32_e32 v15, 20, v15
	v_or3_b32 v104, v11, v104, v15
.LBB6_1409:                             ;   in Loop: Header=BB6_393 Depth=4
	s_or_b32 exec_lo, exec_lo, s31
	s_delay_alu instid0(VALU_DEP_1) | instskip(NEXT) | instid1(VALU_DEP_1)
	v_add_f32_e32 v15, v95, v104
	v_and_b32_e32 v11, 0x7f800000, v15
	s_delay_alu instid0(VALU_DEP_1)
	v_cmp_ne_u32_e32 vcc_lo, 0x7f800000, v11
	v_mov_b32_e32 v11, 0x8000
	s_and_saveexec_b32 s31, vcc_lo
	s_cbranch_execz .LBB6_392
; %bb.1410:                             ;   in Loop: Header=BB6_393 Depth=4
	v_mov_b32_e32 v11, 0
	s_mov_b32 s34, exec_lo
	v_cmpx_ne_u32_e32 0, v15
	s_cbranch_execz .LBB6_391
; %bb.1411:                             ;   in Loop: Header=BB6_393 Depth=4
	v_bfe_u32 v11, v15, 23, 8
	s_delay_alu instid0(VALU_DEP_1) | instskip(SKIP_1) | instid1(VALU_DEP_2)
	v_sub_nc_u32_e32 v104, 0x78, v11
	v_cmp_gt_u32_e32 vcc_lo, 0x79, v11
	v_dual_cndmask_b32 v104, 0, v104 :: v_dual_and_b32 v95, 0x7fffff, v15
	s_delay_alu instid0(VALU_DEP_1) | instskip(SKIP_2) | instid1(VALU_DEP_4)
	v_or_b32_e32 v105, 0x800000, v95
	v_cmp_eq_u32_e32 vcc_lo, 0, v11
	v_add_nc_u32_e32 v11, 0xffffff89, v11
	v_cndmask_b32_e64 v104, v104, 0x77, vcc_lo
	s_delay_alu instid0(VALU_DEP_4) | instskip(NEXT) | instid1(VALU_DEP_3)
	v_cndmask_b32_e32 v95, v105, v95, vcc_lo
	v_cndmask_b32_e64 v11, v11, 0xffffff8a, vcc_lo
	s_delay_alu instid0(VALU_DEP_3) | instskip(NEXT) | instid1(VALU_DEP_3)
	v_lshl_add_u32 v105, 0x100000, v104, -1
	v_lshrrev_b32_e32 v106, v104, v95
	v_lshlrev_b32_e64 v108, v104, 0x80000
	s_delay_alu instid0(VALU_DEP_4) | instskip(NEXT) | instid1(VALU_DEP_4)
	v_add_nc_u32_e32 v104, v104, v11
	v_and_b32_e32 v95, v105, v95
	s_delay_alu instid0(VALU_DEP_4) | instskip(NEXT) | instid1(VALU_DEP_2)
	v_bfe_u32 v107, v106, 20, 1
	v_cmp_eq_u32_e64 s13, v95, v108
	s_delay_alu instid0(VALU_DEP_2) | instskip(NEXT) | instid1(VALU_DEP_1)
	v_add_nc_u32_e32 v105, -1, v107
	v_cndmask_b32_e64 v95, 0, v105, s13
	v_lshrrev_b32_e32 v105, 23, v106
	s_mov_b32 s13, exec_lo
	s_delay_alu instid0(VALU_DEP_2) | instskip(NEXT) | instid1(VALU_DEP_2)
	v_add_nc_u32_e32 v95, v95, v106
	v_xor_b32_e32 v105, 1, v105
	s_delay_alu instid0(VALU_DEP_2) | instskip(NEXT) | instid1(VALU_DEP_1)
	v_and_b32_e32 v11, 0xfffff, v95
	v_add_nc_u32_e32 v95, v11, v106
                                        ; implicit-def: $vgpr11
	s_delay_alu instid0(VALU_DEP_3)
	v_cmpx_ne_u32_e64 v104, v105
	s_xor_b32 s13, exec_lo, s13
; %bb.1412:                             ;   in Loop: Header=BB6_393 Depth=4
	s_delay_alu instid0(VALU_DEP_2) | instskip(SKIP_2) | instid1(VALU_DEP_2)
	v_cmp_lt_u32_e32 vcc_lo, 0xffffff, v95
	v_sub_nc_u32_e32 v11, v104, v105
	v_cndmask_b32_e64 v104, 0, 1, vcc_lo
	v_add_co_ci_u32_e32 v11, vcc_lo, 0, v11, vcc_lo
	s_delay_alu instid0(VALU_DEP_2)
	v_lshrrev_b32_e32 v95, v104, v95
; %bb.1413:                             ;   in Loop: Header=BB6_393 Depth=4
	s_and_not1_saveexec_b32 s13, s13
	s_cbranch_execz .LBB6_390
; %bb.1414:                             ;   in Loop: Header=BB6_393 Depth=4
	s_delay_alu instid0(VALU_DEP_1)
	v_bfe_u32 v11, v95, 23, 1
	s_branch .LBB6_390
.LBB6_1415:                             ;   in Loop: Header=BB6_393 Depth=4
	s_mov_b32 s13, -1
	s_mov_b32 s35, exec_lo
                                        ; implicit-def: $sgpr31
	v_cmpx_eq_u16_e64 0x80, v183
; %bb.1416:                             ;   in Loop: Header=BB6_393 Depth=4
	s_mov_b32 s31, 0x7f800001
	s_xor_b32 s13, exec_lo, -1
; %bb.1417:                             ;   in Loop: Header=BB6_393 Depth=4
	s_or_b32 exec_lo, exec_lo, s35
	s_delay_alu instid0(SALU_CYCLE_1)
	s_and_b32 s13, s13, exec_lo
                                        ; implicit-def: $vgpr183
	s_or_saveexec_b32 s34, s34
	v_mov_b32_e32 v182, s31
	s_xor_b32 exec_lo, exec_lo, s34
	s_cbranch_execz .LBB6_395
.LBB6_1418:                             ;   in Loop: Header=BB6_393 Depth=4
	v_cmp_ne_u16_e64 vcc_lo, 0, v183
	v_mov_b32_e32 v182, 0
	s_and_not1_b32 s13, s13, exec_lo
	s_delay_alu instid0(VALU_DEP_2) | instskip(NEXT) | instid1(SALU_CYCLE_1)
	s_and_b32 vcc_lo, vcc_lo, exec_lo
	s_or_b32 s13, s13, vcc_lo
	s_or_b32 exec_lo, exec_lo, s34
	s_and_saveexec_b32 s31, s13
	s_cbranch_execnz .LBB6_396
	s_branch .LBB6_397
.LBB6_1419:                             ;   in Loop: Header=BB6_393 Depth=4
	s_mov_b32 s13, -1
	s_mov_b32 s35, exec_lo
                                        ; implicit-def: $sgpr31
	v_cmpx_eq_u16_e32 0x80, v40
; %bb.1420:                             ;   in Loop: Header=BB6_393 Depth=4
	s_mov_b32 s31, 0x7f800001
	s_xor_b32 s13, exec_lo, -1
; %bb.1421:                             ;   in Loop: Header=BB6_393 Depth=4
	s_or_b32 exec_lo, exec_lo, s35
	s_delay_alu instid0(SALU_CYCLE_1)
	s_and_b32 s13, s13, exec_lo
                                        ; implicit-def: $vgpr40
	s_or_saveexec_b32 s34, s34
	v_mov_b32_e32 v183, s31
	s_xor_b32 exec_lo, exec_lo, s34
	s_cbranch_execz .LBB6_399
.LBB6_1422:                             ;   in Loop: Header=BB6_393 Depth=4
	v_cmp_ne_u16_e32 vcc_lo, 0, v40
	v_mov_b32_e32 v183, 0
	s_and_not1_b32 s13, s13, exec_lo
	s_and_b32 vcc_lo, vcc_lo, exec_lo
	s_delay_alu instid0(SALU_CYCLE_1)
	s_or_b32 s13, s13, vcc_lo
	s_or_b32 exec_lo, exec_lo, s34
	s_and_saveexec_b32 s31, s13
	s_cbranch_execnz .LBB6_400
	s_branch .LBB6_401
.LBB6_1423:                             ;   in Loop: Header=BB6_393 Depth=4
	s_mov_b32 s13, -1
	s_mov_b32 s35, exec_lo
                                        ; implicit-def: $sgpr31
	v_cmpx_eq_u16_e32 0x80, v40
; %bb.1424:                             ;   in Loop: Header=BB6_393 Depth=4
	s_mov_b32 s31, 0x7f800001
	s_xor_b32 s13, exec_lo, -1
; %bb.1425:                             ;   in Loop: Header=BB6_393 Depth=4
	s_or_b32 exec_lo, exec_lo, s35
	s_delay_alu instid0(SALU_CYCLE_1)
	s_and_b32 s13, s13, exec_lo
	s_or_saveexec_b32 s34, s34
	v_mov_b32_e32 v183, s31
	s_xor_b32 exec_lo, exec_lo, s34
	s_cbranch_execz .LBB6_411
.LBB6_1426:                             ;   in Loop: Header=BB6_393 Depth=4
	v_cmp_ne_u16_e32 vcc_lo, 0, v40
	v_mov_b32_e32 v183, 0
	s_and_not1_b32 s13, s13, exec_lo
	s_and_b32 vcc_lo, vcc_lo, exec_lo
	s_delay_alu instid0(SALU_CYCLE_1)
	s_or_b32 s13, s13, vcc_lo
	s_or_b32 exec_lo, exec_lo, s34
	s_and_saveexec_b32 s31, s13
	s_cbranch_execnz .LBB6_412
	s_branch .LBB6_413
.LBB6_1427:                             ;   in Loop: Header=BB6_393 Depth=4
	s_mov_b32 s13, -1
	s_mov_b32 s35, exec_lo
                                        ; implicit-def: $sgpr31
	v_cmpx_eq_u16_e32 0x80, v40
; %bb.1428:                             ;   in Loop: Header=BB6_393 Depth=4
	s_mov_b32 s31, 0x7f800001
	s_xor_b32 s13, exec_lo, -1
; %bb.1429:                             ;   in Loop: Header=BB6_393 Depth=4
	s_or_b32 exec_lo, exec_lo, s35
	s_delay_alu instid0(SALU_CYCLE_1)
	s_and_b32 s13, s13, exec_lo
	s_or_saveexec_b32 s34, s34
	v_mov_b32_e32 v41, s31
	s_xor_b32 exec_lo, exec_lo, s34
	s_cbranch_execz .LBB6_415
.LBB6_1430:                             ;   in Loop: Header=BB6_393 Depth=4
	v_cmp_ne_u16_e32 vcc_lo, 0, v40
	v_mov_b32_e32 v41, 0
	s_and_not1_b32 s13, s13, exec_lo
	s_and_b32 vcc_lo, vcc_lo, exec_lo
	s_delay_alu instid0(SALU_CYCLE_1)
	s_or_b32 s13, s13, vcc_lo
	s_or_b32 exec_lo, exec_lo, s34
	s_and_saveexec_b32 s31, s13
	s_cbranch_execnz .LBB6_416
	s_branch .LBB6_417
.LBB6_1431:                             ;   in Loop: Header=BB6_393 Depth=4
	s_mov_b32 s13, -1
	s_mov_b32 s35, exec_lo
                                        ; implicit-def: $sgpr31
	v_cmpx_eq_u16_e32 0x80, v42
; %bb.1432:                             ;   in Loop: Header=BB6_393 Depth=4
	s_mov_b32 s31, 0x7f800001
	s_xor_b32 s13, exec_lo, -1
; %bb.1433:                             ;   in Loop: Header=BB6_393 Depth=4
	s_or_b32 exec_lo, exec_lo, s35
	s_delay_alu instid0(SALU_CYCLE_1)
	s_and_b32 s13, s13, exec_lo
                                        ; implicit-def: $vgpr42
	s_or_saveexec_b32 s34, s34
	v_mov_b32_e32 v40, s31
	s_xor_b32 exec_lo, exec_lo, s34
	s_cbranch_execz .LBB6_427
.LBB6_1434:                             ;   in Loop: Header=BB6_393 Depth=4
	v_cmp_ne_u16_e32 vcc_lo, 0, v42
	v_mov_b32_e32 v40, 0
	s_and_not1_b32 s13, s13, exec_lo
	s_and_b32 vcc_lo, vcc_lo, exec_lo
	s_delay_alu instid0(SALU_CYCLE_1)
	s_or_b32 s13, s13, vcc_lo
	s_or_b32 exec_lo, exec_lo, s34
	s_and_saveexec_b32 s31, s13
	s_cbranch_execnz .LBB6_428
	s_branch .LBB6_429
.LBB6_1435:                             ;   in Loop: Header=BB6_393 Depth=4
	s_mov_b32 s13, -1
	s_mov_b32 s35, exec_lo
                                        ; implicit-def: $sgpr31
	v_cmpx_eq_u16_e32 0x80, v43
; %bb.1436:                             ;   in Loop: Header=BB6_393 Depth=4
	s_mov_b32 s31, 0x7f800001
	s_xor_b32 s13, exec_lo, -1
; %bb.1437:                             ;   in Loop: Header=BB6_393 Depth=4
	s_or_b32 exec_lo, exec_lo, s35
	s_delay_alu instid0(SALU_CYCLE_1)
	s_and_b32 s13, s13, exec_lo
                                        ; implicit-def: $vgpr43
	s_or_saveexec_b32 s34, s34
	v_mov_b32_e32 v42, s31
	s_xor_b32 exec_lo, exec_lo, s34
	s_cbranch_execz .LBB6_431
.LBB6_1438:                             ;   in Loop: Header=BB6_393 Depth=4
	v_cmp_ne_u16_e32 vcc_lo, 0, v43
	v_mov_b32_e32 v42, 0
	s_and_not1_b32 s13, s13, exec_lo
	s_and_b32 vcc_lo, vcc_lo, exec_lo
	s_delay_alu instid0(SALU_CYCLE_1)
	s_or_b32 s13, s13, vcc_lo
	s_or_b32 exec_lo, exec_lo, s34
	s_and_saveexec_b32 s31, s13
	s_cbranch_execnz .LBB6_432
	s_branch .LBB6_433
.LBB6_1439:                             ;   in Loop: Header=BB6_393 Depth=4
	s_mov_b32 s13, -1
	s_mov_b32 s35, exec_lo
                                        ; implicit-def: $sgpr31
	v_cmpx_eq_u16_e32 0x80, v42
; %bb.1440:                             ;   in Loop: Header=BB6_393 Depth=4
	s_mov_b32 s31, 0x7f800001
	s_xor_b32 s13, exec_lo, -1
; %bb.1441:                             ;   in Loop: Header=BB6_393 Depth=4
	s_or_b32 exec_lo, exec_lo, s35
	s_delay_alu instid0(SALU_CYCLE_1)
	s_and_b32 s13, s13, exec_lo
	s_or_saveexec_b32 s34, s34
	v_mov_b32_e32 v41, s31
	s_xor_b32 exec_lo, exec_lo, s34
	s_cbranch_execz .LBB6_443
.LBB6_1442:                             ;   in Loop: Header=BB6_393 Depth=4
	v_cmp_ne_u16_e32 vcc_lo, 0, v42
	v_mov_b32_e32 v41, 0
	s_and_not1_b32 s13, s13, exec_lo
	s_and_b32 vcc_lo, vcc_lo, exec_lo
	s_delay_alu instid0(SALU_CYCLE_1)
	s_or_b32 s13, s13, vcc_lo
	s_or_b32 exec_lo, exec_lo, s34
	s_and_saveexec_b32 s31, s13
	s_cbranch_execnz .LBB6_444
	s_branch .LBB6_445
.LBB6_1443:                             ;   in Loop: Header=BB6_393 Depth=4
	s_mov_b32 s13, -1
	s_mov_b32 s35, exec_lo
                                        ; implicit-def: $sgpr31
	v_cmpx_eq_u16_e32 0x80, v48
; %bb.1444:                             ;   in Loop: Header=BB6_393 Depth=4
	s_mov_b32 s31, 0x7f800001
	s_xor_b32 s13, exec_lo, -1
; %bb.1445:                             ;   in Loop: Header=BB6_393 Depth=4
	s_or_b32 exec_lo, exec_lo, s35
	s_delay_alu instid0(SALU_CYCLE_1)
	s_and_b32 s13, s13, exec_lo
	s_or_saveexec_b32 s34, s34
	v_mov_b32_e32 v42, s31
	s_xor_b32 exec_lo, exec_lo, s34
	s_cbranch_execz .LBB6_447
.LBB6_1446:                             ;   in Loop: Header=BB6_393 Depth=4
	v_cmp_ne_u16_e32 vcc_lo, 0, v48
	v_mov_b32_e32 v42, 0
	s_and_not1_b32 s13, s13, exec_lo
	s_and_b32 vcc_lo, vcc_lo, exec_lo
	s_delay_alu instid0(SALU_CYCLE_1)
	s_or_b32 s13, s13, vcc_lo
	s_or_b32 exec_lo, exec_lo, s34
	s_and_saveexec_b32 s31, s13
	s_cbranch_execnz .LBB6_448
	s_branch .LBB6_449
.LBB6_1447:                             ;   in Loop: Header=BB6_393 Depth=4
	s_mov_b32 s13, -1
	s_mov_b32 s35, exec_lo
                                        ; implicit-def: $sgpr31
	v_cmpx_eq_u16_e32 0x80, v41
; %bb.1448:                             ;   in Loop: Header=BB6_393 Depth=4
	s_mov_b32 s31, 0x7f800001
	s_xor_b32 s13, exec_lo, -1
; %bb.1449:                             ;   in Loop: Header=BB6_393 Depth=4
	s_or_b32 exec_lo, exec_lo, s35
	s_delay_alu instid0(SALU_CYCLE_1)
	s_and_b32 s13, s13, exec_lo
                                        ; implicit-def: $vgpr41
	s_or_saveexec_b32 s34, s34
	v_mov_b32_e32 v48, s31
	s_xor_b32 exec_lo, exec_lo, s34
	s_cbranch_execz .LBB6_459
.LBB6_1450:                             ;   in Loop: Header=BB6_393 Depth=4
	v_cmp_ne_u16_e32 vcc_lo, 0, v41
	v_mov_b32_e32 v48, 0
	s_and_not1_b32 s13, s13, exec_lo
	s_and_b32 vcc_lo, vcc_lo, exec_lo
	s_delay_alu instid0(SALU_CYCLE_1)
	s_or_b32 s13, s13, vcc_lo
	s_or_b32 exec_lo, exec_lo, s34
	s_and_saveexec_b32 s31, s13
	s_cbranch_execnz .LBB6_460
	s_branch .LBB6_461
.LBB6_1451:                             ;   in Loop: Header=BB6_393 Depth=4
	s_mov_b32 s13, -1
	s_mov_b32 s35, exec_lo
                                        ; implicit-def: $sgpr31
	v_cmpx_eq_u16_e32 0x80, v42
; %bb.1452:                             ;   in Loop: Header=BB6_393 Depth=4
	s_mov_b32 s31, 0x7f800001
	s_xor_b32 s13, exec_lo, -1
; %bb.1453:                             ;   in Loop: Header=BB6_393 Depth=4
	s_or_b32 exec_lo, exec_lo, s35
	s_delay_alu instid0(SALU_CYCLE_1)
	s_and_b32 s13, s13, exec_lo
                                        ; implicit-def: $vgpr42
	s_or_saveexec_b32 s34, s34
	v_mov_b32_e32 v41, s31
	s_xor_b32 exec_lo, exec_lo, s34
	s_cbranch_execz .LBB6_463
.LBB6_1454:                             ;   in Loop: Header=BB6_393 Depth=4
	v_cmp_ne_u16_e32 vcc_lo, 0, v42
	v_mov_b32_e32 v41, 0
	s_and_not1_b32 s13, s13, exec_lo
	s_and_b32 vcc_lo, vcc_lo, exec_lo
	s_delay_alu instid0(SALU_CYCLE_1)
	s_or_b32 s13, s13, vcc_lo
	s_or_b32 exec_lo, exec_lo, s34
	s_and_saveexec_b32 s31, s13
	s_cbranch_execnz .LBB6_464
	s_branch .LBB6_465
.LBB6_1455:                             ;   in Loop: Header=BB6_393 Depth=4
	s_mov_b32 s13, -1
	s_mov_b32 s35, exec_lo
                                        ; implicit-def: $sgpr31
	v_cmpx_eq_u16_e32 0x80, v42
; %bb.1456:                             ;   in Loop: Header=BB6_393 Depth=4
	s_mov_b32 s31, 0x7f800001
	s_xor_b32 s13, exec_lo, -1
; %bb.1457:                             ;   in Loop: Header=BB6_393 Depth=4
	s_or_b32 exec_lo, exec_lo, s35
	s_delay_alu instid0(SALU_CYCLE_1)
	s_and_b32 s13, s13, exec_lo
	s_or_saveexec_b32 s34, s34
	v_mov_b32_e32 v41, s31
	s_xor_b32 exec_lo, exec_lo, s34
	s_cbranch_execz .LBB6_475
.LBB6_1458:                             ;   in Loop: Header=BB6_393 Depth=4
	v_cmp_ne_u16_e32 vcc_lo, 0, v42
	v_mov_b32_e32 v41, 0
	s_and_not1_b32 s13, s13, exec_lo
	s_and_b32 vcc_lo, vcc_lo, exec_lo
	s_delay_alu instid0(SALU_CYCLE_1)
	s_or_b32 s13, s13, vcc_lo
	s_or_b32 exec_lo, exec_lo, s34
	s_and_saveexec_b32 s31, s13
	s_cbranch_execnz .LBB6_476
	s_branch .LBB6_477
.LBB6_1459:                             ;   in Loop: Header=BB6_393 Depth=4
	s_mov_b32 s13, -1
	s_mov_b32 s35, exec_lo
                                        ; implicit-def: $sgpr31
	v_cmpx_eq_u16_e32 0x80, v42
; %bb.1460:                             ;   in Loop: Header=BB6_393 Depth=4
	s_mov_b32 s31, 0x7f800001
	s_xor_b32 s13, exec_lo, -1
; %bb.1461:                             ;   in Loop: Header=BB6_393 Depth=4
	s_or_b32 exec_lo, exec_lo, s35
	s_delay_alu instid0(SALU_CYCLE_1)
	s_and_b32 s13, s13, exec_lo
	s_or_saveexec_b32 s34, s34
	v_mov_b32_e32 v43, s31
	s_xor_b32 exec_lo, exec_lo, s34
	s_cbranch_execz .LBB6_479
.LBB6_1462:                             ;   in Loop: Header=BB6_393 Depth=4
	v_cmp_ne_u16_e32 vcc_lo, 0, v42
	v_mov_b32_e32 v43, 0
	s_and_not1_b32 s13, s13, exec_lo
	s_and_b32 vcc_lo, vcc_lo, exec_lo
	s_delay_alu instid0(SALU_CYCLE_1)
	s_or_b32 s13, s13, vcc_lo
	s_or_b32 exec_lo, exec_lo, s34
	s_and_saveexec_b32 s31, s13
	s_cbranch_execnz .LBB6_480
	s_branch .LBB6_481
.LBB6_1463:                             ;   in Loop: Header=BB6_393 Depth=4
	s_mov_b32 s13, -1
	s_mov_b32 s35, exec_lo
                                        ; implicit-def: $sgpr31
	v_cmpx_eq_u16_e32 0x80, v44
; %bb.1464:                             ;   in Loop: Header=BB6_393 Depth=4
	s_mov_b32 s31, 0x7f800001
	s_xor_b32 s13, exec_lo, -1
; %bb.1465:                             ;   in Loop: Header=BB6_393 Depth=4
	s_or_b32 exec_lo, exec_lo, s35
	s_delay_alu instid0(SALU_CYCLE_1)
	s_and_b32 s13, s13, exec_lo
                                        ; implicit-def: $vgpr44
	s_or_saveexec_b32 s34, s34
	v_mov_b32_e32 v42, s31
	s_xor_b32 exec_lo, exec_lo, s34
	s_cbranch_execz .LBB6_491
.LBB6_1466:                             ;   in Loop: Header=BB6_393 Depth=4
	v_cmp_ne_u16_e32 vcc_lo, 0, v44
	v_mov_b32_e32 v42, 0
	s_and_not1_b32 s13, s13, exec_lo
	s_and_b32 vcc_lo, vcc_lo, exec_lo
	s_delay_alu instid0(SALU_CYCLE_1)
	s_or_b32 s13, s13, vcc_lo
	s_or_b32 exec_lo, exec_lo, s34
	s_and_saveexec_b32 s31, s13
	s_cbranch_execnz .LBB6_492
	s_branch .LBB6_493
.LBB6_1467:                             ;   in Loop: Header=BB6_393 Depth=4
	s_mov_b32 s13, -1
	s_mov_b32 s35, exec_lo
                                        ; implicit-def: $sgpr31
	v_cmpx_eq_u16_e32 0x80, v45
; %bb.1468:                             ;   in Loop: Header=BB6_393 Depth=4
	s_mov_b32 s31, 0x7f800001
	s_xor_b32 s13, exec_lo, -1
; %bb.1469:                             ;   in Loop: Header=BB6_393 Depth=4
	s_or_b32 exec_lo, exec_lo, s35
	s_delay_alu instid0(SALU_CYCLE_1)
	s_and_b32 s13, s13, exec_lo
                                        ; implicit-def: $vgpr45
	s_or_saveexec_b32 s34, s34
	v_mov_b32_e32 v44, s31
	s_xor_b32 exec_lo, exec_lo, s34
	s_cbranch_execz .LBB6_495
.LBB6_1470:                             ;   in Loop: Header=BB6_393 Depth=4
	v_cmp_ne_u16_e32 vcc_lo, 0, v45
	v_mov_b32_e32 v44, 0
	s_and_not1_b32 s13, s13, exec_lo
	s_and_b32 vcc_lo, vcc_lo, exec_lo
	s_delay_alu instid0(SALU_CYCLE_1)
	s_or_b32 s13, s13, vcc_lo
	s_or_b32 exec_lo, exec_lo, s34
	s_and_saveexec_b32 s31, s13
	s_cbranch_execnz .LBB6_496
	s_branch .LBB6_497
.LBB6_1471:                             ;   in Loop: Header=BB6_393 Depth=4
	s_mov_b32 s13, -1
	s_mov_b32 s35, exec_lo
                                        ; implicit-def: $sgpr31
	v_cmpx_eq_u16_e32 0x80, v44
; %bb.1472:                             ;   in Loop: Header=BB6_393 Depth=4
	s_mov_b32 s31, 0x7f800001
	s_xor_b32 s13, exec_lo, -1
; %bb.1473:                             ;   in Loop: Header=BB6_393 Depth=4
	s_or_b32 exec_lo, exec_lo, s35
	s_delay_alu instid0(SALU_CYCLE_1)
	s_and_b32 s13, s13, exec_lo
	s_or_saveexec_b32 s34, s34
	v_mov_b32_e32 v43, s31
	s_xor_b32 exec_lo, exec_lo, s34
	s_cbranch_execz .LBB6_507
.LBB6_1474:                             ;   in Loop: Header=BB6_393 Depth=4
	v_cmp_ne_u16_e32 vcc_lo, 0, v44
	v_mov_b32_e32 v43, 0
	s_and_not1_b32 s13, s13, exec_lo
	s_and_b32 vcc_lo, vcc_lo, exec_lo
	s_delay_alu instid0(SALU_CYCLE_1)
	s_or_b32 s13, s13, vcc_lo
	s_or_b32 exec_lo, exec_lo, s34
	s_and_saveexec_b32 s31, s13
	s_cbranch_execnz .LBB6_508
	s_branch .LBB6_509
.LBB6_1475:                             ;   in Loop: Header=BB6_393 Depth=4
	s_mov_b32 s13, -1
	s_mov_b32 s35, exec_lo
                                        ; implicit-def: $sgpr31
	v_cmpx_eq_u16_e32 0x80, v49
; %bb.1476:                             ;   in Loop: Header=BB6_393 Depth=4
	s_mov_b32 s31, 0x7f800001
	s_xor_b32 s13, exec_lo, -1
; %bb.1477:                             ;   in Loop: Header=BB6_393 Depth=4
	s_or_b32 exec_lo, exec_lo, s35
	s_delay_alu instid0(SALU_CYCLE_1)
	s_and_b32 s13, s13, exec_lo
	s_or_saveexec_b32 s34, s34
	v_mov_b32_e32 v44, s31
	s_xor_b32 exec_lo, exec_lo, s34
	s_cbranch_execz .LBB6_511
.LBB6_1478:                             ;   in Loop: Header=BB6_393 Depth=4
	v_cmp_ne_u16_e32 vcc_lo, 0, v49
	v_mov_b32_e32 v44, 0
	s_and_not1_b32 s13, s13, exec_lo
	s_and_b32 vcc_lo, vcc_lo, exec_lo
	s_delay_alu instid0(SALU_CYCLE_1)
	s_or_b32 s13, s13, vcc_lo
	s_or_b32 exec_lo, exec_lo, s34
	s_and_saveexec_b32 s31, s13
	s_cbranch_execnz .LBB6_512
	s_branch .LBB6_513
.LBB6_1479:                             ;   in Loop: Header=BB6_393 Depth=4
	s_mov_b32 s13, -1
	s_mov_b32 s35, exec_lo
                                        ; implicit-def: $sgpr31
	v_cmpx_eq_u16_e32 0x80, v43
; %bb.1480:                             ;   in Loop: Header=BB6_393 Depth=4
	s_mov_b32 s31, 0x7f800001
	s_xor_b32 s13, exec_lo, -1
; %bb.1481:                             ;   in Loop: Header=BB6_393 Depth=4
	s_or_b32 exec_lo, exec_lo, s35
	s_delay_alu instid0(SALU_CYCLE_1)
	s_and_b32 s13, s13, exec_lo
                                        ; implicit-def: $vgpr43
	s_or_saveexec_b32 s34, s34
	v_mov_b32_e32 v49, s31
	s_xor_b32 exec_lo, exec_lo, s34
	s_cbranch_execz .LBB6_523
.LBB6_1482:                             ;   in Loop: Header=BB6_393 Depth=4
	v_cmp_ne_u16_e32 vcc_lo, 0, v43
	v_mov_b32_e32 v49, 0
	s_and_not1_b32 s13, s13, exec_lo
	s_and_b32 vcc_lo, vcc_lo, exec_lo
	s_delay_alu instid0(SALU_CYCLE_1)
	s_or_b32 s13, s13, vcc_lo
	s_or_b32 exec_lo, exec_lo, s34
	s_and_saveexec_b32 s31, s13
	s_cbranch_execnz .LBB6_524
	s_branch .LBB6_525
.LBB6_1483:                             ;   in Loop: Header=BB6_393 Depth=4
	s_mov_b32 s13, -1
	s_mov_b32 s35, exec_lo
                                        ; implicit-def: $sgpr31
	v_cmpx_eq_u16_e32 0x80, v44
; %bb.1484:                             ;   in Loop: Header=BB6_393 Depth=4
	s_mov_b32 s31, 0x7f800001
	s_xor_b32 s13, exec_lo, -1
; %bb.1485:                             ;   in Loop: Header=BB6_393 Depth=4
	s_or_b32 exec_lo, exec_lo, s35
	s_delay_alu instid0(SALU_CYCLE_1)
	s_and_b32 s13, s13, exec_lo
                                        ; implicit-def: $vgpr44
	s_or_saveexec_b32 s34, s34
	v_mov_b32_e32 v43, s31
	s_xor_b32 exec_lo, exec_lo, s34
	s_cbranch_execz .LBB6_527
.LBB6_1486:                             ;   in Loop: Header=BB6_393 Depth=4
	v_cmp_ne_u16_e32 vcc_lo, 0, v44
	v_mov_b32_e32 v43, 0
	s_and_not1_b32 s13, s13, exec_lo
	s_and_b32 vcc_lo, vcc_lo, exec_lo
	s_delay_alu instid0(SALU_CYCLE_1)
	s_or_b32 s13, s13, vcc_lo
	s_or_b32 exec_lo, exec_lo, s34
	s_and_saveexec_b32 s31, s13
	s_cbranch_execnz .LBB6_528
	s_branch .LBB6_529
.LBB6_1487:                             ;   in Loop: Header=BB6_393 Depth=4
	s_mov_b32 s13, -1
	s_mov_b32 s35, exec_lo
                                        ; implicit-def: $sgpr31
	v_cmpx_eq_u16_e32 0x80, v44
; %bb.1488:                             ;   in Loop: Header=BB6_393 Depth=4
	s_mov_b32 s31, 0x7f800001
	s_xor_b32 s13, exec_lo, -1
; %bb.1489:                             ;   in Loop: Header=BB6_393 Depth=4
	s_or_b32 exec_lo, exec_lo, s35
	s_delay_alu instid0(SALU_CYCLE_1)
	s_and_b32 s13, s13, exec_lo
	s_or_saveexec_b32 s34, s34
	v_mov_b32_e32 v43, s31
	s_xor_b32 exec_lo, exec_lo, s34
	s_cbranch_execz .LBB6_539
.LBB6_1490:                             ;   in Loop: Header=BB6_393 Depth=4
	v_cmp_ne_u16_e32 vcc_lo, 0, v44
	v_mov_b32_e32 v43, 0
	s_and_not1_b32 s13, s13, exec_lo
	s_and_b32 vcc_lo, vcc_lo, exec_lo
	s_delay_alu instid0(SALU_CYCLE_1)
	s_or_b32 s13, s13, vcc_lo
	s_or_b32 exec_lo, exec_lo, s34
	s_and_saveexec_b32 s31, s13
	s_cbranch_execnz .LBB6_540
	s_branch .LBB6_541
.LBB6_1491:                             ;   in Loop: Header=BB6_393 Depth=4
	s_mov_b32 s13, -1
	s_mov_b32 s35, exec_lo
                                        ; implicit-def: $sgpr31
	v_cmpx_eq_u16_e32 0x80, v44
; %bb.1492:                             ;   in Loop: Header=BB6_393 Depth=4
	s_mov_b32 s31, 0x7f800001
	s_xor_b32 s13, exec_lo, -1
; %bb.1493:                             ;   in Loop: Header=BB6_393 Depth=4
	s_or_b32 exec_lo, exec_lo, s35
	s_delay_alu instid0(SALU_CYCLE_1)
	s_and_b32 s13, s13, exec_lo
	s_or_saveexec_b32 s34, s34
	v_mov_b32_e32 v45, s31
	s_xor_b32 exec_lo, exec_lo, s34
	s_cbranch_execz .LBB6_543
.LBB6_1494:                             ;   in Loop: Header=BB6_393 Depth=4
	v_cmp_ne_u16_e32 vcc_lo, 0, v44
	v_mov_b32_e32 v45, 0
	s_and_not1_b32 s13, s13, exec_lo
	s_and_b32 vcc_lo, vcc_lo, exec_lo
	s_delay_alu instid0(SALU_CYCLE_1)
	s_or_b32 s13, s13, vcc_lo
	s_or_b32 exec_lo, exec_lo, s34
	s_and_saveexec_b32 s31, s13
	s_cbranch_execnz .LBB6_544
	s_branch .LBB6_545
.LBB6_1495:                             ;   in Loop: Header=BB6_393 Depth=4
	s_mov_b32 s13, -1
	s_mov_b32 s35, exec_lo
                                        ; implicit-def: $sgpr31
	v_cmpx_eq_u16_e32 0x80, v46
; %bb.1496:                             ;   in Loop: Header=BB6_393 Depth=4
	s_mov_b32 s31, 0x7f800001
	s_xor_b32 s13, exec_lo, -1
; %bb.1497:                             ;   in Loop: Header=BB6_393 Depth=4
	s_or_b32 exec_lo, exec_lo, s35
	s_delay_alu instid0(SALU_CYCLE_1)
	s_and_b32 s13, s13, exec_lo
                                        ; implicit-def: $vgpr46
	s_or_saveexec_b32 s34, s34
	v_mov_b32_e32 v44, s31
	s_xor_b32 exec_lo, exec_lo, s34
	s_cbranch_execz .LBB6_555
.LBB6_1498:                             ;   in Loop: Header=BB6_393 Depth=4
	v_cmp_ne_u16_e32 vcc_lo, 0, v46
	v_mov_b32_e32 v44, 0
	s_and_not1_b32 s13, s13, exec_lo
	s_and_b32 vcc_lo, vcc_lo, exec_lo
	s_delay_alu instid0(SALU_CYCLE_1)
	s_or_b32 s13, s13, vcc_lo
	s_or_b32 exec_lo, exec_lo, s34
	s_and_saveexec_b32 s31, s13
	s_cbranch_execnz .LBB6_556
	s_branch .LBB6_557
.LBB6_1499:                             ;   in Loop: Header=BB6_393 Depth=4
	s_mov_b32 s13, -1
	s_mov_b32 s35, exec_lo
                                        ; implicit-def: $sgpr31
	v_cmpx_eq_u16_e32 0x80, v47
; %bb.1500:                             ;   in Loop: Header=BB6_393 Depth=4
	s_mov_b32 s31, 0x7f800001
	s_xor_b32 s13, exec_lo, -1
; %bb.1501:                             ;   in Loop: Header=BB6_393 Depth=4
	s_or_b32 exec_lo, exec_lo, s35
	s_delay_alu instid0(SALU_CYCLE_1)
	s_and_b32 s13, s13, exec_lo
                                        ; implicit-def: $vgpr47
	s_or_saveexec_b32 s34, s34
	v_mov_b32_e32 v46, s31
	s_xor_b32 exec_lo, exec_lo, s34
	s_cbranch_execz .LBB6_559
.LBB6_1502:                             ;   in Loop: Header=BB6_393 Depth=4
	v_cmp_ne_u16_e32 vcc_lo, 0, v47
	v_mov_b32_e32 v46, 0
	s_and_not1_b32 s13, s13, exec_lo
	s_and_b32 vcc_lo, vcc_lo, exec_lo
	s_delay_alu instid0(SALU_CYCLE_1)
	s_or_b32 s13, s13, vcc_lo
	s_or_b32 exec_lo, exec_lo, s34
	s_and_saveexec_b32 s31, s13
	s_cbranch_execnz .LBB6_560
	s_branch .LBB6_561
.LBB6_1503:                             ;   in Loop: Header=BB6_393 Depth=4
	s_mov_b32 s13, -1
	s_mov_b32 s35, exec_lo
                                        ; implicit-def: $sgpr31
	v_cmpx_eq_u16_e32 0x80, v46
; %bb.1504:                             ;   in Loop: Header=BB6_393 Depth=4
	s_mov_b32 s31, 0x7f800001
	s_xor_b32 s13, exec_lo, -1
; %bb.1505:                             ;   in Loop: Header=BB6_393 Depth=4
	s_or_b32 exec_lo, exec_lo, s35
	s_delay_alu instid0(SALU_CYCLE_1)
	s_and_b32 s13, s13, exec_lo
	s_or_saveexec_b32 s34, s34
	v_mov_b32_e32 v45, s31
	s_xor_b32 exec_lo, exec_lo, s34
	s_cbranch_execz .LBB6_571
.LBB6_1506:                             ;   in Loop: Header=BB6_393 Depth=4
	v_cmp_ne_u16_e32 vcc_lo, 0, v46
	v_mov_b32_e32 v45, 0
	s_and_not1_b32 s13, s13, exec_lo
	s_and_b32 vcc_lo, vcc_lo, exec_lo
	s_delay_alu instid0(SALU_CYCLE_1)
	s_or_b32 s13, s13, vcc_lo
	s_or_b32 exec_lo, exec_lo, s34
	s_and_saveexec_b32 s31, s13
	s_cbranch_execnz .LBB6_572
	s_branch .LBB6_573
.LBB6_1507:                             ;   in Loop: Header=BB6_393 Depth=4
	s_mov_b32 s13, -1
	s_mov_b32 s35, exec_lo
                                        ; implicit-def: $sgpr31
	v_cmpx_eq_u16_e32 0x80, v50
; %bb.1508:                             ;   in Loop: Header=BB6_393 Depth=4
	s_mov_b32 s31, 0x7f800001
	s_xor_b32 s13, exec_lo, -1
; %bb.1509:                             ;   in Loop: Header=BB6_393 Depth=4
	s_or_b32 exec_lo, exec_lo, s35
	s_delay_alu instid0(SALU_CYCLE_1)
	s_and_b32 s13, s13, exec_lo
	s_or_saveexec_b32 s34, s34
	v_mov_b32_e32 v46, s31
	s_xor_b32 exec_lo, exec_lo, s34
	s_cbranch_execz .LBB6_575
.LBB6_1510:                             ;   in Loop: Header=BB6_393 Depth=4
	v_cmp_ne_u16_e32 vcc_lo, 0, v50
	v_mov_b32_e32 v46, 0
	s_and_not1_b32 s13, s13, exec_lo
	s_and_b32 vcc_lo, vcc_lo, exec_lo
	s_delay_alu instid0(SALU_CYCLE_1)
	s_or_b32 s13, s13, vcc_lo
	s_or_b32 exec_lo, exec_lo, s34
	s_and_saveexec_b32 s31, s13
	s_cbranch_execnz .LBB6_576
	s_branch .LBB6_577
.LBB6_1511:                             ;   in Loop: Header=BB6_393 Depth=4
	s_mov_b32 s13, -1
	s_mov_b32 s35, exec_lo
                                        ; implicit-def: $sgpr31
	v_cmpx_eq_u16_e32 0x80, v45
; %bb.1512:                             ;   in Loop: Header=BB6_393 Depth=4
	s_mov_b32 s31, 0x7f800001
	s_xor_b32 s13, exec_lo, -1
; %bb.1513:                             ;   in Loop: Header=BB6_393 Depth=4
	s_or_b32 exec_lo, exec_lo, s35
	s_delay_alu instid0(SALU_CYCLE_1)
	s_and_b32 s13, s13, exec_lo
                                        ; implicit-def: $vgpr45
	s_or_saveexec_b32 s34, s34
	v_mov_b32_e32 v50, s31
	s_xor_b32 exec_lo, exec_lo, s34
	s_cbranch_execz .LBB6_587
.LBB6_1514:                             ;   in Loop: Header=BB6_393 Depth=4
	v_cmp_ne_u16_e32 vcc_lo, 0, v45
	v_mov_b32_e32 v50, 0
	s_and_not1_b32 s13, s13, exec_lo
	s_and_b32 vcc_lo, vcc_lo, exec_lo
	s_delay_alu instid0(SALU_CYCLE_1)
	s_or_b32 s13, s13, vcc_lo
	s_or_b32 exec_lo, exec_lo, s34
	s_and_saveexec_b32 s31, s13
	s_cbranch_execnz .LBB6_588
	s_branch .LBB6_589
.LBB6_1515:                             ;   in Loop: Header=BB6_393 Depth=4
	s_mov_b32 s13, -1
	s_mov_b32 s35, exec_lo
                                        ; implicit-def: $sgpr31
	v_cmpx_eq_u16_e32 0x80, v46
; %bb.1516:                             ;   in Loop: Header=BB6_393 Depth=4
	s_mov_b32 s31, 0x7f800001
	s_xor_b32 s13, exec_lo, -1
; %bb.1517:                             ;   in Loop: Header=BB6_393 Depth=4
	s_or_b32 exec_lo, exec_lo, s35
	s_delay_alu instid0(SALU_CYCLE_1)
	s_and_b32 s13, s13, exec_lo
                                        ; implicit-def: $vgpr46
	s_or_saveexec_b32 s34, s34
	v_mov_b32_e32 v45, s31
	s_xor_b32 exec_lo, exec_lo, s34
	s_cbranch_execz .LBB6_591
.LBB6_1518:                             ;   in Loop: Header=BB6_393 Depth=4
	v_cmp_ne_u16_e32 vcc_lo, 0, v46
	v_mov_b32_e32 v45, 0
	s_and_not1_b32 s13, s13, exec_lo
	s_and_b32 vcc_lo, vcc_lo, exec_lo
	s_delay_alu instid0(SALU_CYCLE_1)
	s_or_b32 s13, s13, vcc_lo
	s_or_b32 exec_lo, exec_lo, s34
	s_and_saveexec_b32 s31, s13
	s_cbranch_execnz .LBB6_592
	s_branch .LBB6_593
.LBB6_1519:                             ;   in Loop: Header=BB6_393 Depth=4
	s_mov_b32 s13, -1
	s_mov_b32 s35, exec_lo
                                        ; implicit-def: $sgpr31
	v_cmpx_eq_u16_e32 0x80, v46
; %bb.1520:                             ;   in Loop: Header=BB6_393 Depth=4
	s_mov_b32 s31, 0x7f800001
	s_xor_b32 s13, exec_lo, -1
; %bb.1521:                             ;   in Loop: Header=BB6_393 Depth=4
	s_or_b32 exec_lo, exec_lo, s35
	s_delay_alu instid0(SALU_CYCLE_1)
	s_and_b32 s13, s13, exec_lo
	s_or_saveexec_b32 s34, s34
	v_mov_b32_e32 v45, s31
	s_xor_b32 exec_lo, exec_lo, s34
	s_cbranch_execz .LBB6_603
.LBB6_1522:                             ;   in Loop: Header=BB6_393 Depth=4
	v_cmp_ne_u16_e32 vcc_lo, 0, v46
	v_mov_b32_e32 v45, 0
	s_and_not1_b32 s13, s13, exec_lo
	s_and_b32 vcc_lo, vcc_lo, exec_lo
	s_delay_alu instid0(SALU_CYCLE_1)
	s_or_b32 s13, s13, vcc_lo
	s_or_b32 exec_lo, exec_lo, s34
	s_and_saveexec_b32 s31, s13
	s_cbranch_execnz .LBB6_604
	s_branch .LBB6_605
.LBB6_1523:                             ;   in Loop: Header=BB6_393 Depth=4
	s_mov_b32 s13, -1
	s_mov_b32 s35, exec_lo
                                        ; implicit-def: $sgpr31
	v_cmpx_eq_u16_e32 0x80, v46
; %bb.1524:                             ;   in Loop: Header=BB6_393 Depth=4
	s_mov_b32 s31, 0x7f800001
	s_xor_b32 s13, exec_lo, -1
; %bb.1525:                             ;   in Loop: Header=BB6_393 Depth=4
	s_or_b32 exec_lo, exec_lo, s35
	s_delay_alu instid0(SALU_CYCLE_1)
	s_and_b32 s13, s13, exec_lo
	s_or_saveexec_b32 s34, s34
	v_mov_b32_e32 v47, s31
	s_xor_b32 exec_lo, exec_lo, s34
	s_cbranch_execz .LBB6_607
.LBB6_1526:                             ;   in Loop: Header=BB6_393 Depth=4
	v_cmp_ne_u16_e32 vcc_lo, 0, v46
	v_mov_b32_e32 v47, 0
	s_and_not1_b32 s13, s13, exec_lo
	s_and_b32 vcc_lo, vcc_lo, exec_lo
	s_delay_alu instid0(SALU_CYCLE_1)
	s_or_b32 s13, s13, vcc_lo
	s_or_b32 exec_lo, exec_lo, s34
	s_and_saveexec_b32 s31, s13
	s_cbranch_execnz .LBB6_608
	s_branch .LBB6_609
.LBB6_1527:                             ;   in Loop: Header=BB6_393 Depth=4
	s_mov_b32 s13, -1
	s_mov_b32 s35, exec_lo
                                        ; implicit-def: $sgpr31
	v_cmpx_eq_u16_e32 0x80, v56
; %bb.1528:                             ;   in Loop: Header=BB6_393 Depth=4
	s_mov_b32 s31, 0x7f800001
	s_xor_b32 s13, exec_lo, -1
; %bb.1529:                             ;   in Loop: Header=BB6_393 Depth=4
	s_or_b32 exec_lo, exec_lo, s35
	s_delay_alu instid0(SALU_CYCLE_1)
	s_and_b32 s13, s13, exec_lo
                                        ; implicit-def: $vgpr56
	s_or_saveexec_b32 s34, s34
	v_mov_b32_e32 v46, s31
	s_xor_b32 exec_lo, exec_lo, s34
	s_cbranch_execz .LBB6_619
.LBB6_1530:                             ;   in Loop: Header=BB6_393 Depth=4
	v_cmp_ne_u16_e32 vcc_lo, 0, v56
	v_mov_b32_e32 v46, 0
	s_and_not1_b32 s13, s13, exec_lo
	s_and_b32 vcc_lo, vcc_lo, exec_lo
	s_delay_alu instid0(SALU_CYCLE_1)
	s_or_b32 s13, s13, vcc_lo
	s_or_b32 exec_lo, exec_lo, s34
	s_and_saveexec_b32 s31, s13
	s_cbranch_execnz .LBB6_620
	s_branch .LBB6_621
.LBB6_1531:                             ;   in Loop: Header=BB6_393 Depth=4
	s_mov_b32 s13, -1
	s_mov_b32 s35, exec_lo
                                        ; implicit-def: $sgpr31
	v_cmpx_eq_u16_e32 0x80, v57
; %bb.1532:                             ;   in Loop: Header=BB6_393 Depth=4
	s_mov_b32 s31, 0x7f800001
	s_xor_b32 s13, exec_lo, -1
; %bb.1533:                             ;   in Loop: Header=BB6_393 Depth=4
	s_or_b32 exec_lo, exec_lo, s35
	s_delay_alu instid0(SALU_CYCLE_1)
	s_and_b32 s13, s13, exec_lo
                                        ; implicit-def: $vgpr57
	s_or_saveexec_b32 s34, s34
	v_mov_b32_e32 v56, s31
	s_xor_b32 exec_lo, exec_lo, s34
	s_cbranch_execz .LBB6_623
.LBB6_1534:                             ;   in Loop: Header=BB6_393 Depth=4
	v_cmp_ne_u16_e32 vcc_lo, 0, v57
	v_mov_b32_e32 v56, 0
	s_and_not1_b32 s13, s13, exec_lo
	s_and_b32 vcc_lo, vcc_lo, exec_lo
	s_delay_alu instid0(SALU_CYCLE_1)
	s_or_b32 s13, s13, vcc_lo
	s_or_b32 exec_lo, exec_lo, s34
	s_and_saveexec_b32 s31, s13
	s_cbranch_execnz .LBB6_624
	s_branch .LBB6_625
.LBB6_1535:                             ;   in Loop: Header=BB6_393 Depth=4
	s_mov_b32 s13, -1
	s_mov_b32 s35, exec_lo
                                        ; implicit-def: $sgpr31
	v_cmpx_eq_u16_e32 0x80, v56
; %bb.1536:                             ;   in Loop: Header=BB6_393 Depth=4
	s_mov_b32 s31, 0x7f800001
	s_xor_b32 s13, exec_lo, -1
; %bb.1537:                             ;   in Loop: Header=BB6_393 Depth=4
	s_or_b32 exec_lo, exec_lo, s35
	s_delay_alu instid0(SALU_CYCLE_1)
	s_and_b32 s13, s13, exec_lo
	s_or_saveexec_b32 s34, s34
	v_mov_b32_e32 v47, s31
	s_xor_b32 exec_lo, exec_lo, s34
	s_cbranch_execz .LBB6_635
.LBB6_1538:                             ;   in Loop: Header=BB6_393 Depth=4
	v_cmp_ne_u16_e32 vcc_lo, 0, v56
	v_mov_b32_e32 v47, 0
	s_and_not1_b32 s13, s13, exec_lo
	s_and_b32 vcc_lo, vcc_lo, exec_lo
	s_delay_alu instid0(SALU_CYCLE_1)
	s_or_b32 s13, s13, vcc_lo
	s_or_b32 exec_lo, exec_lo, s34
	s_and_saveexec_b32 s31, s13
	s_cbranch_execnz .LBB6_636
	s_branch .LBB6_637
.LBB6_1539:                             ;   in Loop: Header=BB6_393 Depth=4
	s_mov_b32 s13, -1
	s_mov_b32 s35, exec_lo
                                        ; implicit-def: $sgpr31
	v_cmpx_eq_u16_e32 0x80, v51
; %bb.1540:                             ;   in Loop: Header=BB6_393 Depth=4
	s_mov_b32 s31, 0x7f800001
	s_xor_b32 s13, exec_lo, -1
; %bb.1541:                             ;   in Loop: Header=BB6_393 Depth=4
	s_or_b32 exec_lo, exec_lo, s35
	s_delay_alu instid0(SALU_CYCLE_1)
	s_and_b32 s13, s13, exec_lo
	s_or_saveexec_b32 s34, s34
	v_mov_b32_e32 v56, s31
	s_xor_b32 exec_lo, exec_lo, s34
	s_cbranch_execz .LBB6_639
.LBB6_1542:                             ;   in Loop: Header=BB6_393 Depth=4
	v_cmp_ne_u16_e32 vcc_lo, 0, v51
	v_mov_b32_e32 v56, 0
	s_and_not1_b32 s13, s13, exec_lo
	s_and_b32 vcc_lo, vcc_lo, exec_lo
	s_delay_alu instid0(SALU_CYCLE_1)
	s_or_b32 s13, s13, vcc_lo
	s_or_b32 exec_lo, exec_lo, s34
	s_and_saveexec_b32 s31, s13
	s_cbranch_execnz .LBB6_640
	s_branch .LBB6_641
.LBB6_1543:                             ;   in Loop: Header=BB6_393 Depth=4
	s_mov_b32 s13, -1
	s_mov_b32 s35, exec_lo
                                        ; implicit-def: $sgpr31
	v_cmpx_eq_u16_e32 0x80, v47
; %bb.1544:                             ;   in Loop: Header=BB6_393 Depth=4
	s_mov_b32 s31, 0x7f800001
	s_xor_b32 s13, exec_lo, -1
; %bb.1545:                             ;   in Loop: Header=BB6_393 Depth=4
	s_or_b32 exec_lo, exec_lo, s35
	s_delay_alu instid0(SALU_CYCLE_1)
	s_and_b32 s13, s13, exec_lo
                                        ; implicit-def: $vgpr47
	s_or_saveexec_b32 s34, s34
	v_mov_b32_e32 v51, s31
	s_xor_b32 exec_lo, exec_lo, s34
	s_cbranch_execz .LBB6_651
.LBB6_1546:                             ;   in Loop: Header=BB6_393 Depth=4
	v_cmp_ne_u16_e32 vcc_lo, 0, v47
	v_mov_b32_e32 v51, 0
	s_and_not1_b32 s13, s13, exec_lo
	s_and_b32 vcc_lo, vcc_lo, exec_lo
	s_delay_alu instid0(SALU_CYCLE_1)
	s_or_b32 s13, s13, vcc_lo
	s_or_b32 exec_lo, exec_lo, s34
	s_and_saveexec_b32 s31, s13
	s_cbranch_execnz .LBB6_652
	s_branch .LBB6_653
.LBB6_1547:                             ;   in Loop: Header=BB6_393 Depth=4
	s_mov_b32 s13, -1
	s_mov_b32 s35, exec_lo
                                        ; implicit-def: $sgpr31
	v_cmpx_eq_u16_e32 0x80, v56
; %bb.1548:                             ;   in Loop: Header=BB6_393 Depth=4
	s_mov_b32 s31, 0x7f800001
	s_xor_b32 s13, exec_lo, -1
; %bb.1549:                             ;   in Loop: Header=BB6_393 Depth=4
	s_or_b32 exec_lo, exec_lo, s35
	s_delay_alu instid0(SALU_CYCLE_1)
	s_and_b32 s13, s13, exec_lo
                                        ; implicit-def: $vgpr56
	s_or_saveexec_b32 s34, s34
	v_mov_b32_e32 v47, s31
	s_xor_b32 exec_lo, exec_lo, s34
	s_cbranch_execz .LBB6_655
.LBB6_1550:                             ;   in Loop: Header=BB6_393 Depth=4
	v_cmp_ne_u16_e32 vcc_lo, 0, v56
	v_mov_b32_e32 v47, 0
	s_and_not1_b32 s13, s13, exec_lo
	s_and_b32 vcc_lo, vcc_lo, exec_lo
	s_delay_alu instid0(SALU_CYCLE_1)
	s_or_b32 s13, s13, vcc_lo
	s_or_b32 exec_lo, exec_lo, s34
	s_and_saveexec_b32 s31, s13
	s_cbranch_execnz .LBB6_656
	s_branch .LBB6_657
.LBB6_1551:                             ;   in Loop: Header=BB6_393 Depth=4
	s_mov_b32 s13, -1
	s_mov_b32 s35, exec_lo
                                        ; implicit-def: $sgpr31
	v_cmpx_eq_u16_e32 0x80, v56
; %bb.1552:                             ;   in Loop: Header=BB6_393 Depth=4
	s_mov_b32 s31, 0x7f800001
	s_xor_b32 s13, exec_lo, -1
; %bb.1553:                             ;   in Loop: Header=BB6_393 Depth=4
	s_or_b32 exec_lo, exec_lo, s35
	s_delay_alu instid0(SALU_CYCLE_1)
	s_and_b32 s13, s13, exec_lo
	s_or_saveexec_b32 s34, s34
	v_mov_b32_e32 v47, s31
	s_xor_b32 exec_lo, exec_lo, s34
	s_cbranch_execz .LBB6_667
.LBB6_1554:                             ;   in Loop: Header=BB6_393 Depth=4
	v_cmp_ne_u16_e32 vcc_lo, 0, v56
	v_mov_b32_e32 v47, 0
	s_and_not1_b32 s13, s13, exec_lo
	s_and_b32 vcc_lo, vcc_lo, exec_lo
	s_delay_alu instid0(SALU_CYCLE_1)
	s_or_b32 s13, s13, vcc_lo
	s_or_b32 exec_lo, exec_lo, s34
	s_and_saveexec_b32 s31, s13
	s_cbranch_execnz .LBB6_668
	s_branch .LBB6_669
.LBB6_1555:                             ;   in Loop: Header=BB6_393 Depth=4
	s_mov_b32 s13, -1
	s_mov_b32 s35, exec_lo
                                        ; implicit-def: $sgpr31
	v_cmpx_eq_u16_e32 0x80, v56
; %bb.1556:                             ;   in Loop: Header=BB6_393 Depth=4
	s_mov_b32 s31, 0x7f800001
	s_xor_b32 s13, exec_lo, -1
; %bb.1557:                             ;   in Loop: Header=BB6_393 Depth=4
	s_or_b32 exec_lo, exec_lo, s35
	s_delay_alu instid0(SALU_CYCLE_1)
	s_and_b32 s13, s13, exec_lo
	s_or_saveexec_b32 s34, s34
	v_mov_b32_e32 v57, s31
	s_xor_b32 exec_lo, exec_lo, s34
	s_cbranch_execz .LBB6_671
.LBB6_1558:                             ;   in Loop: Header=BB6_393 Depth=4
	v_cmp_ne_u16_e32 vcc_lo, 0, v56
	v_mov_b32_e32 v57, 0
	s_and_not1_b32 s13, s13, exec_lo
	s_and_b32 vcc_lo, vcc_lo, exec_lo
	s_delay_alu instid0(SALU_CYCLE_1)
	s_or_b32 s13, s13, vcc_lo
	s_or_b32 exec_lo, exec_lo, s34
	s_and_saveexec_b32 s31, s13
	s_cbranch_execnz .LBB6_672
	s_branch .LBB6_673
.LBB6_1559:                             ;   in Loop: Header=BB6_393 Depth=4
	s_mov_b32 s13, -1
	s_mov_b32 s35, exec_lo
                                        ; implicit-def: $sgpr31
	v_cmpx_eq_u16_e32 0x80, v58
; %bb.1560:                             ;   in Loop: Header=BB6_393 Depth=4
	s_mov_b32 s31, 0x7f800001
	s_xor_b32 s13, exec_lo, -1
; %bb.1561:                             ;   in Loop: Header=BB6_393 Depth=4
	s_or_b32 exec_lo, exec_lo, s35
	s_delay_alu instid0(SALU_CYCLE_1)
	s_and_b32 s13, s13, exec_lo
                                        ; implicit-def: $vgpr58
	s_or_saveexec_b32 s34, s34
	v_mov_b32_e32 v56, s31
	s_xor_b32 exec_lo, exec_lo, s34
	s_cbranch_execz .LBB6_683
.LBB6_1562:                             ;   in Loop: Header=BB6_393 Depth=4
	v_cmp_ne_u16_e32 vcc_lo, 0, v58
	v_mov_b32_e32 v56, 0
	s_and_not1_b32 s13, s13, exec_lo
	s_and_b32 vcc_lo, vcc_lo, exec_lo
	s_delay_alu instid0(SALU_CYCLE_1)
	s_or_b32 s13, s13, vcc_lo
	s_or_b32 exec_lo, exec_lo, s34
	s_and_saveexec_b32 s31, s13
	s_cbranch_execnz .LBB6_684
	s_branch .LBB6_685
.LBB6_1563:                             ;   in Loop: Header=BB6_393 Depth=4
	s_mov_b32 s13, -1
	s_mov_b32 s35, exec_lo
                                        ; implicit-def: $sgpr31
	v_cmpx_eq_u16_e32 0x80, v59
; %bb.1564:                             ;   in Loop: Header=BB6_393 Depth=4
	s_mov_b32 s31, 0x7f800001
	s_xor_b32 s13, exec_lo, -1
; %bb.1565:                             ;   in Loop: Header=BB6_393 Depth=4
	s_or_b32 exec_lo, exec_lo, s35
	s_delay_alu instid0(SALU_CYCLE_1)
	s_and_b32 s13, s13, exec_lo
                                        ; implicit-def: $vgpr59
	s_or_saveexec_b32 s34, s34
	v_mov_b32_e32 v58, s31
	s_xor_b32 exec_lo, exec_lo, s34
	s_cbranch_execz .LBB6_687
.LBB6_1566:                             ;   in Loop: Header=BB6_393 Depth=4
	v_cmp_ne_u16_e32 vcc_lo, 0, v59
	v_mov_b32_e32 v58, 0
	s_and_not1_b32 s13, s13, exec_lo
	s_and_b32 vcc_lo, vcc_lo, exec_lo
	s_delay_alu instid0(SALU_CYCLE_1)
	s_or_b32 s13, s13, vcc_lo
	s_or_b32 exec_lo, exec_lo, s34
	s_and_saveexec_b32 s31, s13
	s_cbranch_execnz .LBB6_688
	s_branch .LBB6_689
.LBB6_1567:                             ;   in Loop: Header=BB6_393 Depth=4
	s_mov_b32 s13, -1
	s_mov_b32 s35, exec_lo
                                        ; implicit-def: $sgpr31
	v_cmpx_eq_u16_e32 0x80, v58
; %bb.1568:                             ;   in Loop: Header=BB6_393 Depth=4
	s_mov_b32 s31, 0x7f800001
	s_xor_b32 s13, exec_lo, -1
; %bb.1569:                             ;   in Loop: Header=BB6_393 Depth=4
	s_or_b32 exec_lo, exec_lo, s35
	s_delay_alu instid0(SALU_CYCLE_1)
	s_and_b32 s13, s13, exec_lo
	s_or_saveexec_b32 s34, s34
	v_mov_b32_e32 v57, s31
	s_xor_b32 exec_lo, exec_lo, s34
	s_cbranch_execz .LBB6_699
.LBB6_1570:                             ;   in Loop: Header=BB6_393 Depth=4
	v_cmp_ne_u16_e32 vcc_lo, 0, v58
	v_mov_b32_e32 v57, 0
	s_and_not1_b32 s13, s13, exec_lo
	s_and_b32 vcc_lo, vcc_lo, exec_lo
	s_delay_alu instid0(SALU_CYCLE_1)
	s_or_b32 s13, s13, vcc_lo
	s_or_b32 exec_lo, exec_lo, s34
	s_and_saveexec_b32 s31, s13
	s_cbranch_execnz .LBB6_700
	s_branch .LBB6_701
.LBB6_1571:                             ;   in Loop: Header=BB6_393 Depth=4
	s_mov_b32 s13, -1
	s_mov_b32 s35, exec_lo
                                        ; implicit-def: $sgpr31
	v_cmpx_eq_u16_e32 0x80, v32
; %bb.1572:                             ;   in Loop: Header=BB6_393 Depth=4
	s_mov_b32 s31, 0x7f800001
	s_xor_b32 s13, exec_lo, -1
; %bb.1573:                             ;   in Loop: Header=BB6_393 Depth=4
	s_or_b32 exec_lo, exec_lo, s35
	s_delay_alu instid0(SALU_CYCLE_1)
	s_and_b32 s13, s13, exec_lo
	s_or_saveexec_b32 s34, s34
	v_mov_b32_e32 v58, s31
	s_xor_b32 exec_lo, exec_lo, s34
	s_cbranch_execz .LBB6_703
.LBB6_1574:                             ;   in Loop: Header=BB6_393 Depth=4
	v_cmp_ne_u16_e32 vcc_lo, 0, v32
	v_mov_b32_e32 v58, 0
	s_and_not1_b32 s13, s13, exec_lo
	s_and_b32 vcc_lo, vcc_lo, exec_lo
	s_delay_alu instid0(SALU_CYCLE_1)
	s_or_b32 s13, s13, vcc_lo
	s_or_b32 exec_lo, exec_lo, s34
	s_and_saveexec_b32 s31, s13
	s_cbranch_execnz .LBB6_704
	s_branch .LBB6_705
.LBB6_1575:                             ;   in Loop: Header=BB6_393 Depth=4
	s_mov_b32 s13, -1
	s_mov_b32 s35, exec_lo
                                        ; implicit-def: $sgpr31
	v_cmpx_eq_u16_e32 0x80, v57
; %bb.1576:                             ;   in Loop: Header=BB6_393 Depth=4
	s_mov_b32 s31, 0x7f800001
	s_xor_b32 s13, exec_lo, -1
; %bb.1577:                             ;   in Loop: Header=BB6_393 Depth=4
	s_or_b32 exec_lo, exec_lo, s35
	s_delay_alu instid0(SALU_CYCLE_1)
	s_and_b32 s13, s13, exec_lo
                                        ; implicit-def: $vgpr57
	s_or_saveexec_b32 s34, s34
	v_mov_b32_e32 v32, s31
	s_xor_b32 exec_lo, exec_lo, s34
	s_cbranch_execz .LBB6_715
.LBB6_1578:                             ;   in Loop: Header=BB6_393 Depth=4
	v_cmp_ne_u16_e32 vcc_lo, 0, v57
	v_mov_b32_e32 v32, 0
	s_and_not1_b32 s13, s13, exec_lo
	s_and_b32 vcc_lo, vcc_lo, exec_lo
	s_delay_alu instid0(SALU_CYCLE_1)
	s_or_b32 s13, s13, vcc_lo
	s_or_b32 exec_lo, exec_lo, s34
	s_and_saveexec_b32 s31, s13
	s_cbranch_execnz .LBB6_716
	s_branch .LBB6_717
.LBB6_1579:                             ;   in Loop: Header=BB6_393 Depth=4
	s_mov_b32 s13, -1
	s_mov_b32 s35, exec_lo
                                        ; implicit-def: $sgpr31
	v_cmpx_eq_u16_e32 0x80, v58
; %bb.1580:                             ;   in Loop: Header=BB6_393 Depth=4
	s_mov_b32 s31, 0x7f800001
	s_xor_b32 s13, exec_lo, -1
; %bb.1581:                             ;   in Loop: Header=BB6_393 Depth=4
	s_or_b32 exec_lo, exec_lo, s35
	s_delay_alu instid0(SALU_CYCLE_1)
	s_and_b32 s13, s13, exec_lo
                                        ; implicit-def: $vgpr58
	s_or_saveexec_b32 s34, s34
	v_mov_b32_e32 v57, s31
	s_xor_b32 exec_lo, exec_lo, s34
	s_cbranch_execz .LBB6_719
.LBB6_1582:                             ;   in Loop: Header=BB6_393 Depth=4
	v_cmp_ne_u16_e32 vcc_lo, 0, v58
	v_mov_b32_e32 v57, 0
	s_and_not1_b32 s13, s13, exec_lo
	s_and_b32 vcc_lo, vcc_lo, exec_lo
	s_delay_alu instid0(SALU_CYCLE_1)
	s_or_b32 s13, s13, vcc_lo
	s_or_b32 exec_lo, exec_lo, s34
	s_and_saveexec_b32 s31, s13
	s_cbranch_execnz .LBB6_720
	s_branch .LBB6_721
.LBB6_1583:                             ;   in Loop: Header=BB6_393 Depth=4
	s_mov_b32 s13, -1
	s_mov_b32 s35, exec_lo
                                        ; implicit-def: $sgpr31
	v_cmpx_eq_u16_e32 0x80, v58
; %bb.1584:                             ;   in Loop: Header=BB6_393 Depth=4
	s_mov_b32 s31, 0x7f800001
	s_xor_b32 s13, exec_lo, -1
; %bb.1585:                             ;   in Loop: Header=BB6_393 Depth=4
	s_or_b32 exec_lo, exec_lo, s35
	s_delay_alu instid0(SALU_CYCLE_1)
	s_and_b32 s13, s13, exec_lo
	s_or_saveexec_b32 s34, s34
	v_mov_b32_e32 v57, s31
	s_xor_b32 exec_lo, exec_lo, s34
	s_cbranch_execz .LBB6_731
.LBB6_1586:                             ;   in Loop: Header=BB6_393 Depth=4
	v_cmp_ne_u16_e32 vcc_lo, 0, v58
	v_mov_b32_e32 v57, 0
	s_and_not1_b32 s13, s13, exec_lo
	s_and_b32 vcc_lo, vcc_lo, exec_lo
	s_delay_alu instid0(SALU_CYCLE_1)
	s_or_b32 s13, s13, vcc_lo
	s_or_b32 exec_lo, exec_lo, s34
	s_and_saveexec_b32 s31, s13
	s_cbranch_execnz .LBB6_732
	s_branch .LBB6_733
.LBB6_1587:                             ;   in Loop: Header=BB6_393 Depth=4
	s_mov_b32 s13, -1
	s_mov_b32 s35, exec_lo
                                        ; implicit-def: $sgpr31
	v_cmpx_eq_u16_e32 0x80, v58
; %bb.1588:                             ;   in Loop: Header=BB6_393 Depth=4
	s_mov_b32 s31, 0x7f800001
	s_xor_b32 s13, exec_lo, -1
; %bb.1589:                             ;   in Loop: Header=BB6_393 Depth=4
	s_or_b32 exec_lo, exec_lo, s35
	s_delay_alu instid0(SALU_CYCLE_1)
	s_and_b32 s13, s13, exec_lo
	s_or_saveexec_b32 s34, s34
	v_mov_b32_e32 v59, s31
	s_xor_b32 exec_lo, exec_lo, s34
	s_cbranch_execz .LBB6_735
.LBB6_1590:                             ;   in Loop: Header=BB6_393 Depth=4
	v_cmp_ne_u16_e32 vcc_lo, 0, v58
	v_mov_b32_e32 v59, 0
	s_and_not1_b32 s13, s13, exec_lo
	s_and_b32 vcc_lo, vcc_lo, exec_lo
	s_delay_alu instid0(SALU_CYCLE_1)
	s_or_b32 s13, s13, vcc_lo
	s_or_b32 exec_lo, exec_lo, s34
	s_and_saveexec_b32 s31, s13
	s_cbranch_execnz .LBB6_736
	s_branch .LBB6_737
.LBB6_1591:                             ;   in Loop: Header=BB6_393 Depth=4
	s_mov_b32 s13, -1
	s_mov_b32 s35, exec_lo
                                        ; implicit-def: $sgpr31
	v_cmpx_eq_u16_e32 0x80, v60
; %bb.1592:                             ;   in Loop: Header=BB6_393 Depth=4
	s_mov_b32 s31, 0x7f800001
	s_xor_b32 s13, exec_lo, -1
; %bb.1593:                             ;   in Loop: Header=BB6_393 Depth=4
	s_or_b32 exec_lo, exec_lo, s35
	s_delay_alu instid0(SALU_CYCLE_1)
	s_and_b32 s13, s13, exec_lo
                                        ; implicit-def: $vgpr60
	s_or_saveexec_b32 s34, s34
	v_mov_b32_e32 v58, s31
	s_xor_b32 exec_lo, exec_lo, s34
	s_cbranch_execz .LBB6_747
.LBB6_1594:                             ;   in Loop: Header=BB6_393 Depth=4
	v_cmp_ne_u16_e32 vcc_lo, 0, v60
	v_mov_b32_e32 v58, 0
	s_and_not1_b32 s13, s13, exec_lo
	s_and_b32 vcc_lo, vcc_lo, exec_lo
	s_delay_alu instid0(SALU_CYCLE_1)
	s_or_b32 s13, s13, vcc_lo
	s_or_b32 exec_lo, exec_lo, s34
	s_and_saveexec_b32 s31, s13
	s_cbranch_execnz .LBB6_748
	s_branch .LBB6_749
.LBB6_1595:                             ;   in Loop: Header=BB6_393 Depth=4
	s_mov_b32 s13, -1
	s_mov_b32 s35, exec_lo
                                        ; implicit-def: $sgpr31
	v_cmpx_eq_u16_e32 0x80, v61
; %bb.1596:                             ;   in Loop: Header=BB6_393 Depth=4
	s_mov_b32 s31, 0x7f800001
	s_xor_b32 s13, exec_lo, -1
; %bb.1597:                             ;   in Loop: Header=BB6_393 Depth=4
	s_or_b32 exec_lo, exec_lo, s35
	s_delay_alu instid0(SALU_CYCLE_1)
	s_and_b32 s13, s13, exec_lo
                                        ; implicit-def: $vgpr61
	s_or_saveexec_b32 s34, s34
	v_mov_b32_e32 v60, s31
	s_xor_b32 exec_lo, exec_lo, s34
	s_cbranch_execz .LBB6_751
.LBB6_1598:                             ;   in Loop: Header=BB6_393 Depth=4
	v_cmp_ne_u16_e32 vcc_lo, 0, v61
	v_mov_b32_e32 v60, 0
	s_and_not1_b32 s13, s13, exec_lo
	s_and_b32 vcc_lo, vcc_lo, exec_lo
	s_delay_alu instid0(SALU_CYCLE_1)
	s_or_b32 s13, s13, vcc_lo
	s_or_b32 exec_lo, exec_lo, s34
	s_and_saveexec_b32 s31, s13
	s_cbranch_execnz .LBB6_752
	s_branch .LBB6_753
.LBB6_1599:                             ;   in Loop: Header=BB6_393 Depth=4
	s_mov_b32 s13, -1
	s_mov_b32 s35, exec_lo
                                        ; implicit-def: $sgpr31
	v_cmpx_eq_u16_e32 0x80, v60
; %bb.1600:                             ;   in Loop: Header=BB6_393 Depth=4
	s_mov_b32 s31, 0x7f800001
	s_xor_b32 s13, exec_lo, -1
; %bb.1601:                             ;   in Loop: Header=BB6_393 Depth=4
	s_or_b32 exec_lo, exec_lo, s35
	s_delay_alu instid0(SALU_CYCLE_1)
	s_and_b32 s13, s13, exec_lo
	s_or_saveexec_b32 s34, s34
	v_mov_b32_e32 v59, s31
	s_xor_b32 exec_lo, exec_lo, s34
	s_cbranch_execz .LBB6_763
.LBB6_1602:                             ;   in Loop: Header=BB6_393 Depth=4
	v_cmp_ne_u16_e32 vcc_lo, 0, v60
	v_mov_b32_e32 v59, 0
	s_and_not1_b32 s13, s13, exec_lo
	s_and_b32 vcc_lo, vcc_lo, exec_lo
	s_delay_alu instid0(SALU_CYCLE_1)
	s_or_b32 s13, s13, vcc_lo
	s_or_b32 exec_lo, exec_lo, s34
	s_and_saveexec_b32 s31, s13
	s_cbranch_execnz .LBB6_764
	s_branch .LBB6_765
.LBB6_1603:                             ;   in Loop: Header=BB6_393 Depth=4
	s_mov_b32 s13, -1
	s_mov_b32 s35, exec_lo
                                        ; implicit-def: $sgpr31
	v_cmpx_eq_u16_e32 0x80, v33
; %bb.1604:                             ;   in Loop: Header=BB6_393 Depth=4
	s_mov_b32 s31, 0x7f800001
	s_xor_b32 s13, exec_lo, -1
; %bb.1605:                             ;   in Loop: Header=BB6_393 Depth=4
	s_or_b32 exec_lo, exec_lo, s35
	s_delay_alu instid0(SALU_CYCLE_1)
	s_and_b32 s13, s13, exec_lo
	s_or_saveexec_b32 s34, s34
	v_mov_b32_e32 v60, s31
	s_xor_b32 exec_lo, exec_lo, s34
	s_cbranch_execz .LBB6_767
.LBB6_1606:                             ;   in Loop: Header=BB6_393 Depth=4
	v_cmp_ne_u16_e32 vcc_lo, 0, v33
	v_mov_b32_e32 v60, 0
	s_and_not1_b32 s13, s13, exec_lo
	s_and_b32 vcc_lo, vcc_lo, exec_lo
	s_delay_alu instid0(SALU_CYCLE_1)
	s_or_b32 s13, s13, vcc_lo
	s_or_b32 exec_lo, exec_lo, s34
	s_and_saveexec_b32 s31, s13
	s_cbranch_execnz .LBB6_768
	s_branch .LBB6_769
.LBB6_1607:                             ;   in Loop: Header=BB6_393 Depth=4
	s_mov_b32 s13, -1
	s_mov_b32 s35, exec_lo
                                        ; implicit-def: $sgpr31
	v_cmpx_eq_u16_e32 0x80, v59
; %bb.1608:                             ;   in Loop: Header=BB6_393 Depth=4
	s_mov_b32 s31, 0x7f800001
	s_xor_b32 s13, exec_lo, -1
; %bb.1609:                             ;   in Loop: Header=BB6_393 Depth=4
	s_or_b32 exec_lo, exec_lo, s35
	s_delay_alu instid0(SALU_CYCLE_1)
	s_and_b32 s13, s13, exec_lo
                                        ; implicit-def: $vgpr59
	s_or_saveexec_b32 s34, s34
	v_mov_b32_e32 v33, s31
	s_xor_b32 exec_lo, exec_lo, s34
	s_cbranch_execz .LBB6_779
.LBB6_1610:                             ;   in Loop: Header=BB6_393 Depth=4
	v_cmp_ne_u16_e32 vcc_lo, 0, v59
	v_mov_b32_e32 v33, 0
	s_and_not1_b32 s13, s13, exec_lo
	s_and_b32 vcc_lo, vcc_lo, exec_lo
	s_delay_alu instid0(SALU_CYCLE_1)
	s_or_b32 s13, s13, vcc_lo
	s_or_b32 exec_lo, exec_lo, s34
	s_and_saveexec_b32 s31, s13
	s_cbranch_execnz .LBB6_780
	s_branch .LBB6_781
.LBB6_1611:                             ;   in Loop: Header=BB6_393 Depth=4
	s_mov_b32 s13, -1
	s_mov_b32 s35, exec_lo
                                        ; implicit-def: $sgpr31
	v_cmpx_eq_u16_e32 0x80, v60
; %bb.1612:                             ;   in Loop: Header=BB6_393 Depth=4
	s_mov_b32 s31, 0x7f800001
	s_xor_b32 s13, exec_lo, -1
; %bb.1613:                             ;   in Loop: Header=BB6_393 Depth=4
	s_or_b32 exec_lo, exec_lo, s35
	s_delay_alu instid0(SALU_CYCLE_1)
	s_and_b32 s13, s13, exec_lo
                                        ; implicit-def: $vgpr60
	s_or_saveexec_b32 s34, s34
	v_mov_b32_e32 v59, s31
	s_xor_b32 exec_lo, exec_lo, s34
	s_cbranch_execz .LBB6_783
.LBB6_1614:                             ;   in Loop: Header=BB6_393 Depth=4
	v_cmp_ne_u16_e32 vcc_lo, 0, v60
	v_mov_b32_e32 v59, 0
	s_and_not1_b32 s13, s13, exec_lo
	s_and_b32 vcc_lo, vcc_lo, exec_lo
	s_delay_alu instid0(SALU_CYCLE_1)
	s_or_b32 s13, s13, vcc_lo
	s_or_b32 exec_lo, exec_lo, s34
	s_and_saveexec_b32 s31, s13
	s_cbranch_execnz .LBB6_784
	s_branch .LBB6_785
.LBB6_1615:                             ;   in Loop: Header=BB6_393 Depth=4
	s_mov_b32 s13, -1
	s_mov_b32 s35, exec_lo
                                        ; implicit-def: $sgpr31
	v_cmpx_eq_u16_e32 0x80, v60
; %bb.1616:                             ;   in Loop: Header=BB6_393 Depth=4
	s_mov_b32 s31, 0x7f800001
	s_xor_b32 s13, exec_lo, -1
; %bb.1617:                             ;   in Loop: Header=BB6_393 Depth=4
	s_or_b32 exec_lo, exec_lo, s35
	s_delay_alu instid0(SALU_CYCLE_1)
	s_and_b32 s13, s13, exec_lo
	s_or_saveexec_b32 s34, s34
	v_mov_b32_e32 v59, s31
	s_xor_b32 exec_lo, exec_lo, s34
	s_cbranch_execz .LBB6_795
.LBB6_1618:                             ;   in Loop: Header=BB6_393 Depth=4
	v_cmp_ne_u16_e32 vcc_lo, 0, v60
	v_mov_b32_e32 v59, 0
	s_and_not1_b32 s13, s13, exec_lo
	s_and_b32 vcc_lo, vcc_lo, exec_lo
	s_delay_alu instid0(SALU_CYCLE_1)
	s_or_b32 s13, s13, vcc_lo
	s_or_b32 exec_lo, exec_lo, s34
	s_and_saveexec_b32 s31, s13
	s_cbranch_execnz .LBB6_796
	s_branch .LBB6_797
.LBB6_1619:                             ;   in Loop: Header=BB6_393 Depth=4
	s_mov_b32 s13, -1
	s_mov_b32 s35, exec_lo
                                        ; implicit-def: $sgpr31
	v_cmpx_eq_u16_e32 0x80, v60
; %bb.1620:                             ;   in Loop: Header=BB6_393 Depth=4
	s_mov_b32 s31, 0x7f800001
	s_xor_b32 s13, exec_lo, -1
; %bb.1621:                             ;   in Loop: Header=BB6_393 Depth=4
	s_or_b32 exec_lo, exec_lo, s35
	s_delay_alu instid0(SALU_CYCLE_1)
	s_and_b32 s13, s13, exec_lo
	s_or_saveexec_b32 s34, s34
	v_mov_b32_e32 v61, s31
	s_xor_b32 exec_lo, exec_lo, s34
	s_cbranch_execz .LBB6_799
.LBB6_1622:                             ;   in Loop: Header=BB6_393 Depth=4
	v_cmp_ne_u16_e32 vcc_lo, 0, v60
	v_mov_b32_e32 v61, 0
	s_and_not1_b32 s13, s13, exec_lo
	s_and_b32 vcc_lo, vcc_lo, exec_lo
	s_delay_alu instid0(SALU_CYCLE_1)
	s_or_b32 s13, s13, vcc_lo
	s_or_b32 exec_lo, exec_lo, s34
	s_and_saveexec_b32 s31, s13
	s_cbranch_execnz .LBB6_800
	s_branch .LBB6_801
.LBB6_1623:                             ;   in Loop: Header=BB6_393 Depth=4
	s_mov_b32 s13, -1
	s_mov_b32 s35, exec_lo
                                        ; implicit-def: $sgpr31
	v_cmpx_eq_u16_e32 0x80, v62
; %bb.1624:                             ;   in Loop: Header=BB6_393 Depth=4
	s_mov_b32 s31, 0x7f800001
	s_xor_b32 s13, exec_lo, -1
; %bb.1625:                             ;   in Loop: Header=BB6_393 Depth=4
	s_or_b32 exec_lo, exec_lo, s35
	s_delay_alu instid0(SALU_CYCLE_1)
	s_and_b32 s13, s13, exec_lo
                                        ; implicit-def: $vgpr62
	s_or_saveexec_b32 s34, s34
	v_mov_b32_e32 v60, s31
	s_xor_b32 exec_lo, exec_lo, s34
	s_cbranch_execz .LBB6_811
.LBB6_1626:                             ;   in Loop: Header=BB6_393 Depth=4
	v_cmp_ne_u16_e32 vcc_lo, 0, v62
	v_mov_b32_e32 v60, 0
	s_and_not1_b32 s13, s13, exec_lo
	s_and_b32 vcc_lo, vcc_lo, exec_lo
	s_delay_alu instid0(SALU_CYCLE_1)
	s_or_b32 s13, s13, vcc_lo
	s_or_b32 exec_lo, exec_lo, s34
	s_and_saveexec_b32 s31, s13
	s_cbranch_execnz .LBB6_812
	s_branch .LBB6_813
.LBB6_1627:                             ;   in Loop: Header=BB6_393 Depth=4
	s_mov_b32 s13, -1
	s_mov_b32 s35, exec_lo
                                        ; implicit-def: $sgpr31
	v_cmpx_eq_u16_e32 0x80, v63
; %bb.1628:                             ;   in Loop: Header=BB6_393 Depth=4
	s_mov_b32 s31, 0x7f800001
	s_xor_b32 s13, exec_lo, -1
; %bb.1629:                             ;   in Loop: Header=BB6_393 Depth=4
	s_or_b32 exec_lo, exec_lo, s35
	s_delay_alu instid0(SALU_CYCLE_1)
	s_and_b32 s13, s13, exec_lo
                                        ; implicit-def: $vgpr63
	s_or_saveexec_b32 s34, s34
	v_mov_b32_e32 v62, s31
	s_xor_b32 exec_lo, exec_lo, s34
	s_cbranch_execz .LBB6_815
.LBB6_1630:                             ;   in Loop: Header=BB6_393 Depth=4
	v_cmp_ne_u16_e32 vcc_lo, 0, v63
	v_mov_b32_e32 v62, 0
	s_and_not1_b32 s13, s13, exec_lo
	s_and_b32 vcc_lo, vcc_lo, exec_lo
	s_delay_alu instid0(SALU_CYCLE_1)
	s_or_b32 s13, s13, vcc_lo
	s_or_b32 exec_lo, exec_lo, s34
	s_and_saveexec_b32 s31, s13
	s_cbranch_execnz .LBB6_816
	s_branch .LBB6_817
.LBB6_1631:                             ;   in Loop: Header=BB6_393 Depth=4
	s_mov_b32 s13, -1
	s_mov_b32 s35, exec_lo
                                        ; implicit-def: $sgpr31
	v_cmpx_eq_u16_e32 0x80, v62
; %bb.1632:                             ;   in Loop: Header=BB6_393 Depth=4
	s_mov_b32 s31, 0x7f800001
	s_xor_b32 s13, exec_lo, -1
; %bb.1633:                             ;   in Loop: Header=BB6_393 Depth=4
	s_or_b32 exec_lo, exec_lo, s35
	s_delay_alu instid0(SALU_CYCLE_1)
	s_and_b32 s13, s13, exec_lo
	s_or_saveexec_b32 s34, s34
	v_mov_b32_e32 v61, s31
	s_xor_b32 exec_lo, exec_lo, s34
	s_cbranch_execz .LBB6_827
.LBB6_1634:                             ;   in Loop: Header=BB6_393 Depth=4
	v_cmp_ne_u16_e32 vcc_lo, 0, v62
	v_mov_b32_e32 v61, 0
	s_and_not1_b32 s13, s13, exec_lo
	s_and_b32 vcc_lo, vcc_lo, exec_lo
	s_delay_alu instid0(SALU_CYCLE_1)
	s_or_b32 s13, s13, vcc_lo
	s_or_b32 exec_lo, exec_lo, s34
	s_and_saveexec_b32 s31, s13
	s_cbranch_execnz .LBB6_828
	s_branch .LBB6_829
.LBB6_1635:                             ;   in Loop: Header=BB6_393 Depth=4
	s_mov_b32 s13, -1
	s_mov_b32 s35, exec_lo
                                        ; implicit-def: $sgpr31
	v_cmpx_eq_u16_e32 0x80, v34
; %bb.1636:                             ;   in Loop: Header=BB6_393 Depth=4
	s_mov_b32 s31, 0x7f800001
	s_xor_b32 s13, exec_lo, -1
; %bb.1637:                             ;   in Loop: Header=BB6_393 Depth=4
	s_or_b32 exec_lo, exec_lo, s35
	s_delay_alu instid0(SALU_CYCLE_1)
	s_and_b32 s13, s13, exec_lo
	s_or_saveexec_b32 s34, s34
	v_mov_b32_e32 v62, s31
	s_xor_b32 exec_lo, exec_lo, s34
	s_cbranch_execz .LBB6_831
.LBB6_1638:                             ;   in Loop: Header=BB6_393 Depth=4
	v_cmp_ne_u16_e32 vcc_lo, 0, v34
	v_mov_b32_e32 v62, 0
	s_and_not1_b32 s13, s13, exec_lo
	s_and_b32 vcc_lo, vcc_lo, exec_lo
	s_delay_alu instid0(SALU_CYCLE_1)
	s_or_b32 s13, s13, vcc_lo
	s_or_b32 exec_lo, exec_lo, s34
	s_and_saveexec_b32 s31, s13
	s_cbranch_execnz .LBB6_832
	s_branch .LBB6_833
.LBB6_1639:                             ;   in Loop: Header=BB6_393 Depth=4
	s_mov_b32 s13, -1
	s_mov_b32 s35, exec_lo
                                        ; implicit-def: $sgpr31
	v_cmpx_eq_u16_e32 0x80, v61
; %bb.1640:                             ;   in Loop: Header=BB6_393 Depth=4
	s_mov_b32 s31, 0x7f800001
	s_xor_b32 s13, exec_lo, -1
; %bb.1641:                             ;   in Loop: Header=BB6_393 Depth=4
	s_or_b32 exec_lo, exec_lo, s35
	s_delay_alu instid0(SALU_CYCLE_1)
	s_and_b32 s13, s13, exec_lo
                                        ; implicit-def: $vgpr61
	s_or_saveexec_b32 s34, s34
	v_mov_b32_e32 v34, s31
	s_xor_b32 exec_lo, exec_lo, s34
	s_cbranch_execz .LBB6_843
.LBB6_1642:                             ;   in Loop: Header=BB6_393 Depth=4
	v_cmp_ne_u16_e32 vcc_lo, 0, v61
	v_mov_b32_e32 v34, 0
	s_and_not1_b32 s13, s13, exec_lo
	s_and_b32 vcc_lo, vcc_lo, exec_lo
	s_delay_alu instid0(SALU_CYCLE_1)
	s_or_b32 s13, s13, vcc_lo
	s_or_b32 exec_lo, exec_lo, s34
	s_and_saveexec_b32 s31, s13
	s_cbranch_execnz .LBB6_844
	s_branch .LBB6_845
.LBB6_1643:                             ;   in Loop: Header=BB6_393 Depth=4
	s_mov_b32 s13, -1
	s_mov_b32 s35, exec_lo
                                        ; implicit-def: $sgpr31
	v_cmpx_eq_u16_e32 0x80, v62
; %bb.1644:                             ;   in Loop: Header=BB6_393 Depth=4
	s_mov_b32 s31, 0x7f800001
	s_xor_b32 s13, exec_lo, -1
; %bb.1645:                             ;   in Loop: Header=BB6_393 Depth=4
	s_or_b32 exec_lo, exec_lo, s35
	s_delay_alu instid0(SALU_CYCLE_1)
	s_and_b32 s13, s13, exec_lo
                                        ; implicit-def: $vgpr62
	s_or_saveexec_b32 s34, s34
	v_mov_b32_e32 v61, s31
	s_xor_b32 exec_lo, exec_lo, s34
	s_cbranch_execz .LBB6_847
.LBB6_1646:                             ;   in Loop: Header=BB6_393 Depth=4
	v_cmp_ne_u16_e32 vcc_lo, 0, v62
	v_mov_b32_e32 v61, 0
	s_and_not1_b32 s13, s13, exec_lo
	s_and_b32 vcc_lo, vcc_lo, exec_lo
	s_delay_alu instid0(SALU_CYCLE_1)
	s_or_b32 s13, s13, vcc_lo
	s_or_b32 exec_lo, exec_lo, s34
	s_and_saveexec_b32 s31, s13
	s_cbranch_execnz .LBB6_848
	s_branch .LBB6_849
.LBB6_1647:                             ;   in Loop: Header=BB6_393 Depth=4
	s_mov_b32 s13, -1
	s_mov_b32 s35, exec_lo
                                        ; implicit-def: $sgpr31
	v_cmpx_eq_u16_e32 0x80, v62
; %bb.1648:                             ;   in Loop: Header=BB6_393 Depth=4
	s_mov_b32 s31, 0x7f800001
	s_xor_b32 s13, exec_lo, -1
; %bb.1649:                             ;   in Loop: Header=BB6_393 Depth=4
	s_or_b32 exec_lo, exec_lo, s35
	s_delay_alu instid0(SALU_CYCLE_1)
	s_and_b32 s13, s13, exec_lo
	s_or_saveexec_b32 s34, s34
	v_mov_b32_e32 v61, s31
	s_xor_b32 exec_lo, exec_lo, s34
	s_cbranch_execz .LBB6_859
.LBB6_1650:                             ;   in Loop: Header=BB6_393 Depth=4
	v_cmp_ne_u16_e32 vcc_lo, 0, v62
	v_mov_b32_e32 v61, 0
	s_and_not1_b32 s13, s13, exec_lo
	s_and_b32 vcc_lo, vcc_lo, exec_lo
	s_delay_alu instid0(SALU_CYCLE_1)
	s_or_b32 s13, s13, vcc_lo
	s_or_b32 exec_lo, exec_lo, s34
	s_and_saveexec_b32 s31, s13
	s_cbranch_execnz .LBB6_860
	s_branch .LBB6_861
.LBB6_1651:                             ;   in Loop: Header=BB6_393 Depth=4
	s_mov_b32 s13, -1
	s_mov_b32 s35, exec_lo
                                        ; implicit-def: $sgpr31
	v_cmpx_eq_u16_e32 0x80, v62
; %bb.1652:                             ;   in Loop: Header=BB6_393 Depth=4
	s_mov_b32 s31, 0x7f800001
	s_xor_b32 s13, exec_lo, -1
; %bb.1653:                             ;   in Loop: Header=BB6_393 Depth=4
	s_or_b32 exec_lo, exec_lo, s35
	s_delay_alu instid0(SALU_CYCLE_1)
	s_and_b32 s13, s13, exec_lo
	s_or_saveexec_b32 s34, s34
	v_mov_b32_e32 v63, s31
	s_xor_b32 exec_lo, exec_lo, s34
	s_cbranch_execz .LBB6_863
.LBB6_1654:                             ;   in Loop: Header=BB6_393 Depth=4
	v_cmp_ne_u16_e32 vcc_lo, 0, v62
	v_mov_b32_e32 v63, 0
	s_and_not1_b32 s13, s13, exec_lo
	s_and_b32 vcc_lo, vcc_lo, exec_lo
	s_delay_alu instid0(SALU_CYCLE_1)
	s_or_b32 s13, s13, vcc_lo
	s_or_b32 exec_lo, exec_lo, s34
	s_and_saveexec_b32 s31, s13
	s_cbranch_execnz .LBB6_864
	s_branch .LBB6_865
.LBB6_1655:                             ;   in Loop: Header=BB6_393 Depth=4
	s_mov_b32 s13, -1
	s_mov_b32 s35, exec_lo
                                        ; implicit-def: $sgpr31
	v_cmpx_eq_u16_e32 0x80, v72
; %bb.1656:                             ;   in Loop: Header=BB6_393 Depth=4
	s_mov_b32 s31, 0x7f800001
	s_xor_b32 s13, exec_lo, -1
; %bb.1657:                             ;   in Loop: Header=BB6_393 Depth=4
	s_or_b32 exec_lo, exec_lo, s35
	s_delay_alu instid0(SALU_CYCLE_1)
	s_and_b32 s13, s13, exec_lo
                                        ; implicit-def: $vgpr72
	s_or_saveexec_b32 s34, s34
	v_mov_b32_e32 v62, s31
	s_xor_b32 exec_lo, exec_lo, s34
	s_cbranch_execz .LBB6_875
.LBB6_1658:                             ;   in Loop: Header=BB6_393 Depth=4
	v_cmp_ne_u16_e32 vcc_lo, 0, v72
	v_mov_b32_e32 v62, 0
	s_and_not1_b32 s13, s13, exec_lo
	s_and_b32 vcc_lo, vcc_lo, exec_lo
	s_delay_alu instid0(SALU_CYCLE_1)
	s_or_b32 s13, s13, vcc_lo
	s_or_b32 exec_lo, exec_lo, s34
	s_and_saveexec_b32 s31, s13
	s_cbranch_execnz .LBB6_876
	s_branch .LBB6_877
.LBB6_1659:                             ;   in Loop: Header=BB6_393 Depth=4
	s_mov_b32 s13, -1
	s_mov_b32 s35, exec_lo
                                        ; implicit-def: $sgpr31
	v_cmpx_eq_u16_e32 0x80, v73
; %bb.1660:                             ;   in Loop: Header=BB6_393 Depth=4
	s_mov_b32 s31, 0x7f800001
	s_xor_b32 s13, exec_lo, -1
; %bb.1661:                             ;   in Loop: Header=BB6_393 Depth=4
	s_or_b32 exec_lo, exec_lo, s35
	s_delay_alu instid0(SALU_CYCLE_1)
	s_and_b32 s13, s13, exec_lo
                                        ; implicit-def: $vgpr73
	s_or_saveexec_b32 s34, s34
	v_mov_b32_e32 v72, s31
	s_xor_b32 exec_lo, exec_lo, s34
	s_cbranch_execz .LBB6_879
.LBB6_1662:                             ;   in Loop: Header=BB6_393 Depth=4
	v_cmp_ne_u16_e32 vcc_lo, 0, v73
	v_mov_b32_e32 v72, 0
	s_and_not1_b32 s13, s13, exec_lo
	s_and_b32 vcc_lo, vcc_lo, exec_lo
	s_delay_alu instid0(SALU_CYCLE_1)
	s_or_b32 s13, s13, vcc_lo
	s_or_b32 exec_lo, exec_lo, s34
	s_and_saveexec_b32 s31, s13
	s_cbranch_execnz .LBB6_880
	s_branch .LBB6_881
.LBB6_1663:                             ;   in Loop: Header=BB6_393 Depth=4
	s_mov_b32 s13, -1
	s_mov_b32 s35, exec_lo
                                        ; implicit-def: $sgpr31
	v_cmpx_eq_u16_e32 0x80, v72
; %bb.1664:                             ;   in Loop: Header=BB6_393 Depth=4
	s_mov_b32 s31, 0x7f800001
	s_xor_b32 s13, exec_lo, -1
; %bb.1665:                             ;   in Loop: Header=BB6_393 Depth=4
	s_or_b32 exec_lo, exec_lo, s35
	s_delay_alu instid0(SALU_CYCLE_1)
	s_and_b32 s13, s13, exec_lo
	s_or_saveexec_b32 s34, s34
	v_mov_b32_e32 v63, s31
	s_xor_b32 exec_lo, exec_lo, s34
	s_cbranch_execz .LBB6_891
.LBB6_1666:                             ;   in Loop: Header=BB6_393 Depth=4
	v_cmp_ne_u16_e32 vcc_lo, 0, v72
	v_mov_b32_e32 v63, 0
	s_and_not1_b32 s13, s13, exec_lo
	s_and_b32 vcc_lo, vcc_lo, exec_lo
	s_delay_alu instid0(SALU_CYCLE_1)
	s_or_b32 s13, s13, vcc_lo
	s_or_b32 exec_lo, exec_lo, s34
	s_and_saveexec_b32 s31, s13
	s_cbranch_execnz .LBB6_892
	s_branch .LBB6_893
.LBB6_1667:                             ;   in Loop: Header=BB6_393 Depth=4
	s_mov_b32 s13, -1
	s_mov_b32 s35, exec_lo
                                        ; implicit-def: $sgpr31
	v_cmpx_eq_u16_e32 0x80, v35
; %bb.1668:                             ;   in Loop: Header=BB6_393 Depth=4
	s_mov_b32 s31, 0x7f800001
	s_xor_b32 s13, exec_lo, -1
; %bb.1669:                             ;   in Loop: Header=BB6_393 Depth=4
	s_or_b32 exec_lo, exec_lo, s35
	s_delay_alu instid0(SALU_CYCLE_1)
	s_and_b32 s13, s13, exec_lo
	s_or_saveexec_b32 s34, s34
	v_mov_b32_e32 v72, s31
	s_xor_b32 exec_lo, exec_lo, s34
	s_cbranch_execz .LBB6_895
.LBB6_1670:                             ;   in Loop: Header=BB6_393 Depth=4
	v_cmp_ne_u16_e32 vcc_lo, 0, v35
	v_mov_b32_e32 v72, 0
	s_and_not1_b32 s13, s13, exec_lo
	s_and_b32 vcc_lo, vcc_lo, exec_lo
	s_delay_alu instid0(SALU_CYCLE_1)
	s_or_b32 s13, s13, vcc_lo
	s_or_b32 exec_lo, exec_lo, s34
	s_and_saveexec_b32 s31, s13
	s_cbranch_execnz .LBB6_896
	s_branch .LBB6_897
.LBB6_1671:                             ;   in Loop: Header=BB6_393 Depth=4
	s_mov_b32 s13, -1
	s_mov_b32 s35, exec_lo
                                        ; implicit-def: $sgpr31
	v_cmpx_eq_u16_e32 0x80, v63
; %bb.1672:                             ;   in Loop: Header=BB6_393 Depth=4
	s_mov_b32 s31, 0x7f800001
	s_xor_b32 s13, exec_lo, -1
; %bb.1673:                             ;   in Loop: Header=BB6_393 Depth=4
	s_or_b32 exec_lo, exec_lo, s35
	s_delay_alu instid0(SALU_CYCLE_1)
	s_and_b32 s13, s13, exec_lo
                                        ; implicit-def: $vgpr63
	s_or_saveexec_b32 s34, s34
	v_mov_b32_e32 v35, s31
	s_xor_b32 exec_lo, exec_lo, s34
	s_cbranch_execz .LBB6_907
.LBB6_1674:                             ;   in Loop: Header=BB6_393 Depth=4
	v_cmp_ne_u16_e32 vcc_lo, 0, v63
	v_mov_b32_e32 v35, 0
	s_and_not1_b32 s13, s13, exec_lo
	s_and_b32 vcc_lo, vcc_lo, exec_lo
	s_delay_alu instid0(SALU_CYCLE_1)
	s_or_b32 s13, s13, vcc_lo
	s_or_b32 exec_lo, exec_lo, s34
	s_and_saveexec_b32 s31, s13
	s_cbranch_execnz .LBB6_908
	s_branch .LBB6_909
.LBB6_1675:                             ;   in Loop: Header=BB6_393 Depth=4
	s_mov_b32 s13, -1
	s_mov_b32 s35, exec_lo
                                        ; implicit-def: $sgpr31
	v_cmpx_eq_u16_e32 0x80, v72
; %bb.1676:                             ;   in Loop: Header=BB6_393 Depth=4
	s_mov_b32 s31, 0x7f800001
	s_xor_b32 s13, exec_lo, -1
; %bb.1677:                             ;   in Loop: Header=BB6_393 Depth=4
	s_or_b32 exec_lo, exec_lo, s35
	s_delay_alu instid0(SALU_CYCLE_1)
	s_and_b32 s13, s13, exec_lo
                                        ; implicit-def: $vgpr72
	s_or_saveexec_b32 s34, s34
	v_mov_b32_e32 v63, s31
	s_xor_b32 exec_lo, exec_lo, s34
	s_cbranch_execz .LBB6_911
.LBB6_1678:                             ;   in Loop: Header=BB6_393 Depth=4
	v_cmp_ne_u16_e32 vcc_lo, 0, v72
	v_mov_b32_e32 v63, 0
	s_and_not1_b32 s13, s13, exec_lo
	s_and_b32 vcc_lo, vcc_lo, exec_lo
	s_delay_alu instid0(SALU_CYCLE_1)
	s_or_b32 s13, s13, vcc_lo
	s_or_b32 exec_lo, exec_lo, s34
	s_and_saveexec_b32 s31, s13
	s_cbranch_execnz .LBB6_912
	s_branch .LBB6_913
.LBB6_1679:                             ;   in Loop: Header=BB6_393 Depth=4
	s_mov_b32 s13, -1
	s_mov_b32 s35, exec_lo
                                        ; implicit-def: $sgpr31
	v_cmpx_eq_u16_e32 0x80, v72
; %bb.1680:                             ;   in Loop: Header=BB6_393 Depth=4
	s_mov_b32 s31, 0x7f800001
	s_xor_b32 s13, exec_lo, -1
; %bb.1681:                             ;   in Loop: Header=BB6_393 Depth=4
	s_or_b32 exec_lo, exec_lo, s35
	s_delay_alu instid0(SALU_CYCLE_1)
	s_and_b32 s13, s13, exec_lo
	s_or_saveexec_b32 s34, s34
	v_mov_b32_e32 v63, s31
	s_xor_b32 exec_lo, exec_lo, s34
	s_cbranch_execz .LBB6_923
.LBB6_1682:                             ;   in Loop: Header=BB6_393 Depth=4
	v_cmp_ne_u16_e32 vcc_lo, 0, v72
	v_mov_b32_e32 v63, 0
	s_and_not1_b32 s13, s13, exec_lo
	s_and_b32 vcc_lo, vcc_lo, exec_lo
	s_delay_alu instid0(SALU_CYCLE_1)
	s_or_b32 s13, s13, vcc_lo
	s_or_b32 exec_lo, exec_lo, s34
	s_and_saveexec_b32 s31, s13
	s_cbranch_execnz .LBB6_924
	s_branch .LBB6_925
.LBB6_1683:                             ;   in Loop: Header=BB6_393 Depth=4
	s_mov_b32 s13, -1
	s_mov_b32 s35, exec_lo
                                        ; implicit-def: $sgpr31
	v_cmpx_eq_u16_e32 0x80, v72
; %bb.1684:                             ;   in Loop: Header=BB6_393 Depth=4
	s_mov_b32 s31, 0x7f800001
	s_xor_b32 s13, exec_lo, -1
; %bb.1685:                             ;   in Loop: Header=BB6_393 Depth=4
	s_or_b32 exec_lo, exec_lo, s35
	s_delay_alu instid0(SALU_CYCLE_1)
	s_and_b32 s13, s13, exec_lo
	s_or_saveexec_b32 s34, s34
	v_mov_b32_e32 v73, s31
	s_xor_b32 exec_lo, exec_lo, s34
	s_cbranch_execz .LBB6_927
.LBB6_1686:                             ;   in Loop: Header=BB6_393 Depth=4
	v_cmp_ne_u16_e32 vcc_lo, 0, v72
	v_mov_b32_e32 v73, 0
	s_and_not1_b32 s13, s13, exec_lo
	s_and_b32 vcc_lo, vcc_lo, exec_lo
	s_delay_alu instid0(SALU_CYCLE_1)
	s_or_b32 s13, s13, vcc_lo
	s_or_b32 exec_lo, exec_lo, s34
	s_and_saveexec_b32 s31, s13
	s_cbranch_execnz .LBB6_928
	s_branch .LBB6_929
.LBB6_1687:                             ;   in Loop: Header=BB6_393 Depth=4
	s_mov_b32 s13, -1
	s_mov_b32 s35, exec_lo
                                        ; implicit-def: $sgpr31
	v_cmpx_eq_u16_e32 0x80, v74
; %bb.1688:                             ;   in Loop: Header=BB6_393 Depth=4
	s_mov_b32 s31, 0x7f800001
	s_xor_b32 s13, exec_lo, -1
; %bb.1689:                             ;   in Loop: Header=BB6_393 Depth=4
	s_or_b32 exec_lo, exec_lo, s35
	s_delay_alu instid0(SALU_CYCLE_1)
	s_and_b32 s13, s13, exec_lo
                                        ; implicit-def: $vgpr74
	s_or_saveexec_b32 s34, s34
	v_mov_b32_e32 v72, s31
	s_xor_b32 exec_lo, exec_lo, s34
	s_cbranch_execz .LBB6_939
.LBB6_1690:                             ;   in Loop: Header=BB6_393 Depth=4
	v_cmp_ne_u16_e32 vcc_lo, 0, v74
	v_mov_b32_e32 v72, 0
	s_and_not1_b32 s13, s13, exec_lo
	s_and_b32 vcc_lo, vcc_lo, exec_lo
	s_delay_alu instid0(SALU_CYCLE_1)
	s_or_b32 s13, s13, vcc_lo
	s_or_b32 exec_lo, exec_lo, s34
	s_and_saveexec_b32 s31, s13
	s_cbranch_execnz .LBB6_940
	s_branch .LBB6_941
.LBB6_1691:                             ;   in Loop: Header=BB6_393 Depth=4
	s_mov_b32 s13, -1
	s_mov_b32 s35, exec_lo
                                        ; implicit-def: $sgpr31
	v_cmpx_eq_u16_e32 0x80, v75
; %bb.1692:                             ;   in Loop: Header=BB6_393 Depth=4
	s_mov_b32 s31, 0x7f800001
	s_xor_b32 s13, exec_lo, -1
; %bb.1693:                             ;   in Loop: Header=BB6_393 Depth=4
	s_or_b32 exec_lo, exec_lo, s35
	s_delay_alu instid0(SALU_CYCLE_1)
	s_and_b32 s13, s13, exec_lo
                                        ; implicit-def: $vgpr75
	s_or_saveexec_b32 s34, s34
	v_mov_b32_e32 v74, s31
	s_xor_b32 exec_lo, exec_lo, s34
	s_cbranch_execz .LBB6_943
.LBB6_1694:                             ;   in Loop: Header=BB6_393 Depth=4
	v_cmp_ne_u16_e32 vcc_lo, 0, v75
	v_mov_b32_e32 v74, 0
	s_and_not1_b32 s13, s13, exec_lo
	s_and_b32 vcc_lo, vcc_lo, exec_lo
	s_delay_alu instid0(SALU_CYCLE_1)
	s_or_b32 s13, s13, vcc_lo
	s_or_b32 exec_lo, exec_lo, s34
	s_and_saveexec_b32 s31, s13
	s_cbranch_execnz .LBB6_944
	s_branch .LBB6_945
.LBB6_1695:                             ;   in Loop: Header=BB6_393 Depth=4
	s_mov_b32 s13, -1
	s_mov_b32 s35, exec_lo
                                        ; implicit-def: $sgpr31
	v_cmpx_eq_u16_e32 0x80, v74
; %bb.1696:                             ;   in Loop: Header=BB6_393 Depth=4
	s_mov_b32 s31, 0x7f800001
	s_xor_b32 s13, exec_lo, -1
; %bb.1697:                             ;   in Loop: Header=BB6_393 Depth=4
	s_or_b32 exec_lo, exec_lo, s35
	s_delay_alu instid0(SALU_CYCLE_1)
	s_and_b32 s13, s13, exec_lo
	s_or_saveexec_b32 s34, s34
	v_mov_b32_e32 v73, s31
	s_xor_b32 exec_lo, exec_lo, s34
	s_cbranch_execz .LBB6_955
.LBB6_1698:                             ;   in Loop: Header=BB6_393 Depth=4
	v_cmp_ne_u16_e32 vcc_lo, 0, v74
	v_mov_b32_e32 v73, 0
	s_and_not1_b32 s13, s13, exec_lo
	s_and_b32 vcc_lo, vcc_lo, exec_lo
	s_delay_alu instid0(SALU_CYCLE_1)
	s_or_b32 s13, s13, vcc_lo
	s_or_b32 exec_lo, exec_lo, s34
	s_and_saveexec_b32 s31, s13
	s_cbranch_execnz .LBB6_956
	s_branch .LBB6_957
.LBB6_1699:                             ;   in Loop: Header=BB6_393 Depth=4
	s_mov_b32 s13, -1
	s_mov_b32 s35, exec_lo
                                        ; implicit-def: $sgpr31
	v_cmpx_eq_u16_e32 0x80, v20
; %bb.1700:                             ;   in Loop: Header=BB6_393 Depth=4
	s_mov_b32 s31, 0x7f800001
	s_xor_b32 s13, exec_lo, -1
; %bb.1701:                             ;   in Loop: Header=BB6_393 Depth=4
	s_or_b32 exec_lo, exec_lo, s35
	s_delay_alu instid0(SALU_CYCLE_1)
	s_and_b32 s13, s13, exec_lo
	s_or_saveexec_b32 s34, s34
	v_mov_b32_e32 v74, s31
	s_xor_b32 exec_lo, exec_lo, s34
	s_cbranch_execz .LBB6_959
.LBB6_1702:                             ;   in Loop: Header=BB6_393 Depth=4
	v_cmp_ne_u16_e32 vcc_lo, 0, v20
	v_mov_b32_e32 v74, 0
	s_and_not1_b32 s13, s13, exec_lo
	s_and_b32 vcc_lo, vcc_lo, exec_lo
	s_delay_alu instid0(SALU_CYCLE_1)
	s_or_b32 s13, s13, vcc_lo
	s_or_b32 exec_lo, exec_lo, s34
	s_and_saveexec_b32 s31, s13
	s_cbranch_execnz .LBB6_960
	s_branch .LBB6_961
.LBB6_1703:                             ;   in Loop: Header=BB6_393 Depth=4
	s_mov_b32 s13, -1
	s_mov_b32 s35, exec_lo
                                        ; implicit-def: $sgpr31
	v_cmpx_eq_u16_e32 0x80, v73
; %bb.1704:                             ;   in Loop: Header=BB6_393 Depth=4
	s_mov_b32 s31, 0x7f800001
	s_xor_b32 s13, exec_lo, -1
; %bb.1705:                             ;   in Loop: Header=BB6_393 Depth=4
	s_or_b32 exec_lo, exec_lo, s35
	s_delay_alu instid0(SALU_CYCLE_1)
	s_and_b32 s13, s13, exec_lo
                                        ; implicit-def: $vgpr73
	s_or_saveexec_b32 s34, s34
	v_mov_b32_e32 v20, s31
	s_xor_b32 exec_lo, exec_lo, s34
	s_cbranch_execz .LBB6_971
.LBB6_1706:                             ;   in Loop: Header=BB6_393 Depth=4
	v_cmp_ne_u16_e32 vcc_lo, 0, v73
	v_mov_b32_e32 v20, 0
	s_and_not1_b32 s13, s13, exec_lo
	s_and_b32 vcc_lo, vcc_lo, exec_lo
	s_delay_alu instid0(SALU_CYCLE_1)
	s_or_b32 s13, s13, vcc_lo
	s_or_b32 exec_lo, exec_lo, s34
	s_and_saveexec_b32 s31, s13
	s_cbranch_execnz .LBB6_972
	s_branch .LBB6_973
.LBB6_1707:                             ;   in Loop: Header=BB6_393 Depth=4
	s_mov_b32 s13, -1
	s_mov_b32 s35, exec_lo
                                        ; implicit-def: $sgpr31
	v_cmpx_eq_u16_e32 0x80, v74
; %bb.1708:                             ;   in Loop: Header=BB6_393 Depth=4
	s_mov_b32 s31, 0x7f800001
	s_xor_b32 s13, exec_lo, -1
; %bb.1709:                             ;   in Loop: Header=BB6_393 Depth=4
	s_or_b32 exec_lo, exec_lo, s35
	s_delay_alu instid0(SALU_CYCLE_1)
	s_and_b32 s13, s13, exec_lo
                                        ; implicit-def: $vgpr74
	s_or_saveexec_b32 s34, s34
	v_mov_b32_e32 v73, s31
	s_xor_b32 exec_lo, exec_lo, s34
	s_cbranch_execz .LBB6_975
.LBB6_1710:                             ;   in Loop: Header=BB6_393 Depth=4
	v_cmp_ne_u16_e32 vcc_lo, 0, v74
	v_mov_b32_e32 v73, 0
	s_and_not1_b32 s13, s13, exec_lo
	s_and_b32 vcc_lo, vcc_lo, exec_lo
	s_delay_alu instid0(SALU_CYCLE_1)
	s_or_b32 s13, s13, vcc_lo
	s_or_b32 exec_lo, exec_lo, s34
	s_and_saveexec_b32 s31, s13
	s_cbranch_execnz .LBB6_976
	s_branch .LBB6_977
.LBB6_1711:                             ;   in Loop: Header=BB6_393 Depth=4
	s_mov_b32 s13, -1
	s_mov_b32 s35, exec_lo
                                        ; implicit-def: $sgpr31
	v_cmpx_eq_u16_e32 0x80, v74
; %bb.1712:                             ;   in Loop: Header=BB6_393 Depth=4
	s_mov_b32 s31, 0x7f800001
	s_xor_b32 s13, exec_lo, -1
; %bb.1713:                             ;   in Loop: Header=BB6_393 Depth=4
	s_or_b32 exec_lo, exec_lo, s35
	s_delay_alu instid0(SALU_CYCLE_1)
	s_and_b32 s13, s13, exec_lo
	s_or_saveexec_b32 s34, s34
	v_mov_b32_e32 v73, s31
	s_xor_b32 exec_lo, exec_lo, s34
	s_cbranch_execz .LBB6_987
.LBB6_1714:                             ;   in Loop: Header=BB6_393 Depth=4
	v_cmp_ne_u16_e32 vcc_lo, 0, v74
	v_mov_b32_e32 v73, 0
	s_and_not1_b32 s13, s13, exec_lo
	s_and_b32 vcc_lo, vcc_lo, exec_lo
	s_delay_alu instid0(SALU_CYCLE_1)
	s_or_b32 s13, s13, vcc_lo
	s_or_b32 exec_lo, exec_lo, s34
	s_and_saveexec_b32 s31, s13
	s_cbranch_execnz .LBB6_988
	s_branch .LBB6_989
.LBB6_1715:                             ;   in Loop: Header=BB6_393 Depth=4
	s_mov_b32 s13, -1
	s_mov_b32 s35, exec_lo
                                        ; implicit-def: $sgpr31
	v_cmpx_eq_u16_e32 0x80, v74
; %bb.1716:                             ;   in Loop: Header=BB6_393 Depth=4
	s_mov_b32 s31, 0x7f800001
	s_xor_b32 s13, exec_lo, -1
; %bb.1717:                             ;   in Loop: Header=BB6_393 Depth=4
	s_or_b32 exec_lo, exec_lo, s35
	s_delay_alu instid0(SALU_CYCLE_1)
	s_and_b32 s13, s13, exec_lo
	s_or_saveexec_b32 s34, s34
	v_mov_b32_e32 v75, s31
	s_xor_b32 exec_lo, exec_lo, s34
	s_cbranch_execz .LBB6_991
.LBB6_1718:                             ;   in Loop: Header=BB6_393 Depth=4
	v_cmp_ne_u16_e32 vcc_lo, 0, v74
	v_mov_b32_e32 v75, 0
	s_and_not1_b32 s13, s13, exec_lo
	s_and_b32 vcc_lo, vcc_lo, exec_lo
	s_delay_alu instid0(SALU_CYCLE_1)
	s_or_b32 s13, s13, vcc_lo
	s_or_b32 exec_lo, exec_lo, s34
	s_and_saveexec_b32 s31, s13
	s_cbranch_execnz .LBB6_992
	s_branch .LBB6_993
.LBB6_1719:                             ;   in Loop: Header=BB6_393 Depth=4
	s_mov_b32 s13, -1
	s_mov_b32 s35, exec_lo
                                        ; implicit-def: $sgpr31
	v_cmpx_eq_u16_e32 0x80, v76
; %bb.1720:                             ;   in Loop: Header=BB6_393 Depth=4
	s_mov_b32 s31, 0x7f800001
	s_xor_b32 s13, exec_lo, -1
; %bb.1721:                             ;   in Loop: Header=BB6_393 Depth=4
	s_or_b32 exec_lo, exec_lo, s35
	s_delay_alu instid0(SALU_CYCLE_1)
	s_and_b32 s13, s13, exec_lo
                                        ; implicit-def: $vgpr76
	s_or_saveexec_b32 s34, s34
	v_mov_b32_e32 v74, s31
	s_xor_b32 exec_lo, exec_lo, s34
	s_cbranch_execz .LBB6_1003
.LBB6_1722:                             ;   in Loop: Header=BB6_393 Depth=4
	v_cmp_ne_u16_e32 vcc_lo, 0, v76
	v_mov_b32_e32 v74, 0
	s_and_not1_b32 s13, s13, exec_lo
	s_and_b32 vcc_lo, vcc_lo, exec_lo
	s_delay_alu instid0(SALU_CYCLE_1)
	s_or_b32 s13, s13, vcc_lo
	s_or_b32 exec_lo, exec_lo, s34
	s_and_saveexec_b32 s31, s13
	s_cbranch_execnz .LBB6_1004
	s_branch .LBB6_1005
.LBB6_1723:                             ;   in Loop: Header=BB6_393 Depth=4
	s_mov_b32 s13, -1
	s_mov_b32 s35, exec_lo
                                        ; implicit-def: $sgpr31
	v_cmpx_eq_u16_e32 0x80, v77
; %bb.1724:                             ;   in Loop: Header=BB6_393 Depth=4
	s_mov_b32 s31, 0x7f800001
	s_xor_b32 s13, exec_lo, -1
; %bb.1725:                             ;   in Loop: Header=BB6_393 Depth=4
	s_or_b32 exec_lo, exec_lo, s35
	s_delay_alu instid0(SALU_CYCLE_1)
	s_and_b32 s13, s13, exec_lo
                                        ; implicit-def: $vgpr77
	s_or_saveexec_b32 s34, s34
	v_mov_b32_e32 v76, s31
	s_xor_b32 exec_lo, exec_lo, s34
	s_cbranch_execz .LBB6_1007
.LBB6_1726:                             ;   in Loop: Header=BB6_393 Depth=4
	v_cmp_ne_u16_e32 vcc_lo, 0, v77
	v_mov_b32_e32 v76, 0
	s_and_not1_b32 s13, s13, exec_lo
	s_and_b32 vcc_lo, vcc_lo, exec_lo
	s_delay_alu instid0(SALU_CYCLE_1)
	s_or_b32 s13, s13, vcc_lo
	s_or_b32 exec_lo, exec_lo, s34
	s_and_saveexec_b32 s31, s13
	s_cbranch_execnz .LBB6_1008
	s_branch .LBB6_1009
.LBB6_1727:                             ;   in Loop: Header=BB6_393 Depth=4
	s_mov_b32 s13, -1
	s_mov_b32 s35, exec_lo
                                        ; implicit-def: $sgpr31
	v_cmpx_eq_u16_e32 0x80, v76
; %bb.1728:                             ;   in Loop: Header=BB6_393 Depth=4
	s_mov_b32 s31, 0x7f800001
	s_xor_b32 s13, exec_lo, -1
; %bb.1729:                             ;   in Loop: Header=BB6_393 Depth=4
	s_or_b32 exec_lo, exec_lo, s35
	s_delay_alu instid0(SALU_CYCLE_1)
	s_and_b32 s13, s13, exec_lo
	s_or_saveexec_b32 s34, s34
	v_mov_b32_e32 v75, s31
	s_xor_b32 exec_lo, exec_lo, s34
	s_cbranch_execz .LBB6_1019
.LBB6_1730:                             ;   in Loop: Header=BB6_393 Depth=4
	v_cmp_ne_u16_e32 vcc_lo, 0, v76
	v_mov_b32_e32 v75, 0
	s_and_not1_b32 s13, s13, exec_lo
	s_and_b32 vcc_lo, vcc_lo, exec_lo
	s_delay_alu instid0(SALU_CYCLE_1)
	s_or_b32 s13, s13, vcc_lo
	s_or_b32 exec_lo, exec_lo, s34
	s_and_saveexec_b32 s31, s13
	s_cbranch_execnz .LBB6_1020
	s_branch .LBB6_1021
.LBB6_1731:                             ;   in Loop: Header=BB6_393 Depth=4
	s_mov_b32 s13, -1
	s_mov_b32 s35, exec_lo
                                        ; implicit-def: $sgpr31
	v_cmpx_eq_u16_e32 0x80, v21
; %bb.1732:                             ;   in Loop: Header=BB6_393 Depth=4
	s_mov_b32 s31, 0x7f800001
	s_xor_b32 s13, exec_lo, -1
; %bb.1733:                             ;   in Loop: Header=BB6_393 Depth=4
	s_or_b32 exec_lo, exec_lo, s35
	s_delay_alu instid0(SALU_CYCLE_1)
	s_and_b32 s13, s13, exec_lo
	s_or_saveexec_b32 s34, s34
	v_mov_b32_e32 v76, s31
	s_xor_b32 exec_lo, exec_lo, s34
	s_cbranch_execz .LBB6_1023
.LBB6_1734:                             ;   in Loop: Header=BB6_393 Depth=4
	v_cmp_ne_u16_e32 vcc_lo, 0, v21
	v_mov_b32_e32 v76, 0
	s_and_not1_b32 s13, s13, exec_lo
	s_and_b32 vcc_lo, vcc_lo, exec_lo
	s_delay_alu instid0(SALU_CYCLE_1)
	s_or_b32 s13, s13, vcc_lo
	s_or_b32 exec_lo, exec_lo, s34
	s_and_saveexec_b32 s31, s13
	s_cbranch_execnz .LBB6_1024
	s_branch .LBB6_1025
.LBB6_1735:                             ;   in Loop: Header=BB6_393 Depth=4
	s_mov_b32 s13, -1
	s_mov_b32 s35, exec_lo
                                        ; implicit-def: $sgpr31
	v_cmpx_eq_u16_e32 0x80, v75
; %bb.1736:                             ;   in Loop: Header=BB6_393 Depth=4
	s_mov_b32 s31, 0x7f800001
	s_xor_b32 s13, exec_lo, -1
; %bb.1737:                             ;   in Loop: Header=BB6_393 Depth=4
	s_or_b32 exec_lo, exec_lo, s35
	s_delay_alu instid0(SALU_CYCLE_1)
	s_and_b32 s13, s13, exec_lo
                                        ; implicit-def: $vgpr75
	s_or_saveexec_b32 s34, s34
	v_mov_b32_e32 v21, s31
	s_xor_b32 exec_lo, exec_lo, s34
	s_cbranch_execz .LBB6_1035
.LBB6_1738:                             ;   in Loop: Header=BB6_393 Depth=4
	v_cmp_ne_u16_e32 vcc_lo, 0, v75
	v_mov_b32_e32 v21, 0
	s_and_not1_b32 s13, s13, exec_lo
	s_and_b32 vcc_lo, vcc_lo, exec_lo
	s_delay_alu instid0(SALU_CYCLE_1)
	s_or_b32 s13, s13, vcc_lo
	s_or_b32 exec_lo, exec_lo, s34
	s_and_saveexec_b32 s31, s13
	s_cbranch_execnz .LBB6_1036
	s_branch .LBB6_1037
.LBB6_1739:                             ;   in Loop: Header=BB6_393 Depth=4
	s_mov_b32 s13, -1
	s_mov_b32 s35, exec_lo
                                        ; implicit-def: $sgpr31
	v_cmpx_eq_u16_e32 0x80, v76
; %bb.1740:                             ;   in Loop: Header=BB6_393 Depth=4
	s_mov_b32 s31, 0x7f800001
	s_xor_b32 s13, exec_lo, -1
; %bb.1741:                             ;   in Loop: Header=BB6_393 Depth=4
	s_or_b32 exec_lo, exec_lo, s35
	s_delay_alu instid0(SALU_CYCLE_1)
	s_and_b32 s13, s13, exec_lo
                                        ; implicit-def: $vgpr76
	s_or_saveexec_b32 s34, s34
	v_mov_b32_e32 v75, s31
	s_xor_b32 exec_lo, exec_lo, s34
	s_cbranch_execz .LBB6_1039
.LBB6_1742:                             ;   in Loop: Header=BB6_393 Depth=4
	v_cmp_ne_u16_e32 vcc_lo, 0, v76
	v_mov_b32_e32 v75, 0
	s_and_not1_b32 s13, s13, exec_lo
	s_and_b32 vcc_lo, vcc_lo, exec_lo
	s_delay_alu instid0(SALU_CYCLE_1)
	s_or_b32 s13, s13, vcc_lo
	s_or_b32 exec_lo, exec_lo, s34
	s_and_saveexec_b32 s31, s13
	s_cbranch_execnz .LBB6_1040
	s_branch .LBB6_1041
.LBB6_1743:                             ;   in Loop: Header=BB6_393 Depth=4
	s_mov_b32 s13, -1
	s_mov_b32 s35, exec_lo
                                        ; implicit-def: $sgpr31
	v_cmpx_eq_u16_e32 0x80, v76
; %bb.1744:                             ;   in Loop: Header=BB6_393 Depth=4
	s_mov_b32 s31, 0x7f800001
	s_xor_b32 s13, exec_lo, -1
; %bb.1745:                             ;   in Loop: Header=BB6_393 Depth=4
	s_or_b32 exec_lo, exec_lo, s35
	s_delay_alu instid0(SALU_CYCLE_1)
	s_and_b32 s13, s13, exec_lo
	s_or_saveexec_b32 s34, s34
	v_mov_b32_e32 v75, s31
	s_xor_b32 exec_lo, exec_lo, s34
	s_cbranch_execz .LBB6_1051
.LBB6_1746:                             ;   in Loop: Header=BB6_393 Depth=4
	v_cmp_ne_u16_e32 vcc_lo, 0, v76
	v_mov_b32_e32 v75, 0
	s_and_not1_b32 s13, s13, exec_lo
	s_and_b32 vcc_lo, vcc_lo, exec_lo
	s_delay_alu instid0(SALU_CYCLE_1)
	s_or_b32 s13, s13, vcc_lo
	s_or_b32 exec_lo, exec_lo, s34
	s_and_saveexec_b32 s31, s13
	s_cbranch_execnz .LBB6_1052
	s_branch .LBB6_1053
.LBB6_1747:                             ;   in Loop: Header=BB6_393 Depth=4
	s_mov_b32 s13, -1
	s_mov_b32 s35, exec_lo
                                        ; implicit-def: $sgpr31
	v_cmpx_eq_u16_e32 0x80, v76
; %bb.1748:                             ;   in Loop: Header=BB6_393 Depth=4
	s_mov_b32 s31, 0x7f800001
	s_xor_b32 s13, exec_lo, -1
; %bb.1749:                             ;   in Loop: Header=BB6_393 Depth=4
	s_or_b32 exec_lo, exec_lo, s35
	s_delay_alu instid0(SALU_CYCLE_1)
	s_and_b32 s13, s13, exec_lo
	s_or_saveexec_b32 s34, s34
	v_mov_b32_e32 v77, s31
	s_xor_b32 exec_lo, exec_lo, s34
	s_cbranch_execz .LBB6_1055
.LBB6_1750:                             ;   in Loop: Header=BB6_393 Depth=4
	v_cmp_ne_u16_e32 vcc_lo, 0, v76
	v_mov_b32_e32 v77, 0
	s_and_not1_b32 s13, s13, exec_lo
	s_and_b32 vcc_lo, vcc_lo, exec_lo
	s_delay_alu instid0(SALU_CYCLE_1)
	s_or_b32 s13, s13, vcc_lo
	s_or_b32 exec_lo, exec_lo, s34
	s_and_saveexec_b32 s31, s13
	s_cbranch_execnz .LBB6_1056
	s_branch .LBB6_1057
.LBB6_1751:                             ;   in Loop: Header=BB6_393 Depth=4
	s_mov_b32 s13, -1
	s_mov_b32 s35, exec_lo
                                        ; implicit-def: $sgpr31
	v_cmpx_eq_u16_e32 0x80, v78
; %bb.1752:                             ;   in Loop: Header=BB6_393 Depth=4
	s_mov_b32 s31, 0x7f800001
	s_xor_b32 s13, exec_lo, -1
; %bb.1753:                             ;   in Loop: Header=BB6_393 Depth=4
	s_or_b32 exec_lo, exec_lo, s35
	s_delay_alu instid0(SALU_CYCLE_1)
	s_and_b32 s13, s13, exec_lo
                                        ; implicit-def: $vgpr78
	s_or_saveexec_b32 s34, s34
	v_mov_b32_e32 v76, s31
	s_xor_b32 exec_lo, exec_lo, s34
	s_cbranch_execz .LBB6_1067
.LBB6_1754:                             ;   in Loop: Header=BB6_393 Depth=4
	v_cmp_ne_u16_e32 vcc_lo, 0, v78
	v_mov_b32_e32 v76, 0
	s_and_not1_b32 s13, s13, exec_lo
	s_and_b32 vcc_lo, vcc_lo, exec_lo
	s_delay_alu instid0(SALU_CYCLE_1)
	s_or_b32 s13, s13, vcc_lo
	s_or_b32 exec_lo, exec_lo, s34
	s_and_saveexec_b32 s31, s13
	s_cbranch_execnz .LBB6_1068
	s_branch .LBB6_1069
.LBB6_1755:                             ;   in Loop: Header=BB6_393 Depth=4
	s_mov_b32 s13, -1
	s_mov_b32 s35, exec_lo
                                        ; implicit-def: $sgpr31
	v_cmpx_eq_u16_e32 0x80, v79
; %bb.1756:                             ;   in Loop: Header=BB6_393 Depth=4
	s_mov_b32 s31, 0x7f800001
	s_xor_b32 s13, exec_lo, -1
; %bb.1757:                             ;   in Loop: Header=BB6_393 Depth=4
	s_or_b32 exec_lo, exec_lo, s35
	s_delay_alu instid0(SALU_CYCLE_1)
	s_and_b32 s13, s13, exec_lo
                                        ; implicit-def: $vgpr79
	s_or_saveexec_b32 s34, s34
	v_mov_b32_e32 v78, s31
	s_xor_b32 exec_lo, exec_lo, s34
	s_cbranch_execz .LBB6_1071
.LBB6_1758:                             ;   in Loop: Header=BB6_393 Depth=4
	v_cmp_ne_u16_e32 vcc_lo, 0, v79
	v_mov_b32_e32 v78, 0
	s_and_not1_b32 s13, s13, exec_lo
	s_and_b32 vcc_lo, vcc_lo, exec_lo
	s_delay_alu instid0(SALU_CYCLE_1)
	s_or_b32 s13, s13, vcc_lo
	s_or_b32 exec_lo, exec_lo, s34
	s_and_saveexec_b32 s31, s13
	s_cbranch_execnz .LBB6_1072
	s_branch .LBB6_1073
.LBB6_1759:                             ;   in Loop: Header=BB6_393 Depth=4
	s_mov_b32 s13, -1
	s_mov_b32 s35, exec_lo
                                        ; implicit-def: $sgpr31
	v_cmpx_eq_u16_e32 0x80, v78
; %bb.1760:                             ;   in Loop: Header=BB6_393 Depth=4
	s_mov_b32 s31, 0x7f800001
	s_xor_b32 s13, exec_lo, -1
; %bb.1761:                             ;   in Loop: Header=BB6_393 Depth=4
	s_or_b32 exec_lo, exec_lo, s35
	s_delay_alu instid0(SALU_CYCLE_1)
	s_and_b32 s13, s13, exec_lo
	s_or_saveexec_b32 s34, s34
	v_mov_b32_e32 v77, s31
	s_xor_b32 exec_lo, exec_lo, s34
	s_cbranch_execz .LBB6_1083
.LBB6_1762:                             ;   in Loop: Header=BB6_393 Depth=4
	v_cmp_ne_u16_e32 vcc_lo, 0, v78
	v_mov_b32_e32 v77, 0
	s_and_not1_b32 s13, s13, exec_lo
	s_and_b32 vcc_lo, vcc_lo, exec_lo
	s_delay_alu instid0(SALU_CYCLE_1)
	s_or_b32 s13, s13, vcc_lo
	s_or_b32 exec_lo, exec_lo, s34
	s_and_saveexec_b32 s31, s13
	s_cbranch_execnz .LBB6_1084
	s_branch .LBB6_1085
.LBB6_1763:                             ;   in Loop: Header=BB6_393 Depth=4
	s_mov_b32 s13, -1
	s_mov_b32 s35, exec_lo
                                        ; implicit-def: $sgpr31
	v_cmpx_eq_u16_e32 0x80, v22
; %bb.1764:                             ;   in Loop: Header=BB6_393 Depth=4
	s_mov_b32 s31, 0x7f800001
	s_xor_b32 s13, exec_lo, -1
; %bb.1765:                             ;   in Loop: Header=BB6_393 Depth=4
	s_or_b32 exec_lo, exec_lo, s35
	s_delay_alu instid0(SALU_CYCLE_1)
	s_and_b32 s13, s13, exec_lo
	s_or_saveexec_b32 s34, s34
	v_mov_b32_e32 v78, s31
	s_xor_b32 exec_lo, exec_lo, s34
	s_cbranch_execz .LBB6_1087
.LBB6_1766:                             ;   in Loop: Header=BB6_393 Depth=4
	v_cmp_ne_u16_e32 vcc_lo, 0, v22
	v_mov_b32_e32 v78, 0
	s_and_not1_b32 s13, s13, exec_lo
	s_and_b32 vcc_lo, vcc_lo, exec_lo
	s_delay_alu instid0(SALU_CYCLE_1)
	s_or_b32 s13, s13, vcc_lo
	s_or_b32 exec_lo, exec_lo, s34
	s_and_saveexec_b32 s31, s13
	s_cbranch_execnz .LBB6_1088
	s_branch .LBB6_1089
.LBB6_1767:                             ;   in Loop: Header=BB6_393 Depth=4
	s_mov_b32 s13, -1
	s_mov_b32 s35, exec_lo
                                        ; implicit-def: $sgpr31
	v_cmpx_eq_u16_e32 0x80, v77
; %bb.1768:                             ;   in Loop: Header=BB6_393 Depth=4
	s_mov_b32 s31, 0x7f800001
	s_xor_b32 s13, exec_lo, -1
; %bb.1769:                             ;   in Loop: Header=BB6_393 Depth=4
	s_or_b32 exec_lo, exec_lo, s35
	s_delay_alu instid0(SALU_CYCLE_1)
	s_and_b32 s13, s13, exec_lo
                                        ; implicit-def: $vgpr77
	s_or_saveexec_b32 s34, s34
	v_mov_b32_e32 v22, s31
	s_xor_b32 exec_lo, exec_lo, s34
	s_cbranch_execz .LBB6_1099
.LBB6_1770:                             ;   in Loop: Header=BB6_393 Depth=4
	v_cmp_ne_u16_e32 vcc_lo, 0, v77
	v_mov_b32_e32 v22, 0
	s_and_not1_b32 s13, s13, exec_lo
	s_and_b32 vcc_lo, vcc_lo, exec_lo
	s_delay_alu instid0(SALU_CYCLE_1)
	s_or_b32 s13, s13, vcc_lo
	s_or_b32 exec_lo, exec_lo, s34
	s_and_saveexec_b32 s31, s13
	s_cbranch_execnz .LBB6_1100
	s_branch .LBB6_1101
.LBB6_1771:                             ;   in Loop: Header=BB6_393 Depth=4
	s_mov_b32 s13, -1
	s_mov_b32 s35, exec_lo
                                        ; implicit-def: $sgpr31
	v_cmpx_eq_u16_e32 0x80, v78
; %bb.1772:                             ;   in Loop: Header=BB6_393 Depth=4
	s_mov_b32 s31, 0x7f800001
	s_xor_b32 s13, exec_lo, -1
; %bb.1773:                             ;   in Loop: Header=BB6_393 Depth=4
	s_or_b32 exec_lo, exec_lo, s35
	s_delay_alu instid0(SALU_CYCLE_1)
	s_and_b32 s13, s13, exec_lo
                                        ; implicit-def: $vgpr78
	s_or_saveexec_b32 s34, s34
	v_mov_b32_e32 v77, s31
	s_xor_b32 exec_lo, exec_lo, s34
	s_cbranch_execz .LBB6_1103
.LBB6_1774:                             ;   in Loop: Header=BB6_393 Depth=4
	v_cmp_ne_u16_e32 vcc_lo, 0, v78
	v_mov_b32_e32 v77, 0
	s_and_not1_b32 s13, s13, exec_lo
	s_and_b32 vcc_lo, vcc_lo, exec_lo
	s_delay_alu instid0(SALU_CYCLE_1)
	s_or_b32 s13, s13, vcc_lo
	s_or_b32 exec_lo, exec_lo, s34
	s_and_saveexec_b32 s31, s13
	s_cbranch_execnz .LBB6_1104
	s_branch .LBB6_1105
.LBB6_1775:                             ;   in Loop: Header=BB6_393 Depth=4
	s_mov_b32 s13, -1
	s_mov_b32 s35, exec_lo
                                        ; implicit-def: $sgpr31
	v_cmpx_eq_u16_e32 0x80, v78
; %bb.1776:                             ;   in Loop: Header=BB6_393 Depth=4
	s_mov_b32 s31, 0x7f800001
	s_xor_b32 s13, exec_lo, -1
; %bb.1777:                             ;   in Loop: Header=BB6_393 Depth=4
	s_or_b32 exec_lo, exec_lo, s35
	s_delay_alu instid0(SALU_CYCLE_1)
	s_and_b32 s13, s13, exec_lo
	s_or_saveexec_b32 s34, s34
	v_mov_b32_e32 v77, s31
	s_xor_b32 exec_lo, exec_lo, s34
	s_cbranch_execz .LBB6_1115
.LBB6_1778:                             ;   in Loop: Header=BB6_393 Depth=4
	v_cmp_ne_u16_e32 vcc_lo, 0, v78
	v_mov_b32_e32 v77, 0
	s_and_not1_b32 s13, s13, exec_lo
	s_and_b32 vcc_lo, vcc_lo, exec_lo
	s_delay_alu instid0(SALU_CYCLE_1)
	s_or_b32 s13, s13, vcc_lo
	s_or_b32 exec_lo, exec_lo, s34
	s_and_saveexec_b32 s31, s13
	s_cbranch_execnz .LBB6_1116
	s_branch .LBB6_1117
.LBB6_1779:                             ;   in Loop: Header=BB6_393 Depth=4
	s_mov_b32 s13, -1
	s_mov_b32 s35, exec_lo
                                        ; implicit-def: $sgpr31
	v_cmpx_eq_u16_e32 0x80, v78
; %bb.1780:                             ;   in Loop: Header=BB6_393 Depth=4
	s_mov_b32 s31, 0x7f800001
	s_xor_b32 s13, exec_lo, -1
; %bb.1781:                             ;   in Loop: Header=BB6_393 Depth=4
	s_or_b32 exec_lo, exec_lo, s35
	s_delay_alu instid0(SALU_CYCLE_1)
	s_and_b32 s13, s13, exec_lo
	s_or_saveexec_b32 s34, s34
	v_mov_b32_e32 v79, s31
	s_xor_b32 exec_lo, exec_lo, s34
	s_cbranch_execz .LBB6_1119
.LBB6_1782:                             ;   in Loop: Header=BB6_393 Depth=4
	v_cmp_ne_u16_e32 vcc_lo, 0, v78
	v_mov_b32_e32 v79, 0
	s_and_not1_b32 s13, s13, exec_lo
	s_and_b32 vcc_lo, vcc_lo, exec_lo
	s_delay_alu instid0(SALU_CYCLE_1)
	s_or_b32 s13, s13, vcc_lo
	s_or_b32 exec_lo, exec_lo, s34
	s_and_saveexec_b32 s31, s13
	s_cbranch_execnz .LBB6_1120
	s_branch .LBB6_1121
.LBB6_1783:                             ;   in Loop: Header=BB6_393 Depth=4
	s_mov_b32 s13, -1
	s_mov_b32 s35, exec_lo
                                        ; implicit-def: $sgpr31
	v_cmpx_eq_u16_e32 0x80, v88
; %bb.1784:                             ;   in Loop: Header=BB6_393 Depth=4
	s_mov_b32 s31, 0x7f800001
	s_xor_b32 s13, exec_lo, -1
; %bb.1785:                             ;   in Loop: Header=BB6_393 Depth=4
	s_or_b32 exec_lo, exec_lo, s35
	s_delay_alu instid0(SALU_CYCLE_1)
	s_and_b32 s13, s13, exec_lo
                                        ; implicit-def: $vgpr88
	s_or_saveexec_b32 s34, s34
	v_mov_b32_e32 v78, s31
	s_xor_b32 exec_lo, exec_lo, s34
	s_cbranch_execz .LBB6_1131
.LBB6_1786:                             ;   in Loop: Header=BB6_393 Depth=4
	v_cmp_ne_u16_e32 vcc_lo, 0, v88
	v_mov_b32_e32 v78, 0
	s_and_not1_b32 s13, s13, exec_lo
	s_and_b32 vcc_lo, vcc_lo, exec_lo
	s_delay_alu instid0(SALU_CYCLE_1)
	s_or_b32 s13, s13, vcc_lo
	s_or_b32 exec_lo, exec_lo, s34
	s_and_saveexec_b32 s31, s13
	s_cbranch_execnz .LBB6_1132
	s_branch .LBB6_1133
.LBB6_1787:                             ;   in Loop: Header=BB6_393 Depth=4
	s_mov_b32 s13, -1
	s_mov_b32 s35, exec_lo
                                        ; implicit-def: $sgpr31
	v_cmpx_eq_u16_e32 0x80, v89
; %bb.1788:                             ;   in Loop: Header=BB6_393 Depth=4
	s_mov_b32 s31, 0x7f800001
	s_xor_b32 s13, exec_lo, -1
; %bb.1789:                             ;   in Loop: Header=BB6_393 Depth=4
	s_or_b32 exec_lo, exec_lo, s35
	s_delay_alu instid0(SALU_CYCLE_1)
	s_and_b32 s13, s13, exec_lo
                                        ; implicit-def: $vgpr89
	s_or_saveexec_b32 s34, s34
	v_mov_b32_e32 v88, s31
	s_xor_b32 exec_lo, exec_lo, s34
	s_cbranch_execz .LBB6_1135
.LBB6_1790:                             ;   in Loop: Header=BB6_393 Depth=4
	v_cmp_ne_u16_e32 vcc_lo, 0, v89
	v_mov_b32_e32 v88, 0
	s_and_not1_b32 s13, s13, exec_lo
	s_and_b32 vcc_lo, vcc_lo, exec_lo
	s_delay_alu instid0(SALU_CYCLE_1)
	s_or_b32 s13, s13, vcc_lo
	s_or_b32 exec_lo, exec_lo, s34
	s_and_saveexec_b32 s31, s13
	s_cbranch_execnz .LBB6_1136
	s_branch .LBB6_1137
.LBB6_1791:                             ;   in Loop: Header=BB6_393 Depth=4
	s_mov_b32 s13, -1
	s_mov_b32 s35, exec_lo
                                        ; implicit-def: $sgpr31
	v_cmpx_eq_u16_e32 0x80, v88
; %bb.1792:                             ;   in Loop: Header=BB6_393 Depth=4
	s_mov_b32 s31, 0x7f800001
	s_xor_b32 s13, exec_lo, -1
; %bb.1793:                             ;   in Loop: Header=BB6_393 Depth=4
	s_or_b32 exec_lo, exec_lo, s35
	s_delay_alu instid0(SALU_CYCLE_1)
	s_and_b32 s13, s13, exec_lo
	s_or_saveexec_b32 s34, s34
	v_mov_b32_e32 v79, s31
	s_xor_b32 exec_lo, exec_lo, s34
	s_cbranch_execz .LBB6_1147
.LBB6_1794:                             ;   in Loop: Header=BB6_393 Depth=4
	v_cmp_ne_u16_e32 vcc_lo, 0, v88
	v_mov_b32_e32 v79, 0
	s_and_not1_b32 s13, s13, exec_lo
	s_and_b32 vcc_lo, vcc_lo, exec_lo
	s_delay_alu instid0(SALU_CYCLE_1)
	s_or_b32 s13, s13, vcc_lo
	s_or_b32 exec_lo, exec_lo, s34
	s_and_saveexec_b32 s31, s13
	s_cbranch_execnz .LBB6_1148
	s_branch .LBB6_1149
.LBB6_1795:                             ;   in Loop: Header=BB6_393 Depth=4
	s_mov_b32 s13, -1
	s_mov_b32 s35, exec_lo
                                        ; implicit-def: $sgpr31
	v_cmpx_eq_u16_e32 0x80, v23
; %bb.1796:                             ;   in Loop: Header=BB6_393 Depth=4
	s_mov_b32 s31, 0x7f800001
	s_xor_b32 s13, exec_lo, -1
; %bb.1797:                             ;   in Loop: Header=BB6_393 Depth=4
	s_or_b32 exec_lo, exec_lo, s35
	s_delay_alu instid0(SALU_CYCLE_1)
	s_and_b32 s13, s13, exec_lo
	s_or_saveexec_b32 s34, s34
	v_mov_b32_e32 v88, s31
	s_xor_b32 exec_lo, exec_lo, s34
	s_cbranch_execz .LBB6_1151
.LBB6_1798:                             ;   in Loop: Header=BB6_393 Depth=4
	v_cmp_ne_u16_e32 vcc_lo, 0, v23
	v_mov_b32_e32 v88, 0
	s_and_not1_b32 s13, s13, exec_lo
	s_and_b32 vcc_lo, vcc_lo, exec_lo
	s_delay_alu instid0(SALU_CYCLE_1)
	s_or_b32 s13, s13, vcc_lo
	s_or_b32 exec_lo, exec_lo, s34
	s_and_saveexec_b32 s31, s13
	s_cbranch_execnz .LBB6_1152
	s_branch .LBB6_1153
.LBB6_1799:                             ;   in Loop: Header=BB6_393 Depth=4
	s_mov_b32 s13, -1
	s_mov_b32 s35, exec_lo
                                        ; implicit-def: $sgpr31
	v_cmpx_eq_u16_e32 0x80, v79
; %bb.1800:                             ;   in Loop: Header=BB6_393 Depth=4
	s_mov_b32 s31, 0x7f800001
	s_xor_b32 s13, exec_lo, -1
; %bb.1801:                             ;   in Loop: Header=BB6_393 Depth=4
	s_or_b32 exec_lo, exec_lo, s35
	s_delay_alu instid0(SALU_CYCLE_1)
	s_and_b32 s13, s13, exec_lo
                                        ; implicit-def: $vgpr79
	s_or_saveexec_b32 s34, s34
	v_mov_b32_e32 v23, s31
	s_xor_b32 exec_lo, exec_lo, s34
	s_cbranch_execz .LBB6_1163
.LBB6_1802:                             ;   in Loop: Header=BB6_393 Depth=4
	v_cmp_ne_u16_e32 vcc_lo, 0, v79
	v_mov_b32_e32 v23, 0
	s_and_not1_b32 s13, s13, exec_lo
	s_and_b32 vcc_lo, vcc_lo, exec_lo
	s_delay_alu instid0(SALU_CYCLE_1)
	s_or_b32 s13, s13, vcc_lo
	s_or_b32 exec_lo, exec_lo, s34
	s_and_saveexec_b32 s31, s13
	s_cbranch_execnz .LBB6_1164
	s_branch .LBB6_1165
.LBB6_1803:                             ;   in Loop: Header=BB6_393 Depth=4
	s_mov_b32 s13, -1
	s_mov_b32 s35, exec_lo
                                        ; implicit-def: $sgpr31
	v_cmpx_eq_u16_e32 0x80, v88
; %bb.1804:                             ;   in Loop: Header=BB6_393 Depth=4
	s_mov_b32 s31, 0x7f800001
	s_xor_b32 s13, exec_lo, -1
; %bb.1805:                             ;   in Loop: Header=BB6_393 Depth=4
	s_or_b32 exec_lo, exec_lo, s35
	s_delay_alu instid0(SALU_CYCLE_1)
	s_and_b32 s13, s13, exec_lo
                                        ; implicit-def: $vgpr88
	s_or_saveexec_b32 s34, s34
	v_mov_b32_e32 v79, s31
	s_xor_b32 exec_lo, exec_lo, s34
	s_cbranch_execz .LBB6_1167
.LBB6_1806:                             ;   in Loop: Header=BB6_393 Depth=4
	v_cmp_ne_u16_e32 vcc_lo, 0, v88
	v_mov_b32_e32 v79, 0
	s_and_not1_b32 s13, s13, exec_lo
	s_and_b32 vcc_lo, vcc_lo, exec_lo
	s_delay_alu instid0(SALU_CYCLE_1)
	s_or_b32 s13, s13, vcc_lo
	s_or_b32 exec_lo, exec_lo, s34
	s_and_saveexec_b32 s31, s13
	s_cbranch_execnz .LBB6_1168
	s_branch .LBB6_1169
.LBB6_1807:                             ;   in Loop: Header=BB6_393 Depth=4
	s_mov_b32 s13, -1
	s_mov_b32 s35, exec_lo
                                        ; implicit-def: $sgpr31
	v_cmpx_eq_u16_e32 0x80, v88
; %bb.1808:                             ;   in Loop: Header=BB6_393 Depth=4
	s_mov_b32 s31, 0x7f800001
	s_xor_b32 s13, exec_lo, -1
; %bb.1809:                             ;   in Loop: Header=BB6_393 Depth=4
	s_or_b32 exec_lo, exec_lo, s35
	s_delay_alu instid0(SALU_CYCLE_1)
	s_and_b32 s13, s13, exec_lo
	s_or_saveexec_b32 s34, s34
	v_mov_b32_e32 v79, s31
	s_xor_b32 exec_lo, exec_lo, s34
	s_cbranch_execz .LBB6_1179
.LBB6_1810:                             ;   in Loop: Header=BB6_393 Depth=4
	v_cmp_ne_u16_e32 vcc_lo, 0, v88
	v_mov_b32_e32 v79, 0
	s_and_not1_b32 s13, s13, exec_lo
	s_and_b32 vcc_lo, vcc_lo, exec_lo
	s_delay_alu instid0(SALU_CYCLE_1)
	s_or_b32 s13, s13, vcc_lo
	s_or_b32 exec_lo, exec_lo, s34
	s_and_saveexec_b32 s31, s13
	s_cbranch_execnz .LBB6_1180
	s_branch .LBB6_1181
.LBB6_1811:                             ;   in Loop: Header=BB6_393 Depth=4
	s_mov_b32 s13, -1
	s_mov_b32 s35, exec_lo
                                        ; implicit-def: $sgpr31
	v_cmpx_eq_u16_e32 0x80, v88
; %bb.1812:                             ;   in Loop: Header=BB6_393 Depth=4
	s_mov_b32 s31, 0x7f800001
	s_xor_b32 s13, exec_lo, -1
; %bb.1813:                             ;   in Loop: Header=BB6_393 Depth=4
	s_or_b32 exec_lo, exec_lo, s35
	s_delay_alu instid0(SALU_CYCLE_1)
	s_and_b32 s13, s13, exec_lo
	s_or_saveexec_b32 s34, s34
	v_mov_b32_e32 v89, s31
	s_xor_b32 exec_lo, exec_lo, s34
	s_cbranch_execz .LBB6_1183
.LBB6_1814:                             ;   in Loop: Header=BB6_393 Depth=4
	v_cmp_ne_u16_e32 vcc_lo, 0, v88
	v_mov_b32_e32 v89, 0
	s_and_not1_b32 s13, s13, exec_lo
	s_and_b32 vcc_lo, vcc_lo, exec_lo
	s_delay_alu instid0(SALU_CYCLE_1)
	s_or_b32 s13, s13, vcc_lo
	s_or_b32 exec_lo, exec_lo, s34
	s_and_saveexec_b32 s31, s13
	s_cbranch_execnz .LBB6_1184
	s_branch .LBB6_1185
.LBB6_1815:                             ;   in Loop: Header=BB6_393 Depth=4
	s_mov_b32 s13, -1
	s_mov_b32 s35, exec_lo
                                        ; implicit-def: $sgpr31
	v_cmpx_eq_u16_e32 0x80, v90
; %bb.1816:                             ;   in Loop: Header=BB6_393 Depth=4
	s_mov_b32 s31, 0x7f800001
	s_xor_b32 s13, exec_lo, -1
; %bb.1817:                             ;   in Loop: Header=BB6_393 Depth=4
	s_or_b32 exec_lo, exec_lo, s35
	s_delay_alu instid0(SALU_CYCLE_1)
	s_and_b32 s13, s13, exec_lo
                                        ; implicit-def: $vgpr90
	s_or_saveexec_b32 s34, s34
	v_mov_b32_e32 v88, s31
	s_xor_b32 exec_lo, exec_lo, s34
	s_cbranch_execz .LBB6_1195
.LBB6_1818:                             ;   in Loop: Header=BB6_393 Depth=4
	v_cmp_ne_u16_e32 vcc_lo, 0, v90
	v_mov_b32_e32 v88, 0
	s_and_not1_b32 s13, s13, exec_lo
	s_and_b32 vcc_lo, vcc_lo, exec_lo
	s_delay_alu instid0(SALU_CYCLE_1)
	s_or_b32 s13, s13, vcc_lo
	s_or_b32 exec_lo, exec_lo, s34
	s_and_saveexec_b32 s31, s13
	s_cbranch_execnz .LBB6_1196
	s_branch .LBB6_1197
.LBB6_1819:                             ;   in Loop: Header=BB6_393 Depth=4
	s_mov_b32 s13, -1
	s_mov_b32 s35, exec_lo
                                        ; implicit-def: $sgpr31
	v_cmpx_eq_u16_e32 0x80, v91
; %bb.1820:                             ;   in Loop: Header=BB6_393 Depth=4
	s_mov_b32 s31, 0x7f800001
	s_xor_b32 s13, exec_lo, -1
; %bb.1821:                             ;   in Loop: Header=BB6_393 Depth=4
	s_or_b32 exec_lo, exec_lo, s35
	s_delay_alu instid0(SALU_CYCLE_1)
	s_and_b32 s13, s13, exec_lo
                                        ; implicit-def: $vgpr91
	s_or_saveexec_b32 s34, s34
	v_mov_b32_e32 v90, s31
	s_xor_b32 exec_lo, exec_lo, s34
	s_cbranch_execz .LBB6_1199
.LBB6_1822:                             ;   in Loop: Header=BB6_393 Depth=4
	v_cmp_ne_u16_e32 vcc_lo, 0, v91
	v_mov_b32_e32 v90, 0
	s_and_not1_b32 s13, s13, exec_lo
	s_and_b32 vcc_lo, vcc_lo, exec_lo
	s_delay_alu instid0(SALU_CYCLE_1)
	s_or_b32 s13, s13, vcc_lo
	s_or_b32 exec_lo, exec_lo, s34
	s_and_saveexec_b32 s31, s13
	s_cbranch_execnz .LBB6_1200
	s_branch .LBB6_1201
.LBB6_1823:                             ;   in Loop: Header=BB6_393 Depth=4
	s_mov_b32 s13, -1
	s_mov_b32 s35, exec_lo
                                        ; implicit-def: $sgpr31
	v_cmpx_eq_u16_e32 0x80, v90
; %bb.1824:                             ;   in Loop: Header=BB6_393 Depth=4
	s_mov_b32 s31, 0x7f800001
	s_xor_b32 s13, exec_lo, -1
; %bb.1825:                             ;   in Loop: Header=BB6_393 Depth=4
	s_or_b32 exec_lo, exec_lo, s35
	s_delay_alu instid0(SALU_CYCLE_1)
	s_and_b32 s13, s13, exec_lo
	s_or_saveexec_b32 s34, s34
	v_mov_b32_e32 v89, s31
	s_xor_b32 exec_lo, exec_lo, s34
	s_cbranch_execz .LBB6_1211
.LBB6_1826:                             ;   in Loop: Header=BB6_393 Depth=4
	v_cmp_ne_u16_e32 vcc_lo, 0, v90
	v_mov_b32_e32 v89, 0
	s_and_not1_b32 s13, s13, exec_lo
	s_and_b32 vcc_lo, vcc_lo, exec_lo
	s_delay_alu instid0(SALU_CYCLE_1)
	s_or_b32 s13, s13, vcc_lo
	s_or_b32 exec_lo, exec_lo, s34
	s_and_saveexec_b32 s31, s13
	s_cbranch_execnz .LBB6_1212
	s_branch .LBB6_1213
.LBB6_1827:                             ;   in Loop: Header=BB6_393 Depth=4
	s_mov_b32 s13, -1
	s_mov_b32 s35, exec_lo
                                        ; implicit-def: $sgpr31
	v_cmpx_eq_u16_e32 0x80, v12
; %bb.1828:                             ;   in Loop: Header=BB6_393 Depth=4
	s_mov_b32 s31, 0x7f800001
	s_xor_b32 s13, exec_lo, -1
; %bb.1829:                             ;   in Loop: Header=BB6_393 Depth=4
	s_or_b32 exec_lo, exec_lo, s35
	s_delay_alu instid0(SALU_CYCLE_1)
	s_and_b32 s13, s13, exec_lo
	s_or_saveexec_b32 s34, s34
	v_mov_b32_e32 v90, s31
	s_xor_b32 exec_lo, exec_lo, s34
	s_cbranch_execz .LBB6_1215
.LBB6_1830:                             ;   in Loop: Header=BB6_393 Depth=4
	v_cmp_ne_u16_e32 vcc_lo, 0, v12
	v_mov_b32_e32 v90, 0
	s_and_not1_b32 s13, s13, exec_lo
	s_and_b32 vcc_lo, vcc_lo, exec_lo
	s_delay_alu instid0(SALU_CYCLE_1)
	s_or_b32 s13, s13, vcc_lo
	s_or_b32 exec_lo, exec_lo, s34
	s_and_saveexec_b32 s31, s13
	s_cbranch_execnz .LBB6_1216
	s_branch .LBB6_1217
.LBB6_1831:                             ;   in Loop: Header=BB6_393 Depth=4
	s_mov_b32 s13, -1
	s_mov_b32 s35, exec_lo
                                        ; implicit-def: $sgpr31
	v_cmpx_eq_u16_e32 0x80, v89
; %bb.1832:                             ;   in Loop: Header=BB6_393 Depth=4
	s_mov_b32 s31, 0x7f800001
	s_xor_b32 s13, exec_lo, -1
; %bb.1833:                             ;   in Loop: Header=BB6_393 Depth=4
	s_or_b32 exec_lo, exec_lo, s35
	s_delay_alu instid0(SALU_CYCLE_1)
	s_and_b32 s13, s13, exec_lo
                                        ; implicit-def: $vgpr89
	s_or_saveexec_b32 s34, s34
	v_mov_b32_e32 v12, s31
	s_xor_b32 exec_lo, exec_lo, s34
	s_cbranch_execz .LBB6_1227
.LBB6_1834:                             ;   in Loop: Header=BB6_393 Depth=4
	v_cmp_ne_u16_e32 vcc_lo, 0, v89
	v_mov_b32_e32 v12, 0
	s_and_not1_b32 s13, s13, exec_lo
	s_and_b32 vcc_lo, vcc_lo, exec_lo
	s_delay_alu instid0(SALU_CYCLE_1)
	s_or_b32 s13, s13, vcc_lo
	s_or_b32 exec_lo, exec_lo, s34
	s_and_saveexec_b32 s31, s13
	s_cbranch_execnz .LBB6_1228
	s_branch .LBB6_1229
.LBB6_1835:                             ;   in Loop: Header=BB6_393 Depth=4
	s_mov_b32 s13, -1
	s_mov_b32 s35, exec_lo
                                        ; implicit-def: $sgpr31
	v_cmpx_eq_u16_e32 0x80, v90
; %bb.1836:                             ;   in Loop: Header=BB6_393 Depth=4
	s_mov_b32 s31, 0x7f800001
	s_xor_b32 s13, exec_lo, -1
; %bb.1837:                             ;   in Loop: Header=BB6_393 Depth=4
	s_or_b32 exec_lo, exec_lo, s35
	s_delay_alu instid0(SALU_CYCLE_1)
	s_and_b32 s13, s13, exec_lo
                                        ; implicit-def: $vgpr90
	s_or_saveexec_b32 s34, s34
	v_mov_b32_e32 v89, s31
	s_xor_b32 exec_lo, exec_lo, s34
	s_cbranch_execz .LBB6_1231
.LBB6_1838:                             ;   in Loop: Header=BB6_393 Depth=4
	v_cmp_ne_u16_e32 vcc_lo, 0, v90
	v_mov_b32_e32 v89, 0
	s_and_not1_b32 s13, s13, exec_lo
	s_and_b32 vcc_lo, vcc_lo, exec_lo
	s_delay_alu instid0(SALU_CYCLE_1)
	s_or_b32 s13, s13, vcc_lo
	s_or_b32 exec_lo, exec_lo, s34
	s_and_saveexec_b32 s31, s13
	s_cbranch_execnz .LBB6_1232
	s_branch .LBB6_1233
.LBB6_1839:                             ;   in Loop: Header=BB6_393 Depth=4
	s_mov_b32 s13, -1
	s_mov_b32 s35, exec_lo
                                        ; implicit-def: $sgpr31
	v_cmpx_eq_u16_e32 0x80, v90
; %bb.1840:                             ;   in Loop: Header=BB6_393 Depth=4
	s_mov_b32 s31, 0x7f800001
	s_xor_b32 s13, exec_lo, -1
; %bb.1841:                             ;   in Loop: Header=BB6_393 Depth=4
	s_or_b32 exec_lo, exec_lo, s35
	s_delay_alu instid0(SALU_CYCLE_1)
	s_and_b32 s13, s13, exec_lo
	s_or_saveexec_b32 s34, s34
	v_mov_b32_e32 v89, s31
	s_xor_b32 exec_lo, exec_lo, s34
	s_cbranch_execz .LBB6_1243
.LBB6_1842:                             ;   in Loop: Header=BB6_393 Depth=4
	v_cmp_ne_u16_e32 vcc_lo, 0, v90
	v_mov_b32_e32 v89, 0
	s_and_not1_b32 s13, s13, exec_lo
	s_and_b32 vcc_lo, vcc_lo, exec_lo
	s_delay_alu instid0(SALU_CYCLE_1)
	s_or_b32 s13, s13, vcc_lo
	s_or_b32 exec_lo, exec_lo, s34
	s_and_saveexec_b32 s31, s13
	s_cbranch_execnz .LBB6_1244
	s_branch .LBB6_1245
.LBB6_1843:                             ;   in Loop: Header=BB6_393 Depth=4
	s_mov_b32 s13, -1
	s_mov_b32 s35, exec_lo
                                        ; implicit-def: $sgpr31
	v_cmpx_eq_u16_e32 0x80, v90
; %bb.1844:                             ;   in Loop: Header=BB6_393 Depth=4
	s_mov_b32 s31, 0x7f800001
	s_xor_b32 s13, exec_lo, -1
; %bb.1845:                             ;   in Loop: Header=BB6_393 Depth=4
	s_or_b32 exec_lo, exec_lo, s35
	s_delay_alu instid0(SALU_CYCLE_1)
	s_and_b32 s13, s13, exec_lo
	s_or_saveexec_b32 s34, s34
	v_mov_b32_e32 v91, s31
	s_xor_b32 exec_lo, exec_lo, s34
	s_cbranch_execz .LBB6_1247
.LBB6_1846:                             ;   in Loop: Header=BB6_393 Depth=4
	v_cmp_ne_u16_e32 vcc_lo, 0, v90
	v_mov_b32_e32 v91, 0
	s_and_not1_b32 s13, s13, exec_lo
	s_and_b32 vcc_lo, vcc_lo, exec_lo
	s_delay_alu instid0(SALU_CYCLE_1)
	s_or_b32 s13, s13, vcc_lo
	s_or_b32 exec_lo, exec_lo, s34
	s_and_saveexec_b32 s31, s13
	s_cbranch_execnz .LBB6_1248
	s_branch .LBB6_1249
.LBB6_1847:                             ;   in Loop: Header=BB6_393 Depth=4
	s_mov_b32 s13, -1
	s_mov_b32 s35, exec_lo
                                        ; implicit-def: $sgpr31
	v_cmpx_eq_u16_e32 0x80, v92
; %bb.1848:                             ;   in Loop: Header=BB6_393 Depth=4
	s_mov_b32 s31, 0x7f800001
	s_xor_b32 s13, exec_lo, -1
; %bb.1849:                             ;   in Loop: Header=BB6_393 Depth=4
	s_or_b32 exec_lo, exec_lo, s35
	s_delay_alu instid0(SALU_CYCLE_1)
	s_and_b32 s13, s13, exec_lo
                                        ; implicit-def: $vgpr92
	s_or_saveexec_b32 s34, s34
	v_mov_b32_e32 v90, s31
	s_xor_b32 exec_lo, exec_lo, s34
	s_cbranch_execz .LBB6_1259
.LBB6_1850:                             ;   in Loop: Header=BB6_393 Depth=4
	v_cmp_ne_u16_e32 vcc_lo, 0, v92
	v_mov_b32_e32 v90, 0
	s_and_not1_b32 s13, s13, exec_lo
	s_and_b32 vcc_lo, vcc_lo, exec_lo
	s_delay_alu instid0(SALU_CYCLE_1)
	s_or_b32 s13, s13, vcc_lo
	s_or_b32 exec_lo, exec_lo, s34
	s_and_saveexec_b32 s31, s13
	s_cbranch_execnz .LBB6_1260
	s_branch .LBB6_1261
.LBB6_1851:                             ;   in Loop: Header=BB6_393 Depth=4
	s_mov_b32 s13, -1
	s_mov_b32 s35, exec_lo
                                        ; implicit-def: $sgpr31
	v_cmpx_eq_u16_e32 0x80, v93
; %bb.1852:                             ;   in Loop: Header=BB6_393 Depth=4
	s_mov_b32 s31, 0x7f800001
	s_xor_b32 s13, exec_lo, -1
; %bb.1853:                             ;   in Loop: Header=BB6_393 Depth=4
	s_or_b32 exec_lo, exec_lo, s35
	s_delay_alu instid0(SALU_CYCLE_1)
	s_and_b32 s13, s13, exec_lo
                                        ; implicit-def: $vgpr93
	s_or_saveexec_b32 s34, s34
	v_mov_b32_e32 v92, s31
	s_xor_b32 exec_lo, exec_lo, s34
	s_cbranch_execz .LBB6_1263
.LBB6_1854:                             ;   in Loop: Header=BB6_393 Depth=4
	v_cmp_ne_u16_e32 vcc_lo, 0, v93
	v_mov_b32_e32 v92, 0
	s_and_not1_b32 s13, s13, exec_lo
	s_and_b32 vcc_lo, vcc_lo, exec_lo
	s_delay_alu instid0(SALU_CYCLE_1)
	s_or_b32 s13, s13, vcc_lo
	s_or_b32 exec_lo, exec_lo, s34
	s_and_saveexec_b32 s31, s13
	s_cbranch_execnz .LBB6_1264
	s_branch .LBB6_1265
.LBB6_1855:                             ;   in Loop: Header=BB6_393 Depth=4
	s_mov_b32 s13, -1
	s_mov_b32 s35, exec_lo
                                        ; implicit-def: $sgpr31
	v_cmpx_eq_u16_e32 0x80, v92
; %bb.1856:                             ;   in Loop: Header=BB6_393 Depth=4
	s_mov_b32 s31, 0x7f800001
	s_xor_b32 s13, exec_lo, -1
; %bb.1857:                             ;   in Loop: Header=BB6_393 Depth=4
	s_or_b32 exec_lo, exec_lo, s35
	s_delay_alu instid0(SALU_CYCLE_1)
	s_and_b32 s13, s13, exec_lo
	s_or_saveexec_b32 s34, s34
	v_mov_b32_e32 v91, s31
	s_xor_b32 exec_lo, exec_lo, s34
	s_cbranch_execz .LBB6_1275
.LBB6_1858:                             ;   in Loop: Header=BB6_393 Depth=4
	v_cmp_ne_u16_e32 vcc_lo, 0, v92
	v_mov_b32_e32 v91, 0
	s_and_not1_b32 s13, s13, exec_lo
	s_and_b32 vcc_lo, vcc_lo, exec_lo
	s_delay_alu instid0(SALU_CYCLE_1)
	s_or_b32 s13, s13, vcc_lo
	s_or_b32 exec_lo, exec_lo, s34
	s_and_saveexec_b32 s31, s13
	s_cbranch_execnz .LBB6_1276
	s_branch .LBB6_1277
.LBB6_1859:                             ;   in Loop: Header=BB6_393 Depth=4
	s_mov_b32 s13, -1
	s_mov_b32 s35, exec_lo
                                        ; implicit-def: $sgpr31
	v_cmpx_eq_u16_e32 0x80, v13
; %bb.1860:                             ;   in Loop: Header=BB6_393 Depth=4
	s_mov_b32 s31, 0x7f800001
	s_xor_b32 s13, exec_lo, -1
; %bb.1861:                             ;   in Loop: Header=BB6_393 Depth=4
	s_or_b32 exec_lo, exec_lo, s35
	s_delay_alu instid0(SALU_CYCLE_1)
	s_and_b32 s13, s13, exec_lo
	s_or_saveexec_b32 s34, s34
	v_mov_b32_e32 v92, s31
	s_xor_b32 exec_lo, exec_lo, s34
	s_cbranch_execz .LBB6_1279
.LBB6_1862:                             ;   in Loop: Header=BB6_393 Depth=4
	v_cmp_ne_u16_e32 vcc_lo, 0, v13
	v_mov_b32_e32 v92, 0
	s_and_not1_b32 s13, s13, exec_lo
	s_and_b32 vcc_lo, vcc_lo, exec_lo
	s_delay_alu instid0(SALU_CYCLE_1)
	s_or_b32 s13, s13, vcc_lo
	s_or_b32 exec_lo, exec_lo, s34
	s_and_saveexec_b32 s31, s13
	s_cbranch_execnz .LBB6_1280
	s_branch .LBB6_1281
.LBB6_1863:                             ;   in Loop: Header=BB6_393 Depth=4
	s_mov_b32 s13, -1
	s_mov_b32 s35, exec_lo
                                        ; implicit-def: $sgpr31
	v_cmpx_eq_u16_e32 0x80, v91
; %bb.1864:                             ;   in Loop: Header=BB6_393 Depth=4
	s_mov_b32 s31, 0x7f800001
	s_xor_b32 s13, exec_lo, -1
; %bb.1865:                             ;   in Loop: Header=BB6_393 Depth=4
	s_or_b32 exec_lo, exec_lo, s35
	s_delay_alu instid0(SALU_CYCLE_1)
	s_and_b32 s13, s13, exec_lo
                                        ; implicit-def: $vgpr91
	s_or_saveexec_b32 s34, s34
	v_mov_b32_e32 v13, s31
	s_xor_b32 exec_lo, exec_lo, s34
	s_cbranch_execz .LBB6_1291
.LBB6_1866:                             ;   in Loop: Header=BB6_393 Depth=4
	v_cmp_ne_u16_e32 vcc_lo, 0, v91
	v_mov_b32_e32 v13, 0
	s_and_not1_b32 s13, s13, exec_lo
	s_and_b32 vcc_lo, vcc_lo, exec_lo
	s_delay_alu instid0(SALU_CYCLE_1)
	s_or_b32 s13, s13, vcc_lo
	s_or_b32 exec_lo, exec_lo, s34
	s_and_saveexec_b32 s31, s13
	s_cbranch_execnz .LBB6_1292
	s_branch .LBB6_1293
.LBB6_1867:                             ;   in Loop: Header=BB6_393 Depth=4
	s_mov_b32 s13, -1
	s_mov_b32 s35, exec_lo
                                        ; implicit-def: $sgpr31
	v_cmpx_eq_u16_e32 0x80, v92
; %bb.1868:                             ;   in Loop: Header=BB6_393 Depth=4
	s_mov_b32 s31, 0x7f800001
	s_xor_b32 s13, exec_lo, -1
; %bb.1869:                             ;   in Loop: Header=BB6_393 Depth=4
	s_or_b32 exec_lo, exec_lo, s35
	s_delay_alu instid0(SALU_CYCLE_1)
	s_and_b32 s13, s13, exec_lo
                                        ; implicit-def: $vgpr92
	s_or_saveexec_b32 s34, s34
	v_mov_b32_e32 v91, s31
	s_xor_b32 exec_lo, exec_lo, s34
	s_cbranch_execz .LBB6_1295
.LBB6_1870:                             ;   in Loop: Header=BB6_393 Depth=4
	v_cmp_ne_u16_e32 vcc_lo, 0, v92
	v_mov_b32_e32 v91, 0
	s_and_not1_b32 s13, s13, exec_lo
	s_and_b32 vcc_lo, vcc_lo, exec_lo
	s_delay_alu instid0(SALU_CYCLE_1)
	s_or_b32 s13, s13, vcc_lo
	s_or_b32 exec_lo, exec_lo, s34
	s_and_saveexec_b32 s31, s13
	s_cbranch_execnz .LBB6_1296
	s_branch .LBB6_1297
.LBB6_1871:                             ;   in Loop: Header=BB6_393 Depth=4
	s_mov_b32 s13, -1
	s_mov_b32 s35, exec_lo
                                        ; implicit-def: $sgpr31
	v_cmpx_eq_u16_e32 0x80, v92
; %bb.1872:                             ;   in Loop: Header=BB6_393 Depth=4
	s_mov_b32 s31, 0x7f800001
	s_xor_b32 s13, exec_lo, -1
; %bb.1873:                             ;   in Loop: Header=BB6_393 Depth=4
	s_or_b32 exec_lo, exec_lo, s35
	s_delay_alu instid0(SALU_CYCLE_1)
	s_and_b32 s13, s13, exec_lo
	s_or_saveexec_b32 s34, s34
	v_mov_b32_e32 v91, s31
	s_xor_b32 exec_lo, exec_lo, s34
	s_cbranch_execz .LBB6_1307
.LBB6_1874:                             ;   in Loop: Header=BB6_393 Depth=4
	v_cmp_ne_u16_e32 vcc_lo, 0, v92
	v_mov_b32_e32 v91, 0
	s_and_not1_b32 s13, s13, exec_lo
	s_and_b32 vcc_lo, vcc_lo, exec_lo
	s_delay_alu instid0(SALU_CYCLE_1)
	s_or_b32 s13, s13, vcc_lo
	s_or_b32 exec_lo, exec_lo, s34
	s_and_saveexec_b32 s31, s13
	s_cbranch_execnz .LBB6_1308
	s_branch .LBB6_1309
.LBB6_1875:                             ;   in Loop: Header=BB6_393 Depth=4
	s_mov_b32 s13, -1
	s_mov_b32 s35, exec_lo
                                        ; implicit-def: $sgpr31
	v_cmpx_eq_u16_e32 0x80, v92
; %bb.1876:                             ;   in Loop: Header=BB6_393 Depth=4
	s_mov_b32 s31, 0x7f800001
	s_xor_b32 s13, exec_lo, -1
; %bb.1877:                             ;   in Loop: Header=BB6_393 Depth=4
	s_or_b32 exec_lo, exec_lo, s35
	s_delay_alu instid0(SALU_CYCLE_1)
	s_and_b32 s13, s13, exec_lo
	s_or_saveexec_b32 s34, s34
	v_mov_b32_e32 v93, s31
	s_xor_b32 exec_lo, exec_lo, s34
	s_cbranch_execz .LBB6_1311
.LBB6_1878:                             ;   in Loop: Header=BB6_393 Depth=4
	v_cmp_ne_u16_e32 vcc_lo, 0, v92
	v_mov_b32_e32 v93, 0
	s_and_not1_b32 s13, s13, exec_lo
	s_and_b32 vcc_lo, vcc_lo, exec_lo
	s_delay_alu instid0(SALU_CYCLE_1)
	s_or_b32 s13, s13, vcc_lo
	s_or_b32 exec_lo, exec_lo, s34
	s_and_saveexec_b32 s31, s13
	s_cbranch_execnz .LBB6_1312
	s_branch .LBB6_1313
.LBB6_1879:                             ;   in Loop: Header=BB6_393 Depth=4
	s_mov_b32 s13, -1
	s_mov_b32 s35, exec_lo
                                        ; implicit-def: $sgpr31
	v_cmpx_eq_u16_e32 0x80, v94
; %bb.1880:                             ;   in Loop: Header=BB6_393 Depth=4
	s_mov_b32 s31, 0x7f800001
	s_xor_b32 s13, exec_lo, -1
; %bb.1881:                             ;   in Loop: Header=BB6_393 Depth=4
	s_or_b32 exec_lo, exec_lo, s35
	s_delay_alu instid0(SALU_CYCLE_1)
	s_and_b32 s13, s13, exec_lo
                                        ; implicit-def: $vgpr94
	s_or_saveexec_b32 s34, s34
	v_mov_b32_e32 v92, s31
	s_xor_b32 exec_lo, exec_lo, s34
	s_cbranch_execz .LBB6_1323
.LBB6_1882:                             ;   in Loop: Header=BB6_393 Depth=4
	v_cmp_ne_u16_e32 vcc_lo, 0, v94
	v_mov_b32_e32 v92, 0
	s_and_not1_b32 s13, s13, exec_lo
	s_and_b32 vcc_lo, vcc_lo, exec_lo
	s_delay_alu instid0(SALU_CYCLE_1)
	s_or_b32 s13, s13, vcc_lo
	s_or_b32 exec_lo, exec_lo, s34
	s_and_saveexec_b32 s31, s13
	s_cbranch_execnz .LBB6_1324
	s_branch .LBB6_1325
.LBB6_1883:                             ;   in Loop: Header=BB6_393 Depth=4
	s_mov_b32 s13, -1
	s_mov_b32 s35, exec_lo
                                        ; implicit-def: $sgpr31
	v_cmpx_eq_u16_e32 0x80, v95
; %bb.1884:                             ;   in Loop: Header=BB6_393 Depth=4
	s_mov_b32 s31, 0x7f800001
	s_xor_b32 s13, exec_lo, -1
; %bb.1885:                             ;   in Loop: Header=BB6_393 Depth=4
	s_or_b32 exec_lo, exec_lo, s35
	s_delay_alu instid0(SALU_CYCLE_1)
	s_and_b32 s13, s13, exec_lo
                                        ; implicit-def: $vgpr95
	s_or_saveexec_b32 s34, s34
	v_mov_b32_e32 v94, s31
	s_xor_b32 exec_lo, exec_lo, s34
	s_cbranch_execz .LBB6_1327
.LBB6_1886:                             ;   in Loop: Header=BB6_393 Depth=4
	v_cmp_ne_u16_e32 vcc_lo, 0, v95
	v_mov_b32_e32 v94, 0
	s_and_not1_b32 s13, s13, exec_lo
	s_and_b32 vcc_lo, vcc_lo, exec_lo
	s_delay_alu instid0(SALU_CYCLE_1)
	s_or_b32 s13, s13, vcc_lo
	s_or_b32 exec_lo, exec_lo, s34
	s_and_saveexec_b32 s31, s13
	s_cbranch_execnz .LBB6_1328
	s_branch .LBB6_1329
.LBB6_1887:                             ;   in Loop: Header=BB6_393 Depth=4
	s_mov_b32 s13, -1
	s_mov_b32 s35, exec_lo
                                        ; implicit-def: $sgpr31
	v_cmpx_eq_u16_e32 0x80, v94
; %bb.1888:                             ;   in Loop: Header=BB6_393 Depth=4
	s_mov_b32 s31, 0x7f800001
	s_xor_b32 s13, exec_lo, -1
; %bb.1889:                             ;   in Loop: Header=BB6_393 Depth=4
	s_or_b32 exec_lo, exec_lo, s35
	s_delay_alu instid0(SALU_CYCLE_1)
	s_and_b32 s13, s13, exec_lo
	s_or_saveexec_b32 s34, s34
	v_mov_b32_e32 v93, s31
	s_xor_b32 exec_lo, exec_lo, s34
	s_cbranch_execz .LBB6_1339
.LBB6_1890:                             ;   in Loop: Header=BB6_393 Depth=4
	v_cmp_ne_u16_e32 vcc_lo, 0, v94
	v_mov_b32_e32 v93, 0
	s_and_not1_b32 s13, s13, exec_lo
	s_and_b32 vcc_lo, vcc_lo, exec_lo
	s_delay_alu instid0(SALU_CYCLE_1)
	s_or_b32 s13, s13, vcc_lo
	s_or_b32 exec_lo, exec_lo, s34
	s_and_saveexec_b32 s31, s13
	s_cbranch_execnz .LBB6_1340
	s_branch .LBB6_1341
.LBB6_1891:                             ;   in Loop: Header=BB6_393 Depth=4
	s_mov_b32 s13, -1
	s_mov_b32 s35, exec_lo
                                        ; implicit-def: $sgpr31
	v_cmpx_eq_u16_e32 0x80, v14
; %bb.1892:                             ;   in Loop: Header=BB6_393 Depth=4
	s_mov_b32 s31, 0x7f800001
	s_xor_b32 s13, exec_lo, -1
; %bb.1893:                             ;   in Loop: Header=BB6_393 Depth=4
	s_or_b32 exec_lo, exec_lo, s35
	s_delay_alu instid0(SALU_CYCLE_1)
	s_and_b32 s13, s13, exec_lo
	s_or_saveexec_b32 s34, s34
	v_mov_b32_e32 v94, s31
	s_xor_b32 exec_lo, exec_lo, s34
	s_cbranch_execz .LBB6_1343
.LBB6_1894:                             ;   in Loop: Header=BB6_393 Depth=4
	v_cmp_ne_u16_e32 vcc_lo, 0, v14
	v_mov_b32_e32 v94, 0
	s_and_not1_b32 s13, s13, exec_lo
	s_and_b32 vcc_lo, vcc_lo, exec_lo
	s_delay_alu instid0(SALU_CYCLE_1)
	s_or_b32 s13, s13, vcc_lo
	s_or_b32 exec_lo, exec_lo, s34
	s_and_saveexec_b32 s31, s13
	s_cbranch_execnz .LBB6_1344
	s_branch .LBB6_1345
.LBB6_1895:                             ;   in Loop: Header=BB6_393 Depth=4
	s_mov_b32 s13, -1
	s_mov_b32 s35, exec_lo
                                        ; implicit-def: $sgpr31
	v_cmpx_eq_u16_e32 0x80, v93
; %bb.1896:                             ;   in Loop: Header=BB6_393 Depth=4
	s_mov_b32 s31, 0x7f800001
	s_xor_b32 s13, exec_lo, -1
; %bb.1897:                             ;   in Loop: Header=BB6_393 Depth=4
	s_or_b32 exec_lo, exec_lo, s35
	s_delay_alu instid0(SALU_CYCLE_1)
	s_and_b32 s13, s13, exec_lo
                                        ; implicit-def: $vgpr93
	s_or_saveexec_b32 s34, s34
	v_mov_b32_e32 v14, s31
	s_xor_b32 exec_lo, exec_lo, s34
	s_cbranch_execz .LBB6_1355
.LBB6_1898:                             ;   in Loop: Header=BB6_393 Depth=4
	v_cmp_ne_u16_e32 vcc_lo, 0, v93
	v_mov_b32_e32 v14, 0
	s_and_not1_b32 s13, s13, exec_lo
	s_and_b32 vcc_lo, vcc_lo, exec_lo
	s_delay_alu instid0(SALU_CYCLE_1)
	s_or_b32 s13, s13, vcc_lo
	s_or_b32 exec_lo, exec_lo, s34
	s_and_saveexec_b32 s31, s13
	s_cbranch_execnz .LBB6_1356
	s_branch .LBB6_1357
.LBB6_1899:                             ;   in Loop: Header=BB6_393 Depth=4
	s_mov_b32 s13, -1
	s_mov_b32 s35, exec_lo
                                        ; implicit-def: $sgpr31
	v_cmpx_eq_u16_e32 0x80, v94
; %bb.1900:                             ;   in Loop: Header=BB6_393 Depth=4
	s_mov_b32 s31, 0x7f800001
	s_xor_b32 s13, exec_lo, -1
; %bb.1901:                             ;   in Loop: Header=BB6_393 Depth=4
	s_or_b32 exec_lo, exec_lo, s35
	s_delay_alu instid0(SALU_CYCLE_1)
	s_and_b32 s13, s13, exec_lo
                                        ; implicit-def: $vgpr94
	s_or_saveexec_b32 s34, s34
	v_mov_b32_e32 v93, s31
	s_xor_b32 exec_lo, exec_lo, s34
	s_cbranch_execz .LBB6_1359
.LBB6_1902:                             ;   in Loop: Header=BB6_393 Depth=4
	v_cmp_ne_u16_e32 vcc_lo, 0, v94
	v_mov_b32_e32 v93, 0
	s_and_not1_b32 s13, s13, exec_lo
	s_and_b32 vcc_lo, vcc_lo, exec_lo
	s_delay_alu instid0(SALU_CYCLE_1)
	s_or_b32 s13, s13, vcc_lo
	s_or_b32 exec_lo, exec_lo, s34
	s_and_saveexec_b32 s31, s13
	s_cbranch_execnz .LBB6_1360
	s_branch .LBB6_1361
.LBB6_1903:                             ;   in Loop: Header=BB6_393 Depth=4
	s_mov_b32 s13, -1
	s_mov_b32 s35, exec_lo
                                        ; implicit-def: $sgpr31
	v_cmpx_eq_u16_e32 0x80, v94
; %bb.1904:                             ;   in Loop: Header=BB6_393 Depth=4
	s_mov_b32 s31, 0x7f800001
	s_xor_b32 s13, exec_lo, -1
; %bb.1905:                             ;   in Loop: Header=BB6_393 Depth=4
	s_or_b32 exec_lo, exec_lo, s35
	s_delay_alu instid0(SALU_CYCLE_1)
	s_and_b32 s13, s13, exec_lo
	s_or_saveexec_b32 s34, s34
	v_mov_b32_e32 v93, s31
	s_xor_b32 exec_lo, exec_lo, s34
	s_cbranch_execz .LBB6_1371
.LBB6_1906:                             ;   in Loop: Header=BB6_393 Depth=4
	v_cmp_ne_u16_e32 vcc_lo, 0, v94
	v_mov_b32_e32 v93, 0
	s_and_not1_b32 s13, s13, exec_lo
	s_and_b32 vcc_lo, vcc_lo, exec_lo
	s_delay_alu instid0(SALU_CYCLE_1)
	s_or_b32 s13, s13, vcc_lo
	s_or_b32 exec_lo, exec_lo, s34
	s_and_saveexec_b32 s31, s13
	s_cbranch_execnz .LBB6_1372
	s_branch .LBB6_1373
.LBB6_1907:                             ;   in Loop: Header=BB6_393 Depth=4
	s_mov_b32 s13, -1
	s_mov_b32 s35, exec_lo
                                        ; implicit-def: $sgpr31
	v_cmpx_eq_u16_e32 0x80, v94
; %bb.1908:                             ;   in Loop: Header=BB6_393 Depth=4
	s_mov_b32 s31, 0x7f800001
	s_xor_b32 s13, exec_lo, -1
; %bb.1909:                             ;   in Loop: Header=BB6_393 Depth=4
	s_or_b32 exec_lo, exec_lo, s35
	s_delay_alu instid0(SALU_CYCLE_1)
	s_and_b32 s13, s13, exec_lo
	s_or_saveexec_b32 s34, s34
	v_mov_b32_e32 v95, s31
	s_xor_b32 exec_lo, exec_lo, s34
	s_cbranch_execz .LBB6_1375
.LBB6_1910:                             ;   in Loop: Header=BB6_393 Depth=4
	v_cmp_ne_u16_e32 vcc_lo, 0, v94
	v_mov_b32_e32 v95, 0
	s_and_not1_b32 s13, s13, exec_lo
	s_and_b32 vcc_lo, vcc_lo, exec_lo
	s_delay_alu instid0(SALU_CYCLE_1)
	s_or_b32 s13, s13, vcc_lo
	s_or_b32 exec_lo, exec_lo, s34
	s_and_saveexec_b32 s31, s13
	s_cbranch_execnz .LBB6_1376
	s_branch .LBB6_1377
.LBB6_1911:                             ;   in Loop: Header=BB6_393 Depth=4
	s_mov_b32 s13, -1
	s_mov_b32 s35, exec_lo
                                        ; implicit-def: $sgpr31
	v_cmpx_eq_u16_e32 0x80, v104
; %bb.1912:                             ;   in Loop: Header=BB6_393 Depth=4
	s_mov_b32 s31, 0x7f800001
	s_xor_b32 s13, exec_lo, -1
; %bb.1913:                             ;   in Loop: Header=BB6_393 Depth=4
	s_or_b32 exec_lo, exec_lo, s35
	s_delay_alu instid0(SALU_CYCLE_1)
	s_and_b32 s13, s13, exec_lo
                                        ; implicit-def: $vgpr104
	s_or_saveexec_b32 s34, s34
	v_mov_b32_e32 v94, s31
	s_xor_b32 exec_lo, exec_lo, s34
	s_cbranch_execz .LBB6_1387
.LBB6_1914:                             ;   in Loop: Header=BB6_393 Depth=4
	v_cmp_ne_u16_e32 vcc_lo, 0, v104
	v_mov_b32_e32 v94, 0
	s_and_not1_b32 s13, s13, exec_lo
	s_and_b32 vcc_lo, vcc_lo, exec_lo
	s_delay_alu instid0(SALU_CYCLE_1)
	s_or_b32 s13, s13, vcc_lo
	s_or_b32 exec_lo, exec_lo, s34
	s_and_saveexec_b32 s31, s13
	s_cbranch_execnz .LBB6_1388
	s_branch .LBB6_1389
.LBB6_1915:                             ;   in Loop: Header=BB6_393 Depth=4
	s_mov_b32 s13, -1
	s_mov_b32 s35, exec_lo
                                        ; implicit-def: $sgpr31
	v_cmpx_eq_u16_e32 0x80, v105
; %bb.1916:                             ;   in Loop: Header=BB6_393 Depth=4
	s_mov_b32 s31, 0x7f800001
	s_xor_b32 s13, exec_lo, -1
; %bb.1917:                             ;   in Loop: Header=BB6_393 Depth=4
	s_or_b32 exec_lo, exec_lo, s35
	s_delay_alu instid0(SALU_CYCLE_1)
	s_and_b32 s13, s13, exec_lo
                                        ; implicit-def: $vgpr105
	s_or_saveexec_b32 s34, s34
	v_mov_b32_e32 v104, s31
	s_xor_b32 exec_lo, exec_lo, s34
	s_cbranch_execz .LBB6_1391
.LBB6_1918:                             ;   in Loop: Header=BB6_393 Depth=4
	v_cmp_ne_u16_e32 vcc_lo, 0, v105
	v_mov_b32_e32 v104, 0
	s_and_not1_b32 s13, s13, exec_lo
	s_and_b32 vcc_lo, vcc_lo, exec_lo
	s_delay_alu instid0(SALU_CYCLE_1)
	s_or_b32 s13, s13, vcc_lo
	s_or_b32 exec_lo, exec_lo, s34
	s_and_saveexec_b32 s31, s13
	s_cbranch_execnz .LBB6_1392
	s_branch .LBB6_1393
.LBB6_1919:                             ;   in Loop: Header=BB6_393 Depth=4
	s_mov_b32 s13, -1
	s_mov_b32 s35, exec_lo
                                        ; implicit-def: $sgpr31
	v_cmpx_eq_u16_e32 0x80, v104
; %bb.1920:                             ;   in Loop: Header=BB6_393 Depth=4
	s_mov_b32 s31, 0x7f800001
	s_xor_b32 s13, exec_lo, -1
; %bb.1921:                             ;   in Loop: Header=BB6_393 Depth=4
	s_or_b32 exec_lo, exec_lo, s35
	s_delay_alu instid0(SALU_CYCLE_1)
	s_and_b32 s13, s13, exec_lo
	s_or_saveexec_b32 s34, s34
	v_mov_b32_e32 v95, s31
	s_xor_b32 exec_lo, exec_lo, s34
	s_cbranch_execz .LBB6_1403
.LBB6_1922:                             ;   in Loop: Header=BB6_393 Depth=4
	v_cmp_ne_u16_e32 vcc_lo, 0, v104
	v_mov_b32_e32 v95, 0
	s_and_not1_b32 s13, s13, exec_lo
	s_and_b32 vcc_lo, vcc_lo, exec_lo
	s_delay_alu instid0(SALU_CYCLE_1)
	s_or_b32 s13, s13, vcc_lo
	s_or_b32 exec_lo, exec_lo, s34
	s_and_saveexec_b32 s31, s13
	s_cbranch_execnz .LBB6_1404
	s_branch .LBB6_1405
.LBB6_1923:                             ;   in Loop: Header=BB6_393 Depth=4
	s_mov_b32 s13, -1
	s_mov_b32 s35, exec_lo
                                        ; implicit-def: $sgpr31
	v_cmpx_eq_u16_e32 0x80, v15
; %bb.1924:                             ;   in Loop: Header=BB6_393 Depth=4
	s_mov_b32 s31, 0x7f800001
	s_xor_b32 s13, exec_lo, -1
; %bb.1925:                             ;   in Loop: Header=BB6_393 Depth=4
	s_or_b32 exec_lo, exec_lo, s35
	s_delay_alu instid0(SALU_CYCLE_1)
	s_and_b32 s13, s13, exec_lo
	s_or_saveexec_b32 s34, s34
	v_mov_b32_e32 v104, s31
	s_xor_b32 exec_lo, exec_lo, s34
	s_cbranch_execz .LBB6_1407
.LBB6_1926:                             ;   in Loop: Header=BB6_393 Depth=4
	v_cmp_ne_u16_e32 vcc_lo, 0, v15
	v_mov_b32_e32 v104, 0
	s_and_not1_b32 s13, s13, exec_lo
	s_and_b32 vcc_lo, vcc_lo, exec_lo
	s_delay_alu instid0(SALU_CYCLE_1)
	s_or_b32 s13, s13, vcc_lo
	s_or_b32 exec_lo, exec_lo, s34
	s_and_saveexec_b32 s31, s13
	s_cbranch_execnz .LBB6_1408
	s_branch .LBB6_1409
.LBB6_1927:                             ;   in Loop: Header=BB6_305 Depth=3
	s_or_b32 exec_lo, exec_lo, s30
.LBB6_1928:                             ;   in Loop: Header=BB6_305 Depth=3
	s_delay_alu instid0(SALU_CYCLE_1) | instskip(SKIP_4) | instid1(VALU_DEP_2)
	s_or_b32 exec_lo, exec_lo, s14
	v_lshlrev_b32_e32 v22, 11, v181
	v_mov_b32_e32 v14, 0
	s_mov_b32 s13, 0
	s_mov_b32 s30, exec_lo
                                        ; implicit-def: $vgpr15
                                        ; implicit-def: $vgpr16
                                        ; implicit-def: $vgpr8
	v_cmpx_ne_u32_e64 v101, v22
	s_cbranch_execz .LBB6_2321
; %bb.1929:                             ;   in Loop: Header=BB6_305 Depth=3
	v_lshlrev_b32_e32 v2, 5, v2
	v_sub_nc_u32_e32 v9, v101, v22
	s_mov_b32 s31, exec_lo
	s_delay_alu instid0(VALU_DEP_2) | instskip(NEXT) | instid1(VALU_DEP_2)
	v_sub_nc_u32_e32 v2, v131, v2
	v_ashrrev_i32_e32 v10, 31, v9
	s_delay_alu instid0(VALU_DEP_2) | instskip(NEXT) | instid1(VALU_DEP_2)
	v_ashrrev_i32_e32 v8, 31, v2
	v_lshrrev_b32_e32 v10, 23, v10
	s_delay_alu instid0(VALU_DEP_2) | instskip(NEXT) | instid1(VALU_DEP_2)
	v_lshrrev_b32_e32 v8, 27, v8
	v_add_nc_u32_e32 v10, v9, v10
	s_delay_alu instid0(VALU_DEP_2) | instskip(NEXT) | instid1(VALU_DEP_1)
	v_add_nc_u32_e32 v8, v2, v8
	v_and_b32_e32 v11, 0xffffffe0, v8
	s_delay_alu instid0(VALU_DEP_1) | instskip(NEXT) | instid1(VALU_DEP_4)
	v_sub_nc_u32_e32 v23, v2, v11
	v_and_b32_e32 v2, 0xfffffe00, v10
	v_ashrrev_i32_e32 v11, 5, v8
	v_ashrrev_i32_e32 v10, 9, v10
	s_delay_alu instid0(VALU_DEP_4) | instskip(NEXT) | instid1(VALU_DEP_4)
	v_lshlrev_b32_e32 v8, 4, v23
	v_sub_nc_u32_e32 v24, v9, v2
	s_delay_alu instid0(VALU_DEP_2) | instskip(NEXT) | instid1(VALU_DEP_2)
	v_lshl_add_u32 v8, v11, 9, v8
	v_cmp_lt_i32_e32 vcc_lo, 15, v24
	s_delay_alu instid0(VALU_DEP_2) | instskip(SKIP_1) | instid1(VALU_DEP_1)
	v_sub_nc_u32_e32 v26, v9, v8
	v_add_co_ci_u32_e64 v10, s13, 0, v10, vcc_lo
	v_sub_nc_u32_e32 v25, v10, v11
	s_delay_alu instid0(VALU_DEP_3)
	v_cmpx_lt_i32_e32 15, v26
	s_cbranch_execz .LBB6_2318
; %bb.1930:                             ;   in Loop: Header=BB6_305 Depth=3
	s_cbranch_execz .LBB6_1931
; %bb.10221:
	s_getpc_b64 s[48:49]
.Lpost_getpc286:
	s_add_u32 s48, s48, (.LBB6_9867-.Lpost_getpc286)&4294967295
	s_addc_u32 s49, s49, (.LBB6_9867-.Lpost_getpc286)>>32
	s_setpc_b64 s[48:49]
.LBB6_1931:                             ;   in Loop: Header=BB6_305 Depth=3
	ds_load_b128 v[9:12], v0
	ds_load_b64 v[13:14], v0
	v_add_nc_u32_e32 v8, v8, v22
	s_mov_b32 s34, 0
	s_delay_alu instid0(VALU_DEP_1) | instskip(SKIP_2) | instid1(VALU_DEP_1)
	v_ashrrev_i32_e32 v15, 31, v8
	s_waitcnt lgkmcnt(1)
	v_add_co_u32 v16, s13, v9, v8
	v_add_co_ci_u32_e64 v17, s13, v10, v15, s13
	v_add_co_u32 v18, s13, v11, v8
	s_delay_alu instid0(VALU_DEP_1) | instskip(SKIP_2) | instid1(VALU_DEP_1)
	v_add_co_ci_u32_e64 v19, s13, v12, v15, s13
	s_waitcnt lgkmcnt(0)
	v_add_co_u32 v20, s13, v13, v8
	v_add_co_ci_u32_e64 v21, s13, v14, v15, s13
	s_branch .LBB6_1935
.LBB6_1932:                             ;   in Loop: Header=BB6_1935 Depth=4
	s_or_b32 exec_lo, exec_lo, s13
	s_delay_alu instid0(VALU_DEP_1) | instskip(NEXT) | instid1(VALU_DEP_2)
	v_lshrrev_b32_e32 v48, 20, v48
	v_min_i32_e32 v49, 15, v15
	v_cmp_gt_i32_e64 s13, 16, v15
	v_lshrrev_b32_e32 v11, 24, v11
	s_delay_alu instid0(VALU_DEP_3) | instskip(NEXT) | instid1(VALU_DEP_3)
	v_lshlrev_b32_e32 v49, 3, v49
	v_cndmask_b32_e64 v48, 7, v48, s13
	s_delay_alu instid0(VALU_DEP_3) | instskip(NEXT) | instid1(VALU_DEP_3)
	v_and_b32_e32 v11, 0x80, v11
	v_and_b32_e32 v49, 0xf8, v49
	s_delay_alu instid0(VALU_DEP_3) | instskip(SKIP_1) | instid1(VALU_DEP_2)
	v_and_b32_e32 v50, 7, v48
	v_or_b32_e32 v15, v15, v48
	v_or3_b32 v11, v11, v49, v50
	s_delay_alu instid0(VALU_DEP_2) | instskip(NEXT) | instid1(VALU_DEP_2)
	v_cmp_ne_u32_e64 s13, 0, v15
	v_lshlrev_b32_e32 v11, 8, v11
	s_delay_alu instid0(VALU_DEP_1)
	v_cndmask_b32_e64 v15, 0, v11, s13
.LBB6_1933:                             ;   in Loop: Header=BB6_1935 Depth=4
	s_or_b32 exec_lo, exec_lo, s36
.LBB6_1934:                             ;   in Loop: Header=BB6_1935 Depth=4
	s_delay_alu instid0(SALU_CYCLE_1)
	s_or_b32 exec_lo, exec_lo, s35
	v_or_b32_e32 v9, v9, v35
	v_and_b32_e32 v11, 0xff, v33
	v_lshlrev_b32_e32 v32, 8, v32
	v_and_b32_e32 v33, 0xff, v37
	v_lshlrev_b32_e32 v35, 8, v36
	v_or_b32_e32 v15, v15, v39
	v_and_b32_e32 v12, 0xff, v12
	v_lshlrev_b32_e32 v8, 24, v8
	v_lshlrev_b32_e32 v9, 16, v9
	;; [unrolled: 1-line block ×3, first 2 shown]
	v_perm_b32 v27, v32, v27, 0xc0c0500
	v_lshlrev_b32_e32 v10, 24, v10
	v_lshlrev_b32_e32 v32, 16, v33
	v_perm_b32 v13, v35, v13, 0xc0c0500
	v_and_b32_e32 v14, 0xff, v14
	v_lshlrev_b32_e32 v15, 16, v15
	v_add_co_u32 v16, s13, v16, v148
	v_or3_b32 v9, v34, v12, v9
	v_or3_b32 v8, v8, v11, v27
	;; [unrolled: 1-line block ×4, first 2 shown]
	v_sub_nc_u32_e32 v26, v26, v132
	v_add_co_ci_u32_e64 v17, s13, v17, v149, s13
	v_add_co_u32 v18, s13, v18, v148
	s_delay_alu instid0(VALU_DEP_1) | instskip(SKIP_3) | instid1(VALU_DEP_1)
	v_add_co_ci_u32_e64 v19, s13, v19, v149, s13
	global_store_b128 v[20:21], v[8:11], off glc slc dlc
	v_cmp_gt_i32_e64 s13, 16, v26
	v_add_co_u32 v20, s14, v20, v148
	v_add_co_ci_u32_e64 v21, s14, v21, v149, s14
	v_sub_nc_u32_e32 v25, v25, v129
	s_delay_alu instid0(VALU_DEP_4) | instskip(NEXT) | instid1(SALU_CYCLE_1)
	s_or_b32 s34, s13, s34
	s_and_not1_b32 exec_lo, exec_lo, s34
	s_cbranch_execz .LBB6_2317
.LBB6_1935:                             ;   Parent Loop BB6_51 Depth=1
                                        ;     Parent Loop BB6_303 Depth=2
                                        ;       Parent Loop BB6_305 Depth=3
                                        ; =>      This Inner Loop Header: Depth=4
	global_load_b128 v[12:15], v[16:17], off slc dlc
	global_load_b128 v[8:11], v[18:19], off slc dlc
	s_mov_b32 s14, 0
	s_mov_b32 s36, exec_lo
                                        ; implicit-def: $sgpr35
	s_waitcnt vmcnt(1)
	v_and_b32_e32 v32, 0xff, v12
	s_delay_alu instid0(VALU_DEP_1)
	v_cmpx_lt_i16_e32 0x7f, v32
	s_xor_b32 s36, exec_lo, s36
	s_cbranch_execnz .LBB6_2189
; %bb.1936:                             ;   in Loop: Header=BB6_1935 Depth=4
	s_or_saveexec_b32 s36, s36
	v_mov_b32_e32 v27, s35
	s_xor_b32 exec_lo, exec_lo, s36
	s_cbranch_execnz .LBB6_2192
.LBB6_1937:                             ;   in Loop: Header=BB6_1935 Depth=4
	s_or_b32 exec_lo, exec_lo, s36
	s_and_saveexec_b32 s35, s14
	s_cbranch_execz .LBB6_1939
.LBB6_1938:                             ;   in Loop: Header=BB6_1935 Depth=4
	v_and_b32_e32 v27, 7, v12
	v_bfe_u32 v34, v12, 3, 4
	v_lshlrev_b32_e32 v35, 24, v12
	s_delay_alu instid0(VALU_DEP_3) | instskip(NEXT) | instid1(VALU_DEP_3)
	v_clz_i32_u32_e32 v32, v27
	v_cmp_eq_u32_e64 s13, 0, v34
	s_delay_alu instid0(VALU_DEP_2) | instskip(NEXT) | instid1(VALU_DEP_1)
	v_min_u32_e32 v32, 32, v32
	v_subrev_nc_u32_e32 v33, 28, v32
	v_sub_nc_u32_e32 v32, 29, v32
	s_delay_alu instid0(VALU_DEP_2) | instskip(NEXT) | instid1(VALU_DEP_2)
	v_lshlrev_b32_e32 v33, v33, v12
	v_cndmask_b32_e64 v32, v34, v32, s13
	s_delay_alu instid0(VALU_DEP_2) | instskip(NEXT) | instid1(VALU_DEP_2)
	v_and_b32_e32 v33, 7, v33
	v_lshl_add_u32 v32, v32, 23, 0x3b800000
	s_delay_alu instid0(VALU_DEP_2) | instskip(SKIP_1) | instid1(VALU_DEP_2)
	v_cndmask_b32_e64 v27, v27, v33, s13
	v_and_b32_e32 v33, 0x80000000, v35
	v_lshlrev_b32_e32 v27, 20, v27
	s_delay_alu instid0(VALU_DEP_1)
	v_or3_b32 v27, v33, v32, v27
.LBB6_1939:                             ;   in Loop: Header=BB6_1935 Depth=4
	s_or_b32 exec_lo, exec_lo, s35
	s_waitcnt vmcnt(0)
	v_and_b32_e32 v33, 0xff, v8
	s_mov_b32 s14, 0
	s_mov_b32 s36, exec_lo
                                        ; implicit-def: $sgpr35
	s_delay_alu instid0(VALU_DEP_1)
	v_cmpx_lt_i16_e32 0x7f, v33
	s_xor_b32 s36, exec_lo, s36
	s_cbranch_execnz .LBB6_2193
; %bb.1940:                             ;   in Loop: Header=BB6_1935 Depth=4
	s_or_saveexec_b32 s36, s36
	v_mov_b32_e32 v32, s35
	s_xor_b32 exec_lo, exec_lo, s36
	s_cbranch_execnz .LBB6_2196
.LBB6_1941:                             ;   in Loop: Header=BB6_1935 Depth=4
	s_or_b32 exec_lo, exec_lo, s36
	s_and_saveexec_b32 s35, s14
	s_cbranch_execz .LBB6_1943
.LBB6_1942:                             ;   in Loop: Header=BB6_1935 Depth=4
	v_and_b32_e32 v32, 7, v8
	v_bfe_u32 v35, v8, 3, 4
	v_lshlrev_b32_e32 v36, 24, v8
	s_delay_alu instid0(VALU_DEP_3) | instskip(NEXT) | instid1(VALU_DEP_3)
	v_clz_i32_u32_e32 v33, v32
	v_cmp_eq_u32_e64 s13, 0, v35
	s_delay_alu instid0(VALU_DEP_2) | instskip(NEXT) | instid1(VALU_DEP_1)
	v_min_u32_e32 v33, 32, v33
	v_subrev_nc_u32_e32 v34, 28, v33
	v_sub_nc_u32_e32 v33, 29, v33
	s_delay_alu instid0(VALU_DEP_2) | instskip(NEXT) | instid1(VALU_DEP_2)
	v_lshlrev_b32_e32 v34, v34, v8
	v_cndmask_b32_e64 v33, v35, v33, s13
	s_delay_alu instid0(VALU_DEP_2) | instskip(NEXT) | instid1(VALU_DEP_2)
	v_and_b32_e32 v34, 7, v34
	v_lshl_add_u32 v33, v33, 23, 0x3b800000
	s_delay_alu instid0(VALU_DEP_2) | instskip(SKIP_1) | instid1(VALU_DEP_2)
	v_cndmask_b32_e64 v32, v32, v34, s13
	v_and_b32_e32 v34, 0x80000000, v36
	v_lshlrev_b32_e32 v32, 20, v32
	s_delay_alu instid0(VALU_DEP_1)
	v_or3_b32 v32, v34, v33, v32
.LBB6_1943:                             ;   in Loop: Header=BB6_1935 Depth=4
	s_or_b32 exec_lo, exec_lo, s35
	s_delay_alu instid0(VALU_DEP_1) | instskip(NEXT) | instid1(VALU_DEP_1)
	v_add_f32_e32 v32, v27, v32
	v_and_b32_e32 v27, 0x7f800000, v32
	s_delay_alu instid0(VALU_DEP_1) | instskip(SKIP_1) | instid1(VALU_DEP_2)
	v_cmp_ne_u32_e64 s13, 0x7f800000, v27
	v_mov_b32_e32 v27, 0x80
	s_and_saveexec_b32 s35, s13
	s_cbranch_execz .LBB6_1951
; %bb.1944:                             ;   in Loop: Header=BB6_1935 Depth=4
	v_mov_b32_e32 v27, 0
	s_mov_b32 s36, exec_lo
	v_cmpx_ne_u32_e32 0, v32
	s_cbranch_execz .LBB6_1950
; %bb.1945:                             ;   in Loop: Header=BB6_1935 Depth=4
	v_bfe_u32 v27, v32, 23, 8
	v_and_b32_e32 v33, 0x7fffff, v32
	s_delay_alu instid0(VALU_DEP_2) | instskip(SKIP_1) | instid1(VALU_DEP_3)
	v_sub_nc_u32_e32 v34, 0x78, v27
	v_cmp_gt_u32_e64 s13, 0x79, v27
	v_or_b32_e32 v35, 0x800000, v33
	s_delay_alu instid0(VALU_DEP_2) | instskip(SKIP_2) | instid1(VALU_DEP_2)
	v_cndmask_b32_e64 v34, 0, v34, s13
	v_cmp_eq_u32_e64 s13, 0, v27
	v_add_nc_u32_e32 v27, 0xffffff89, v27
	v_cndmask_b32_e64 v34, v34, 0x77, s13
	v_cndmask_b32_e64 v33, v35, v33, s13
	s_delay_alu instid0(VALU_DEP_3) | instskip(NEXT) | instid1(VALU_DEP_3)
	v_cndmask_b32_e64 v27, v27, 0xffffff8a, s13
	v_lshl_add_u32 v35, 0x100000, v34, -1
	s_delay_alu instid0(VALU_DEP_3) | instskip(SKIP_1) | instid1(VALU_DEP_4)
	v_lshrrev_b32_e32 v36, v34, v33
	v_lshlrev_b32_e64 v38, v34, 0x80000
	v_add_nc_u32_e32 v34, v34, v27
	s_delay_alu instid0(VALU_DEP_4) | instskip(NEXT) | instid1(VALU_DEP_4)
	v_and_b32_e32 v33, v35, v33
	v_bfe_u32 v37, v36, 20, 1
	s_delay_alu instid0(VALU_DEP_2) | instskip(NEXT) | instid1(VALU_DEP_2)
	v_cmp_eq_u32_e64 s14, v33, v38
	v_add_nc_u32_e32 v35, -1, v37
	s_delay_alu instid0(VALU_DEP_1) | instskip(SKIP_2) | instid1(VALU_DEP_2)
	v_cndmask_b32_e64 v33, 0, v35, s14
	v_lshrrev_b32_e32 v35, 23, v36
	s_mov_b32 s14, exec_lo
	v_add_nc_u32_e32 v33, v33, v36
	s_delay_alu instid0(VALU_DEP_2) | instskip(NEXT) | instid1(VALU_DEP_2)
	v_xor_b32_e32 v35, 1, v35
	v_and_b32_e32 v27, 0xfffff, v33
	s_delay_alu instid0(VALU_DEP_1) | instskip(NEXT) | instid1(VALU_DEP_3)
	v_add_nc_u32_e32 v33, v27, v36
                                        ; implicit-def: $vgpr27
	v_cmpx_ne_u32_e64 v34, v35
	s_xor_b32 s14, exec_lo, s14
; %bb.1946:                             ;   in Loop: Header=BB6_1935 Depth=4
	s_delay_alu instid0(VALU_DEP_2) | instskip(SKIP_1) | instid1(VALU_DEP_2)
	v_cmp_lt_u32_e64 s13, 0xffffff, v33
	v_sub_nc_u32_e32 v27, v34, v35
	v_cndmask_b32_e64 v34, 0, 1, s13
	s_delay_alu instid0(VALU_DEP_2) | instskip(NEXT) | instid1(VALU_DEP_2)
	v_add_co_ci_u32_e64 v27, s13, 0, v27, s13
	v_lshrrev_b32_e32 v33, v34, v33
; %bb.1947:                             ;   in Loop: Header=BB6_1935 Depth=4
	s_and_not1_saveexec_b32 s13, s14
; %bb.1948:                             ;   in Loop: Header=BB6_1935 Depth=4
	s_delay_alu instid0(VALU_DEP_1)
	v_bfe_u32 v27, v33, 23, 1
; %bb.1949:                             ;   in Loop: Header=BB6_1935 Depth=4
	s_or_b32 exec_lo, exec_lo, s13
	v_lshrrev_b32_e32 v33, 20, v33
	s_delay_alu instid0(VALU_DEP_2) | instskip(SKIP_2) | instid1(VALU_DEP_3)
	v_cmp_gt_i32_e64 s13, 16, v27
	v_lshrrev_b32_e32 v32, 24, v32
	v_min_i32_e32 v34, 15, v27
	v_cndmask_b32_e64 v33, 7, v33, s13
	s_delay_alu instid0(VALU_DEP_3) | instskip(NEXT) | instid1(VALU_DEP_3)
	v_and_b32_e32 v32, 0x80, v32
	v_lshlrev_b32_e32 v34, 3, v34
	s_delay_alu instid0(VALU_DEP_3) | instskip(SKIP_1) | instid1(VALU_DEP_2)
	v_and_b32_e32 v35, 7, v33
	v_or_b32_e32 v27, v27, v33
	v_or3_b32 v32, v34, v32, v35
	s_delay_alu instid0(VALU_DEP_2) | instskip(NEXT) | instid1(VALU_DEP_1)
	v_cmp_ne_u32_e64 s13, 0, v27
	v_cndmask_b32_e64 v27, 0, v32, s13
.LBB6_1950:                             ;   in Loop: Header=BB6_1935 Depth=4
	s_or_b32 exec_lo, exec_lo, s36
.LBB6_1951:                             ;   in Loop: Header=BB6_1935 Depth=4
	s_delay_alu instid0(SALU_CYCLE_1) | instskip(SKIP_3) | instid1(VALU_DEP_1)
	s_or_b32 exec_lo, exec_lo, s35
	v_lshrrev_b16 v33, 8, v12
	s_mov_b32 s14, 0
	s_mov_b32 s36, exec_lo
                                        ; implicit-def: $sgpr35
	v_cmpx_lt_i16_e32 0x7f, v33
	s_xor_b32 s36, exec_lo, s36
	s_cbranch_execnz .LBB6_2197
; %bb.1952:                             ;   in Loop: Header=BB6_1935 Depth=4
	s_or_saveexec_b32 s36, s36
	v_mov_b32_e32 v32, s35
	s_xor_b32 exec_lo, exec_lo, s36
	s_cbranch_execnz .LBB6_2200
.LBB6_1953:                             ;   in Loop: Header=BB6_1935 Depth=4
	s_or_b32 exec_lo, exec_lo, s36
	s_and_saveexec_b32 s35, s14
	s_cbranch_execz .LBB6_1955
.LBB6_1954:                             ;   in Loop: Header=BB6_1935 Depth=4
	v_and_b32_e32 v32, 0xffff, v33
	v_lshlrev_b32_e32 v33, 24, v33
	s_delay_alu instid0(VALU_DEP_2) | instskip(NEXT) | instid1(VALU_DEP_2)
	v_and_b32_e32 v34, 7, v32
	v_and_b32_e32 v33, 0x80000000, v33
	s_delay_alu instid0(VALU_DEP_2) | instskip(NEXT) | instid1(VALU_DEP_1)
	v_clz_i32_u32_e32 v35, v34
	v_min_u32_e32 v35, 32, v35
	s_delay_alu instid0(VALU_DEP_1) | instskip(SKIP_1) | instid1(VALU_DEP_2)
	v_subrev_nc_u32_e32 v36, 28, v35
	v_sub_nc_u32_e32 v35, 29, v35
	v_lshlrev_b32_e32 v36, v36, v32
	v_bfe_u32 v32, v32, 3, 4
	s_delay_alu instid0(VALU_DEP_2) | instskip(NEXT) | instid1(VALU_DEP_2)
	v_and_b32_e32 v36, 7, v36
	v_cmp_eq_u32_e64 s13, 0, v32
	s_delay_alu instid0(VALU_DEP_1) | instskip(NEXT) | instid1(VALU_DEP_3)
	v_cndmask_b32_e64 v32, v32, v35, s13
	v_cndmask_b32_e64 v34, v34, v36, s13
	s_delay_alu instid0(VALU_DEP_2) | instskip(NEXT) | instid1(VALU_DEP_2)
	v_lshl_add_u32 v32, v32, 23, 0x3b800000
	v_lshlrev_b32_e32 v34, 20, v34
	s_delay_alu instid0(VALU_DEP_1)
	v_or3_b32 v32, v33, v32, v34
.LBB6_1955:                             ;   in Loop: Header=BB6_1935 Depth=4
	s_or_b32 exec_lo, exec_lo, s35
	v_lshrrev_b16 v33, 8, v8
	s_mov_b32 s14, 0
	s_mov_b32 s36, exec_lo
                                        ; implicit-def: $sgpr35
	s_delay_alu instid0(VALU_DEP_1)
	v_cmpx_lt_i16_e32 0x7f, v33
	s_xor_b32 s36, exec_lo, s36
	s_cbranch_execnz .LBB6_2201
; %bb.1956:                             ;   in Loop: Header=BB6_1935 Depth=4
	s_or_saveexec_b32 s36, s36
	v_mov_b32_e32 v34, s35
	s_xor_b32 exec_lo, exec_lo, s36
	s_cbranch_execnz .LBB6_2204
.LBB6_1957:                             ;   in Loop: Header=BB6_1935 Depth=4
	s_or_b32 exec_lo, exec_lo, s36
	s_and_saveexec_b32 s35, s14
	s_cbranch_execz .LBB6_1959
.LBB6_1958:                             ;   in Loop: Header=BB6_1935 Depth=4
	v_and_b32_e32 v34, 0xffff, v33
	v_lshlrev_b32_e32 v33, 24, v33
	s_delay_alu instid0(VALU_DEP_2) | instskip(NEXT) | instid1(VALU_DEP_2)
	v_and_b32_e32 v35, 7, v34
	v_and_b32_e32 v33, 0x80000000, v33
	s_delay_alu instid0(VALU_DEP_2) | instskip(NEXT) | instid1(VALU_DEP_1)
	v_clz_i32_u32_e32 v36, v35
	v_min_u32_e32 v36, 32, v36
	s_delay_alu instid0(VALU_DEP_1) | instskip(SKIP_1) | instid1(VALU_DEP_2)
	v_subrev_nc_u32_e32 v37, 28, v36
	v_sub_nc_u32_e32 v36, 29, v36
	v_lshlrev_b32_e32 v37, v37, v34
	v_bfe_u32 v34, v34, 3, 4
	s_delay_alu instid0(VALU_DEP_2) | instskip(NEXT) | instid1(VALU_DEP_2)
	v_and_b32_e32 v37, 7, v37
	v_cmp_eq_u32_e64 s13, 0, v34
	s_delay_alu instid0(VALU_DEP_1) | instskip(NEXT) | instid1(VALU_DEP_3)
	v_cndmask_b32_e64 v34, v34, v36, s13
	v_cndmask_b32_e64 v35, v35, v37, s13
	s_delay_alu instid0(VALU_DEP_2) | instskip(NEXT) | instid1(VALU_DEP_2)
	v_lshl_add_u32 v34, v34, 23, 0x3b800000
	v_lshlrev_b32_e32 v35, 20, v35
	s_delay_alu instid0(VALU_DEP_1)
	v_or3_b32 v34, v33, v34, v35
.LBB6_1959:                             ;   in Loop: Header=BB6_1935 Depth=4
	s_or_b32 exec_lo, exec_lo, s35
	s_delay_alu instid0(VALU_DEP_1) | instskip(NEXT) | instid1(VALU_DEP_1)
	v_add_f32_e32 v33, v32, v34
	v_and_b32_e32 v32, 0x7f800000, v33
	s_delay_alu instid0(VALU_DEP_1) | instskip(SKIP_1) | instid1(VALU_DEP_2)
	v_cmp_ne_u32_e64 s13, 0x7f800000, v32
	v_mov_b32_e32 v32, 0x80
	s_and_saveexec_b32 s35, s13
	s_cbranch_execz .LBB6_1967
; %bb.1960:                             ;   in Loop: Header=BB6_1935 Depth=4
	v_mov_b32_e32 v32, 0
	s_mov_b32 s36, exec_lo
	v_cmpx_ne_u32_e32 0, v33
	s_cbranch_execz .LBB6_1966
; %bb.1961:                             ;   in Loop: Header=BB6_1935 Depth=4
	v_bfe_u32 v32, v33, 23, 8
	v_and_b32_e32 v34, 0x7fffff, v33
	s_delay_alu instid0(VALU_DEP_2) | instskip(SKIP_1) | instid1(VALU_DEP_3)
	v_sub_nc_u32_e32 v35, 0x78, v32
	v_cmp_gt_u32_e64 s13, 0x79, v32
	v_or_b32_e32 v36, 0x800000, v34
	s_delay_alu instid0(VALU_DEP_2) | instskip(SKIP_2) | instid1(VALU_DEP_2)
	v_cndmask_b32_e64 v35, 0, v35, s13
	v_cmp_eq_u32_e64 s13, 0, v32
	v_add_nc_u32_e32 v32, 0xffffff89, v32
	v_cndmask_b32_e64 v35, v35, 0x77, s13
	v_cndmask_b32_e64 v34, v36, v34, s13
	s_delay_alu instid0(VALU_DEP_3) | instskip(NEXT) | instid1(VALU_DEP_3)
	v_cndmask_b32_e64 v32, v32, 0xffffff8a, s13
	v_lshl_add_u32 v36, 0x100000, v35, -1
	s_delay_alu instid0(VALU_DEP_3) | instskip(SKIP_1) | instid1(VALU_DEP_4)
	v_lshrrev_b32_e32 v37, v35, v34
	v_lshlrev_b32_e64 v39, v35, 0x80000
	v_add_nc_u32_e32 v35, v35, v32
	s_delay_alu instid0(VALU_DEP_4) | instskip(NEXT) | instid1(VALU_DEP_4)
	v_and_b32_e32 v34, v36, v34
	v_bfe_u32 v38, v37, 20, 1
	s_delay_alu instid0(VALU_DEP_2) | instskip(NEXT) | instid1(VALU_DEP_2)
	v_cmp_eq_u32_e64 s14, v34, v39
	v_add_nc_u32_e32 v36, -1, v38
	s_delay_alu instid0(VALU_DEP_1) | instskip(SKIP_2) | instid1(VALU_DEP_2)
	v_cndmask_b32_e64 v34, 0, v36, s14
	v_lshrrev_b32_e32 v36, 23, v37
	s_mov_b32 s14, exec_lo
	v_add_nc_u32_e32 v34, v34, v37
	s_delay_alu instid0(VALU_DEP_2) | instskip(NEXT) | instid1(VALU_DEP_2)
	v_xor_b32_e32 v36, 1, v36
	v_and_b32_e32 v32, 0xfffff, v34
	s_delay_alu instid0(VALU_DEP_1) | instskip(NEXT) | instid1(VALU_DEP_3)
	v_add_nc_u32_e32 v34, v32, v37
                                        ; implicit-def: $vgpr32
	v_cmpx_ne_u32_e64 v35, v36
	s_xor_b32 s14, exec_lo, s14
; %bb.1962:                             ;   in Loop: Header=BB6_1935 Depth=4
	s_delay_alu instid0(VALU_DEP_2) | instskip(SKIP_1) | instid1(VALU_DEP_2)
	v_cmp_lt_u32_e64 s13, 0xffffff, v34
	v_sub_nc_u32_e32 v32, v35, v36
	v_cndmask_b32_e64 v35, 0, 1, s13
	s_delay_alu instid0(VALU_DEP_2) | instskip(NEXT) | instid1(VALU_DEP_2)
	v_add_co_ci_u32_e64 v32, s13, 0, v32, s13
	v_lshrrev_b32_e32 v34, v35, v34
; %bb.1963:                             ;   in Loop: Header=BB6_1935 Depth=4
	s_and_not1_saveexec_b32 s13, s14
; %bb.1964:                             ;   in Loop: Header=BB6_1935 Depth=4
	s_delay_alu instid0(VALU_DEP_1)
	v_bfe_u32 v32, v34, 23, 1
; %bb.1965:                             ;   in Loop: Header=BB6_1935 Depth=4
	s_or_b32 exec_lo, exec_lo, s13
	v_lshrrev_b32_e32 v34, 20, v34
	s_delay_alu instid0(VALU_DEP_2) | instskip(SKIP_2) | instid1(VALU_DEP_3)
	v_cmp_gt_i32_e64 s13, 16, v32
	v_lshrrev_b32_e32 v33, 24, v33
	v_min_i32_e32 v35, 15, v32
	v_cndmask_b32_e64 v34, 7, v34, s13
	s_delay_alu instid0(VALU_DEP_3) | instskip(NEXT) | instid1(VALU_DEP_3)
	v_and_b32_e32 v33, 0x80, v33
	v_lshlrev_b32_e32 v35, 3, v35
	s_delay_alu instid0(VALU_DEP_3) | instskip(SKIP_1) | instid1(VALU_DEP_2)
	v_and_b32_e32 v36, 7, v34
	v_or_b32_e32 v32, v32, v34
	v_or3_b32 v33, v35, v33, v36
	s_delay_alu instid0(VALU_DEP_2) | instskip(NEXT) | instid1(VALU_DEP_1)
	v_cmp_ne_u32_e64 s13, 0, v32
	v_cndmask_b32_e64 v32, 0, v33, s13
.LBB6_1966:                             ;   in Loop: Header=BB6_1935 Depth=4
	s_or_b32 exec_lo, exec_lo, s36
.LBB6_1967:                             ;   in Loop: Header=BB6_1935 Depth=4
	s_delay_alu instid0(SALU_CYCLE_1) | instskip(SKIP_3) | instid1(VALU_DEP_1)
	s_or_b32 exec_lo, exec_lo, s35
	v_lshrrev_b32_e32 v34, 16, v12
	s_mov_b32 s14, 0
	s_mov_b32 s36, exec_lo
                                        ; implicit-def: $sgpr35
	v_and_b32_e32 v35, 0xff, v34
	s_delay_alu instid0(VALU_DEP_1)
	v_cmpx_lt_i16_e32 0x7f, v35
	s_xor_b32 s36, exec_lo, s36
	s_cbranch_execnz .LBB6_2205
; %bb.1968:                             ;   in Loop: Header=BB6_1935 Depth=4
	s_or_saveexec_b32 s36, s36
	v_mov_b32_e32 v33, s35
	s_xor_b32 exec_lo, exec_lo, s36
	s_cbranch_execnz .LBB6_2208
.LBB6_1969:                             ;   in Loop: Header=BB6_1935 Depth=4
	s_or_b32 exec_lo, exec_lo, s36
	s_and_saveexec_b32 s35, s14
	s_cbranch_execz .LBB6_1971
.LBB6_1970:                             ;   in Loop: Header=BB6_1935 Depth=4
	v_bfe_u32 v33, v12, 16, 3
	v_lshlrev_b32_e32 v37, 8, v12
	s_delay_alu instid0(VALU_DEP_2) | instskip(NEXT) | instid1(VALU_DEP_1)
	v_clz_i32_u32_e32 v35, v33
	v_min_u32_e32 v35, 32, v35
	s_delay_alu instid0(VALU_DEP_1) | instskip(SKIP_1) | instid1(VALU_DEP_2)
	v_subrev_nc_u32_e32 v36, 28, v35
	v_sub_nc_u32_e32 v35, 29, v35
	v_lshlrev_b32_e32 v34, v36, v34
	v_bfe_u32 v36, v12, 19, 4
	s_delay_alu instid0(VALU_DEP_2) | instskip(NEXT) | instid1(VALU_DEP_2)
	v_and_b32_e32 v34, 7, v34
	v_cmp_eq_u32_e64 s13, 0, v36
	s_delay_alu instid0(VALU_DEP_1) | instskip(NEXT) | instid1(VALU_DEP_3)
	v_cndmask_b32_e64 v35, v36, v35, s13
	v_cndmask_b32_e64 v33, v33, v34, s13
	v_and_b32_e32 v34, 0x80000000, v37
	s_delay_alu instid0(VALU_DEP_3) | instskip(NEXT) | instid1(VALU_DEP_3)
	v_lshl_add_u32 v35, v35, 23, 0x3b800000
	v_lshlrev_b32_e32 v33, 20, v33
	s_delay_alu instid0(VALU_DEP_1)
	v_or3_b32 v33, v34, v35, v33
.LBB6_1971:                             ;   in Loop: Header=BB6_1935 Depth=4
	s_or_b32 exec_lo, exec_lo, s35
	v_lshrrev_b32_e32 v34, 16, v8
	s_mov_b32 s14, 0
	s_mov_b32 s36, exec_lo
                                        ; implicit-def: $sgpr35
	s_delay_alu instid0(VALU_DEP_1) | instskip(NEXT) | instid1(VALU_DEP_1)
	v_and_b32_e32 v36, 0xff, v34
	v_cmpx_lt_i16_e32 0x7f, v36
	s_xor_b32 s36, exec_lo, s36
	s_cbranch_execnz .LBB6_2209
; %bb.1972:                             ;   in Loop: Header=BB6_1935 Depth=4
	s_or_saveexec_b32 s36, s36
	v_mov_b32_e32 v35, s35
	s_xor_b32 exec_lo, exec_lo, s36
	s_cbranch_execnz .LBB6_2212
.LBB6_1973:                             ;   in Loop: Header=BB6_1935 Depth=4
	s_or_b32 exec_lo, exec_lo, s36
	s_and_saveexec_b32 s35, s14
	s_cbranch_execz .LBB6_1975
.LBB6_1974:                             ;   in Loop: Header=BB6_1935 Depth=4
	v_bfe_u32 v35, v8, 16, 3
	v_lshlrev_b32_e32 v38, 8, v8
	s_delay_alu instid0(VALU_DEP_2) | instskip(NEXT) | instid1(VALU_DEP_1)
	v_clz_i32_u32_e32 v36, v35
	v_min_u32_e32 v36, 32, v36
	s_delay_alu instid0(VALU_DEP_1) | instskip(SKIP_1) | instid1(VALU_DEP_2)
	v_subrev_nc_u32_e32 v37, 28, v36
	v_sub_nc_u32_e32 v36, 29, v36
	v_lshlrev_b32_e32 v34, v37, v34
	v_bfe_u32 v37, v8, 19, 4
	s_delay_alu instid0(VALU_DEP_2) | instskip(NEXT) | instid1(VALU_DEP_2)
	v_and_b32_e32 v34, 7, v34
	v_cmp_eq_u32_e64 s13, 0, v37
	s_delay_alu instid0(VALU_DEP_1) | instskip(NEXT) | instid1(VALU_DEP_3)
	v_cndmask_b32_e64 v36, v37, v36, s13
	v_cndmask_b32_e64 v34, v35, v34, s13
	v_and_b32_e32 v35, 0x80000000, v38
	s_delay_alu instid0(VALU_DEP_3) | instskip(NEXT) | instid1(VALU_DEP_3)
	v_lshl_add_u32 v36, v36, 23, 0x3b800000
	v_lshlrev_b32_e32 v34, 20, v34
	s_delay_alu instid0(VALU_DEP_1)
	v_or3_b32 v35, v35, v36, v34
.LBB6_1975:                             ;   in Loop: Header=BB6_1935 Depth=4
	s_or_b32 exec_lo, exec_lo, s35
	s_delay_alu instid0(VALU_DEP_1) | instskip(NEXT) | instid1(VALU_DEP_1)
	v_add_f32_e32 v34, v33, v35
	v_and_b32_e32 v33, 0x7f800000, v34
	s_delay_alu instid0(VALU_DEP_1) | instskip(SKIP_1) | instid1(VALU_DEP_2)
	v_cmp_ne_u32_e64 s13, 0x7f800000, v33
	v_mov_b32_e32 v33, 0x80
	s_and_saveexec_b32 s35, s13
	s_cbranch_execz .LBB6_1983
; %bb.1976:                             ;   in Loop: Header=BB6_1935 Depth=4
	v_mov_b32_e32 v33, 0
	s_mov_b32 s36, exec_lo
	v_cmpx_ne_u32_e32 0, v34
	s_cbranch_execz .LBB6_1982
; %bb.1977:                             ;   in Loop: Header=BB6_1935 Depth=4
	v_bfe_u32 v33, v34, 23, 8
	v_and_b32_e32 v35, 0x7fffff, v34
	s_delay_alu instid0(VALU_DEP_2) | instskip(SKIP_1) | instid1(VALU_DEP_3)
	v_sub_nc_u32_e32 v36, 0x78, v33
	v_cmp_gt_u32_e64 s13, 0x79, v33
	v_or_b32_e32 v37, 0x800000, v35
	s_delay_alu instid0(VALU_DEP_2) | instskip(SKIP_2) | instid1(VALU_DEP_2)
	v_cndmask_b32_e64 v36, 0, v36, s13
	v_cmp_eq_u32_e64 s13, 0, v33
	v_add_nc_u32_e32 v33, 0xffffff89, v33
	v_cndmask_b32_e64 v36, v36, 0x77, s13
	v_cndmask_b32_e64 v35, v37, v35, s13
	s_delay_alu instid0(VALU_DEP_3) | instskip(NEXT) | instid1(VALU_DEP_3)
	v_cndmask_b32_e64 v33, v33, 0xffffff8a, s13
	v_lshl_add_u32 v37, 0x100000, v36, -1
	s_delay_alu instid0(VALU_DEP_3) | instskip(SKIP_1) | instid1(VALU_DEP_4)
	v_lshrrev_b32_e32 v38, v36, v35
	v_lshlrev_b32_e64 v48, v36, 0x80000
	v_add_nc_u32_e32 v36, v36, v33
	s_delay_alu instid0(VALU_DEP_4) | instskip(NEXT) | instid1(VALU_DEP_4)
	v_and_b32_e32 v35, v37, v35
	v_bfe_u32 v39, v38, 20, 1
	s_delay_alu instid0(VALU_DEP_2) | instskip(NEXT) | instid1(VALU_DEP_2)
	v_cmp_eq_u32_e64 s14, v35, v48
	v_add_nc_u32_e32 v37, -1, v39
	s_delay_alu instid0(VALU_DEP_1) | instskip(SKIP_2) | instid1(VALU_DEP_2)
	v_cndmask_b32_e64 v35, 0, v37, s14
	v_lshrrev_b32_e32 v37, 23, v38
	s_mov_b32 s14, exec_lo
	v_add_nc_u32_e32 v35, v35, v38
	s_delay_alu instid0(VALU_DEP_2) | instskip(NEXT) | instid1(VALU_DEP_2)
	v_xor_b32_e32 v37, 1, v37
	v_and_b32_e32 v33, 0xfffff, v35
	s_delay_alu instid0(VALU_DEP_1) | instskip(NEXT) | instid1(VALU_DEP_3)
	v_add_nc_u32_e32 v35, v33, v38
                                        ; implicit-def: $vgpr33
	v_cmpx_ne_u32_e64 v36, v37
	s_xor_b32 s14, exec_lo, s14
; %bb.1978:                             ;   in Loop: Header=BB6_1935 Depth=4
	s_delay_alu instid0(VALU_DEP_2) | instskip(SKIP_1) | instid1(VALU_DEP_2)
	v_cmp_lt_u32_e64 s13, 0xffffff, v35
	v_sub_nc_u32_e32 v33, v36, v37
	v_cndmask_b32_e64 v36, 0, 1, s13
	s_delay_alu instid0(VALU_DEP_2) | instskip(NEXT) | instid1(VALU_DEP_2)
	v_add_co_ci_u32_e64 v33, s13, 0, v33, s13
	v_lshrrev_b32_e32 v35, v36, v35
; %bb.1979:                             ;   in Loop: Header=BB6_1935 Depth=4
	s_and_not1_saveexec_b32 s13, s14
; %bb.1980:                             ;   in Loop: Header=BB6_1935 Depth=4
	s_delay_alu instid0(VALU_DEP_1)
	v_bfe_u32 v33, v35, 23, 1
; %bb.1981:                             ;   in Loop: Header=BB6_1935 Depth=4
	s_or_b32 exec_lo, exec_lo, s13
	v_lshrrev_b32_e32 v35, 20, v35
	s_delay_alu instid0(VALU_DEP_2) | instskip(SKIP_2) | instid1(VALU_DEP_3)
	v_cmp_gt_i32_e64 s13, 16, v33
	v_lshrrev_b32_e32 v34, 24, v34
	v_min_i32_e32 v36, 15, v33
	v_cndmask_b32_e64 v35, 7, v35, s13
	s_delay_alu instid0(VALU_DEP_3) | instskip(NEXT) | instid1(VALU_DEP_3)
	v_and_b32_e32 v34, 0x80, v34
	v_lshlrev_b32_e32 v36, 3, v36
	s_delay_alu instid0(VALU_DEP_3) | instskip(SKIP_1) | instid1(VALU_DEP_2)
	v_and_b32_e32 v37, 7, v35
	v_or_b32_e32 v33, v33, v35
	v_or3_b32 v34, v36, v34, v37
	s_delay_alu instid0(VALU_DEP_2) | instskip(NEXT) | instid1(VALU_DEP_1)
	v_cmp_ne_u32_e64 s13, 0, v33
	v_cndmask_b32_e64 v33, 0, v34, s13
.LBB6_1982:                             ;   in Loop: Header=BB6_1935 Depth=4
	s_or_b32 exec_lo, exec_lo, s36
.LBB6_1983:                             ;   in Loop: Header=BB6_1935 Depth=4
	s_delay_alu instid0(SALU_CYCLE_1) | instskip(SKIP_3) | instid1(VALU_DEP_1)
	s_or_b32 exec_lo, exec_lo, s35
	v_lshrrev_b32_e32 v35, 24, v12
	s_mov_b32 s14, 0
	s_mov_b32 s36, exec_lo
                                        ; implicit-def: $sgpr35
	v_cmpx_lt_i16_e32 0x7f, v35
	s_xor_b32 s36, exec_lo, s36
	s_cbranch_execnz .LBB6_2213
; %bb.1984:                             ;   in Loop: Header=BB6_1935 Depth=4
	s_or_saveexec_b32 s36, s36
	v_mov_b32_e32 v34, s35
	s_xor_b32 exec_lo, exec_lo, s36
	s_cbranch_execnz .LBB6_2216
.LBB6_1985:                             ;   in Loop: Header=BB6_1935 Depth=4
	s_or_b32 exec_lo, exec_lo, s36
	s_and_saveexec_b32 s35, s14
	s_cbranch_execz .LBB6_1987
.LBB6_1986:                             ;   in Loop: Header=BB6_1935 Depth=4
	v_bfe_u32 v34, v12, 24, 3
	s_delay_alu instid0(VALU_DEP_1) | instskip(NEXT) | instid1(VALU_DEP_1)
	v_clz_i32_u32_e32 v36, v34
	v_min_u32_e32 v36, 32, v36
	s_delay_alu instid0(VALU_DEP_1) | instskip(SKIP_1) | instid1(VALU_DEP_2)
	v_subrev_nc_u32_e32 v37, 28, v36
	v_sub_nc_u32_e32 v36, 29, v36
	v_lshlrev_b32_e32 v35, v37, v35
	v_bfe_u32 v37, v12, 27, 4
	v_and_b32_e32 v12, 0x80000000, v12
	s_delay_alu instid0(VALU_DEP_3) | instskip(NEXT) | instid1(VALU_DEP_3)
	v_and_b32_e32 v35, 7, v35
	v_cmp_eq_u32_e64 s13, 0, v37
	s_delay_alu instid0(VALU_DEP_1) | instskip(NEXT) | instid1(VALU_DEP_3)
	v_cndmask_b32_e64 v36, v37, v36, s13
	v_cndmask_b32_e64 v34, v34, v35, s13
	s_delay_alu instid0(VALU_DEP_2) | instskip(NEXT) | instid1(VALU_DEP_2)
	v_lshl_add_u32 v35, v36, 23, 0x3b800000
	v_lshlrev_b32_e32 v34, 20, v34
	s_delay_alu instid0(VALU_DEP_1)
	v_or3_b32 v34, v12, v35, v34
.LBB6_1987:                             ;   in Loop: Header=BB6_1935 Depth=4
	s_or_b32 exec_lo, exec_lo, s35
	v_lshrrev_b32_e32 v12, 24, v8
	s_mov_b32 s14, 0
	s_mov_b32 s36, exec_lo
                                        ; implicit-def: $sgpr35
	s_delay_alu instid0(VALU_DEP_1)
	v_cmpx_lt_i16_e32 0x7f, v12
	s_xor_b32 s36, exec_lo, s36
	s_cbranch_execnz .LBB6_2217
; %bb.1988:                             ;   in Loop: Header=BB6_1935 Depth=4
	s_or_saveexec_b32 s36, s36
	v_mov_b32_e32 v35, s35
	s_xor_b32 exec_lo, exec_lo, s36
	s_cbranch_execnz .LBB6_2220
.LBB6_1989:                             ;   in Loop: Header=BB6_1935 Depth=4
	s_or_b32 exec_lo, exec_lo, s36
	s_and_saveexec_b32 s35, s14
	s_cbranch_execz .LBB6_1991
.LBB6_1990:                             ;   in Loop: Header=BB6_1935 Depth=4
	v_bfe_u32 v35, v8, 24, 3
	s_delay_alu instid0(VALU_DEP_1) | instskip(NEXT) | instid1(VALU_DEP_1)
	v_clz_i32_u32_e32 v36, v35
	v_min_u32_e32 v36, 32, v36
	s_delay_alu instid0(VALU_DEP_1) | instskip(SKIP_1) | instid1(VALU_DEP_2)
	v_subrev_nc_u32_e32 v37, 28, v36
	v_sub_nc_u32_e32 v36, 29, v36
	v_lshlrev_b32_e32 v12, v37, v12
	v_bfe_u32 v37, v8, 27, 4
	v_and_b32_e32 v8, 0x80000000, v8
	s_delay_alu instid0(VALU_DEP_3) | instskip(NEXT) | instid1(VALU_DEP_3)
	v_and_b32_e32 v12, 7, v12
	v_cmp_eq_u32_e64 s13, 0, v37
	s_delay_alu instid0(VALU_DEP_1) | instskip(NEXT) | instid1(VALU_DEP_3)
	v_cndmask_b32_e64 v36, v37, v36, s13
	v_cndmask_b32_e64 v12, v35, v12, s13
	s_delay_alu instid0(VALU_DEP_2) | instskip(NEXT) | instid1(VALU_DEP_2)
	v_lshl_add_u32 v35, v36, 23, 0x3b800000
	v_lshlrev_b32_e32 v12, 20, v12
	s_delay_alu instid0(VALU_DEP_1)
	v_or3_b32 v35, v8, v35, v12
.LBB6_1991:                             ;   in Loop: Header=BB6_1935 Depth=4
	s_or_b32 exec_lo, exec_lo, s35
	s_delay_alu instid0(VALU_DEP_1) | instskip(NEXT) | instid1(VALU_DEP_1)
	v_add_f32_e32 v12, v34, v35
	v_and_b32_e32 v8, 0x7f800000, v12
	s_delay_alu instid0(VALU_DEP_1) | instskip(SKIP_1) | instid1(VALU_DEP_2)
	v_cmp_ne_u32_e64 s13, 0x7f800000, v8
	v_mov_b32_e32 v8, 0x80
	s_and_saveexec_b32 s35, s13
	s_cbranch_execz .LBB6_1999
; %bb.1992:                             ;   in Loop: Header=BB6_1935 Depth=4
	v_mov_b32_e32 v8, 0
	s_mov_b32 s36, exec_lo
	v_cmpx_ne_u32_e32 0, v12
	s_cbranch_execz .LBB6_1998
; %bb.1993:                             ;   in Loop: Header=BB6_1935 Depth=4
	v_bfe_u32 v8, v12, 23, 8
	v_and_b32_e32 v34, 0x7fffff, v12
	s_delay_alu instid0(VALU_DEP_2) | instskip(SKIP_1) | instid1(VALU_DEP_3)
	v_sub_nc_u32_e32 v35, 0x78, v8
	v_cmp_gt_u32_e64 s13, 0x79, v8
	v_or_b32_e32 v36, 0x800000, v34
	s_delay_alu instid0(VALU_DEP_2) | instskip(SKIP_2) | instid1(VALU_DEP_2)
	v_cndmask_b32_e64 v35, 0, v35, s13
	v_cmp_eq_u32_e64 s13, 0, v8
	v_add_nc_u32_e32 v8, 0xffffff89, v8
	v_cndmask_b32_e64 v35, v35, 0x77, s13
	v_cndmask_b32_e64 v34, v36, v34, s13
	s_delay_alu instid0(VALU_DEP_3) | instskip(NEXT) | instid1(VALU_DEP_3)
	v_cndmask_b32_e64 v8, v8, 0xffffff8a, s13
	v_lshl_add_u32 v36, 0x100000, v35, -1
	s_delay_alu instid0(VALU_DEP_3) | instskip(SKIP_1) | instid1(VALU_DEP_4)
	v_lshrrev_b32_e32 v37, v35, v34
	v_lshlrev_b32_e64 v39, v35, 0x80000
	v_add_nc_u32_e32 v35, v35, v8
	s_delay_alu instid0(VALU_DEP_4) | instskip(NEXT) | instid1(VALU_DEP_4)
	v_and_b32_e32 v34, v36, v34
	v_bfe_u32 v38, v37, 20, 1
	s_delay_alu instid0(VALU_DEP_2) | instskip(NEXT) | instid1(VALU_DEP_2)
	v_cmp_eq_u32_e64 s14, v34, v39
	v_add_nc_u32_e32 v36, -1, v38
	s_delay_alu instid0(VALU_DEP_1) | instskip(SKIP_2) | instid1(VALU_DEP_2)
	v_cndmask_b32_e64 v34, 0, v36, s14
	v_lshrrev_b32_e32 v36, 23, v37
	s_mov_b32 s14, exec_lo
	v_add_nc_u32_e32 v34, v34, v37
	s_delay_alu instid0(VALU_DEP_2) | instskip(NEXT) | instid1(VALU_DEP_2)
	v_xor_b32_e32 v36, 1, v36
	v_and_b32_e32 v8, 0xfffff, v34
	s_delay_alu instid0(VALU_DEP_1) | instskip(NEXT) | instid1(VALU_DEP_3)
	v_add_nc_u32_e32 v34, v8, v37
                                        ; implicit-def: $vgpr8
	v_cmpx_ne_u32_e64 v35, v36
	s_xor_b32 s14, exec_lo, s14
; %bb.1994:                             ;   in Loop: Header=BB6_1935 Depth=4
	s_delay_alu instid0(VALU_DEP_2) | instskip(SKIP_1) | instid1(VALU_DEP_2)
	v_cmp_lt_u32_e64 s13, 0xffffff, v34
	v_sub_nc_u32_e32 v8, v35, v36
	v_cndmask_b32_e64 v35, 0, 1, s13
	s_delay_alu instid0(VALU_DEP_2) | instskip(NEXT) | instid1(VALU_DEP_2)
	v_add_co_ci_u32_e64 v8, s13, 0, v8, s13
	v_lshrrev_b32_e32 v34, v35, v34
; %bb.1995:                             ;   in Loop: Header=BB6_1935 Depth=4
	s_and_not1_saveexec_b32 s13, s14
; %bb.1996:                             ;   in Loop: Header=BB6_1935 Depth=4
	s_delay_alu instid0(VALU_DEP_1)
	v_bfe_u32 v8, v34, 23, 1
; %bb.1997:                             ;   in Loop: Header=BB6_1935 Depth=4
	s_or_b32 exec_lo, exec_lo, s13
	v_lshrrev_b32_e32 v34, 20, v34
	s_delay_alu instid0(VALU_DEP_2) | instskip(SKIP_2) | instid1(VALU_DEP_3)
	v_cmp_gt_i32_e64 s13, 16, v8
	v_lshrrev_b32_e32 v12, 24, v12
	v_min_i32_e32 v35, 15, v8
	v_cndmask_b32_e64 v34, 7, v34, s13
	s_delay_alu instid0(VALU_DEP_3) | instskip(NEXT) | instid1(VALU_DEP_3)
	v_and_b32_e32 v12, 0x80, v12
	v_lshlrev_b32_e32 v35, 3, v35
	s_delay_alu instid0(VALU_DEP_3) | instskip(SKIP_1) | instid1(VALU_DEP_2)
	v_and_b32_e32 v36, 7, v34
	v_or_b32_e32 v8, v8, v34
	v_or3_b32 v12, v35, v12, v36
	s_delay_alu instid0(VALU_DEP_2) | instskip(NEXT) | instid1(VALU_DEP_1)
	v_cmp_ne_u32_e64 s13, 0, v8
	v_cndmask_b32_e64 v8, 0, v12, s13
.LBB6_1998:                             ;   in Loop: Header=BB6_1935 Depth=4
	s_or_b32 exec_lo, exec_lo, s36
.LBB6_1999:                             ;   in Loop: Header=BB6_1935 Depth=4
	s_delay_alu instid0(SALU_CYCLE_1) | instskip(SKIP_3) | instid1(VALU_DEP_1)
	s_or_b32 exec_lo, exec_lo, s35
	v_and_b32_e32 v34, 0xff, v13
	s_mov_b32 s14, 0
	s_mov_b32 s36, exec_lo
                                        ; implicit-def: $sgpr35
	v_cmpx_lt_i16_e32 0x7f, v34
	s_xor_b32 s36, exec_lo, s36
	s_cbranch_execnz .LBB6_2221
; %bb.2000:                             ;   in Loop: Header=BB6_1935 Depth=4
	s_or_saveexec_b32 s36, s36
	v_mov_b32_e32 v12, s35
	s_xor_b32 exec_lo, exec_lo, s36
	s_cbranch_execnz .LBB6_2224
.LBB6_2001:                             ;   in Loop: Header=BB6_1935 Depth=4
	s_or_b32 exec_lo, exec_lo, s36
	s_and_saveexec_b32 s35, s14
	s_cbranch_execz .LBB6_2003
.LBB6_2002:                             ;   in Loop: Header=BB6_1935 Depth=4
	v_and_b32_e32 v12, 7, v13
	v_bfe_u32 v36, v13, 3, 4
	v_lshlrev_b32_e32 v37, 24, v13
	s_delay_alu instid0(VALU_DEP_3) | instskip(NEXT) | instid1(VALU_DEP_3)
	v_clz_i32_u32_e32 v34, v12
	v_cmp_eq_u32_e64 s13, 0, v36
	s_delay_alu instid0(VALU_DEP_2) | instskip(NEXT) | instid1(VALU_DEP_1)
	v_min_u32_e32 v34, 32, v34
	v_subrev_nc_u32_e32 v35, 28, v34
	v_sub_nc_u32_e32 v34, 29, v34
	s_delay_alu instid0(VALU_DEP_2) | instskip(NEXT) | instid1(VALU_DEP_2)
	v_lshlrev_b32_e32 v35, v35, v13
	v_cndmask_b32_e64 v34, v36, v34, s13
	s_delay_alu instid0(VALU_DEP_2) | instskip(NEXT) | instid1(VALU_DEP_2)
	v_and_b32_e32 v35, 7, v35
	v_lshl_add_u32 v34, v34, 23, 0x3b800000
	s_delay_alu instid0(VALU_DEP_2) | instskip(SKIP_1) | instid1(VALU_DEP_2)
	v_cndmask_b32_e64 v12, v12, v35, s13
	v_and_b32_e32 v35, 0x80000000, v37
	v_lshlrev_b32_e32 v12, 20, v12
	s_delay_alu instid0(VALU_DEP_1)
	v_or3_b32 v12, v35, v34, v12
.LBB6_2003:                             ;   in Loop: Header=BB6_1935 Depth=4
	s_or_b32 exec_lo, exec_lo, s35
	v_and_b32_e32 v35, 0xff, v9
	s_mov_b32 s14, 0
	s_mov_b32 s36, exec_lo
                                        ; implicit-def: $sgpr35
	s_delay_alu instid0(VALU_DEP_1)
	v_cmpx_lt_i16_e32 0x7f, v35
	s_xor_b32 s36, exec_lo, s36
	s_cbranch_execnz .LBB6_2225
; %bb.2004:                             ;   in Loop: Header=BB6_1935 Depth=4
	s_or_saveexec_b32 s36, s36
	v_mov_b32_e32 v34, s35
	s_xor_b32 exec_lo, exec_lo, s36
	s_cbranch_execnz .LBB6_2228
.LBB6_2005:                             ;   in Loop: Header=BB6_1935 Depth=4
	s_or_b32 exec_lo, exec_lo, s36
	s_and_saveexec_b32 s35, s14
	s_cbranch_execz .LBB6_2007
.LBB6_2006:                             ;   in Loop: Header=BB6_1935 Depth=4
	v_and_b32_e32 v34, 7, v9
	v_bfe_u32 v37, v9, 3, 4
	v_lshlrev_b32_e32 v38, 24, v9
	s_delay_alu instid0(VALU_DEP_3) | instskip(NEXT) | instid1(VALU_DEP_3)
	v_clz_i32_u32_e32 v35, v34
	v_cmp_eq_u32_e64 s13, 0, v37
	s_delay_alu instid0(VALU_DEP_2) | instskip(NEXT) | instid1(VALU_DEP_1)
	v_min_u32_e32 v35, 32, v35
	v_subrev_nc_u32_e32 v36, 28, v35
	v_sub_nc_u32_e32 v35, 29, v35
	s_delay_alu instid0(VALU_DEP_2) | instskip(NEXT) | instid1(VALU_DEP_2)
	v_lshlrev_b32_e32 v36, v36, v9
	v_cndmask_b32_e64 v35, v37, v35, s13
	s_delay_alu instid0(VALU_DEP_2) | instskip(NEXT) | instid1(VALU_DEP_2)
	v_and_b32_e32 v36, 7, v36
	v_lshl_add_u32 v35, v35, 23, 0x3b800000
	s_delay_alu instid0(VALU_DEP_2) | instskip(SKIP_1) | instid1(VALU_DEP_2)
	v_cndmask_b32_e64 v34, v34, v36, s13
	v_and_b32_e32 v36, 0x80000000, v38
	v_lshlrev_b32_e32 v34, 20, v34
	s_delay_alu instid0(VALU_DEP_1)
	v_or3_b32 v34, v36, v35, v34
.LBB6_2007:                             ;   in Loop: Header=BB6_1935 Depth=4
	s_or_b32 exec_lo, exec_lo, s35
	s_delay_alu instid0(VALU_DEP_1) | instskip(NEXT) | instid1(VALU_DEP_1)
	v_add_f32_e32 v34, v12, v34
	v_and_b32_e32 v12, 0x7f800000, v34
	s_delay_alu instid0(VALU_DEP_1) | instskip(SKIP_1) | instid1(VALU_DEP_2)
	v_cmp_ne_u32_e64 s13, 0x7f800000, v12
	v_mov_b32_e32 v12, 0x80
	s_and_saveexec_b32 s35, s13
	s_cbranch_execz .LBB6_2015
; %bb.2008:                             ;   in Loop: Header=BB6_1935 Depth=4
	v_mov_b32_e32 v12, 0
	s_mov_b32 s36, exec_lo
	v_cmpx_ne_u32_e32 0, v34
	s_cbranch_execz .LBB6_2014
; %bb.2009:                             ;   in Loop: Header=BB6_1935 Depth=4
	v_bfe_u32 v12, v34, 23, 8
	v_and_b32_e32 v35, 0x7fffff, v34
	s_delay_alu instid0(VALU_DEP_2) | instskip(SKIP_1) | instid1(VALU_DEP_3)
	v_sub_nc_u32_e32 v36, 0x78, v12
	v_cmp_gt_u32_e64 s13, 0x79, v12
	v_or_b32_e32 v37, 0x800000, v35
	s_delay_alu instid0(VALU_DEP_2) | instskip(SKIP_2) | instid1(VALU_DEP_2)
	v_cndmask_b32_e64 v36, 0, v36, s13
	v_cmp_eq_u32_e64 s13, 0, v12
	v_add_nc_u32_e32 v12, 0xffffff89, v12
	v_cndmask_b32_e64 v36, v36, 0x77, s13
	v_cndmask_b32_e64 v35, v37, v35, s13
	s_delay_alu instid0(VALU_DEP_3) | instskip(NEXT) | instid1(VALU_DEP_3)
	v_cndmask_b32_e64 v12, v12, 0xffffff8a, s13
	v_lshl_add_u32 v37, 0x100000, v36, -1
	s_delay_alu instid0(VALU_DEP_3) | instskip(SKIP_1) | instid1(VALU_DEP_4)
	v_lshrrev_b32_e32 v38, v36, v35
	v_lshlrev_b32_e64 v48, v36, 0x80000
	v_add_nc_u32_e32 v36, v36, v12
	s_delay_alu instid0(VALU_DEP_4) | instskip(NEXT) | instid1(VALU_DEP_4)
	v_and_b32_e32 v35, v37, v35
	v_bfe_u32 v39, v38, 20, 1
	s_delay_alu instid0(VALU_DEP_2) | instskip(NEXT) | instid1(VALU_DEP_2)
	v_cmp_eq_u32_e64 s14, v35, v48
	v_add_nc_u32_e32 v37, -1, v39
	s_delay_alu instid0(VALU_DEP_1) | instskip(SKIP_2) | instid1(VALU_DEP_2)
	v_cndmask_b32_e64 v35, 0, v37, s14
	v_lshrrev_b32_e32 v37, 23, v38
	s_mov_b32 s14, exec_lo
	v_add_nc_u32_e32 v35, v35, v38
	s_delay_alu instid0(VALU_DEP_2) | instskip(NEXT) | instid1(VALU_DEP_2)
	v_xor_b32_e32 v37, 1, v37
	v_and_b32_e32 v12, 0xfffff, v35
	s_delay_alu instid0(VALU_DEP_1) | instskip(NEXT) | instid1(VALU_DEP_3)
	v_add_nc_u32_e32 v35, v12, v38
                                        ; implicit-def: $vgpr12
	v_cmpx_ne_u32_e64 v36, v37
	s_xor_b32 s14, exec_lo, s14
; %bb.2010:                             ;   in Loop: Header=BB6_1935 Depth=4
	s_delay_alu instid0(VALU_DEP_2) | instskip(SKIP_1) | instid1(VALU_DEP_2)
	v_cmp_lt_u32_e64 s13, 0xffffff, v35
	v_sub_nc_u32_e32 v12, v36, v37
	v_cndmask_b32_e64 v36, 0, 1, s13
	s_delay_alu instid0(VALU_DEP_2) | instskip(NEXT) | instid1(VALU_DEP_2)
	v_add_co_ci_u32_e64 v12, s13, 0, v12, s13
	v_lshrrev_b32_e32 v35, v36, v35
; %bb.2011:                             ;   in Loop: Header=BB6_1935 Depth=4
	s_and_not1_saveexec_b32 s13, s14
; %bb.2012:                             ;   in Loop: Header=BB6_1935 Depth=4
	s_delay_alu instid0(VALU_DEP_1)
	v_bfe_u32 v12, v35, 23, 1
; %bb.2013:                             ;   in Loop: Header=BB6_1935 Depth=4
	s_or_b32 exec_lo, exec_lo, s13
	v_lshrrev_b32_e32 v35, 20, v35
	s_delay_alu instid0(VALU_DEP_2) | instskip(SKIP_2) | instid1(VALU_DEP_3)
	v_cmp_gt_i32_e64 s13, 16, v12
	v_lshrrev_b32_e32 v34, 24, v34
	v_min_i32_e32 v36, 15, v12
	v_cndmask_b32_e64 v35, 7, v35, s13
	s_delay_alu instid0(VALU_DEP_3) | instskip(NEXT) | instid1(VALU_DEP_3)
	v_and_b32_e32 v34, 0x80, v34
	v_lshlrev_b32_e32 v36, 3, v36
	s_delay_alu instid0(VALU_DEP_3) | instskip(SKIP_1) | instid1(VALU_DEP_2)
	v_and_b32_e32 v37, 7, v35
	v_or_b32_e32 v12, v12, v35
	v_or3_b32 v34, v36, v34, v37
	s_delay_alu instid0(VALU_DEP_2) | instskip(NEXT) | instid1(VALU_DEP_1)
	v_cmp_ne_u32_e64 s13, 0, v12
	v_cndmask_b32_e64 v12, 0, v34, s13
.LBB6_2014:                             ;   in Loop: Header=BB6_1935 Depth=4
	s_or_b32 exec_lo, exec_lo, s36
.LBB6_2015:                             ;   in Loop: Header=BB6_1935 Depth=4
	s_delay_alu instid0(SALU_CYCLE_1) | instskip(SKIP_3) | instid1(VALU_DEP_1)
	s_or_b32 exec_lo, exec_lo, s35
	v_lshrrev_b16 v35, 8, v13
	s_mov_b32 s14, 0
	s_mov_b32 s36, exec_lo
                                        ; implicit-def: $sgpr35
	v_cmpx_lt_i16_e32 0x7f, v35
	s_xor_b32 s36, exec_lo, s36
	s_cbranch_execnz .LBB6_2229
; %bb.2016:                             ;   in Loop: Header=BB6_1935 Depth=4
	s_or_saveexec_b32 s36, s36
	v_mov_b32_e32 v34, s35
	s_xor_b32 exec_lo, exec_lo, s36
	s_cbranch_execnz .LBB6_2232
.LBB6_2017:                             ;   in Loop: Header=BB6_1935 Depth=4
	s_or_b32 exec_lo, exec_lo, s36
	s_and_saveexec_b32 s35, s14
	s_cbranch_execz .LBB6_2019
.LBB6_2018:                             ;   in Loop: Header=BB6_1935 Depth=4
	v_and_b32_e32 v34, 0xffff, v35
	v_lshlrev_b32_e32 v35, 24, v35
	s_delay_alu instid0(VALU_DEP_2) | instskip(NEXT) | instid1(VALU_DEP_2)
	v_and_b32_e32 v36, 7, v34
	v_and_b32_e32 v35, 0x80000000, v35
	s_delay_alu instid0(VALU_DEP_2) | instskip(NEXT) | instid1(VALU_DEP_1)
	v_clz_i32_u32_e32 v37, v36
	v_min_u32_e32 v37, 32, v37
	s_delay_alu instid0(VALU_DEP_1) | instskip(SKIP_1) | instid1(VALU_DEP_2)
	v_subrev_nc_u32_e32 v38, 28, v37
	v_sub_nc_u32_e32 v37, 29, v37
	v_lshlrev_b32_e32 v38, v38, v34
	v_bfe_u32 v34, v34, 3, 4
	s_delay_alu instid0(VALU_DEP_2) | instskip(NEXT) | instid1(VALU_DEP_2)
	v_and_b32_e32 v38, 7, v38
	v_cmp_eq_u32_e64 s13, 0, v34
	s_delay_alu instid0(VALU_DEP_1) | instskip(NEXT) | instid1(VALU_DEP_3)
	v_cndmask_b32_e64 v34, v34, v37, s13
	v_cndmask_b32_e64 v36, v36, v38, s13
	s_delay_alu instid0(VALU_DEP_2) | instskip(NEXT) | instid1(VALU_DEP_2)
	v_lshl_add_u32 v34, v34, 23, 0x3b800000
	v_lshlrev_b32_e32 v36, 20, v36
	s_delay_alu instid0(VALU_DEP_1)
	v_or3_b32 v34, v35, v34, v36
.LBB6_2019:                             ;   in Loop: Header=BB6_1935 Depth=4
	s_or_b32 exec_lo, exec_lo, s35
	v_lshrrev_b16 v35, 8, v9
	s_mov_b32 s14, 0
	s_mov_b32 s36, exec_lo
                                        ; implicit-def: $sgpr35
	s_delay_alu instid0(VALU_DEP_1)
	v_cmpx_lt_i16_e32 0x7f, v35
	s_xor_b32 s36, exec_lo, s36
	s_cbranch_execnz .LBB6_2233
; %bb.2020:                             ;   in Loop: Header=BB6_1935 Depth=4
	s_or_saveexec_b32 s36, s36
	v_mov_b32_e32 v36, s35
	s_xor_b32 exec_lo, exec_lo, s36
	s_cbranch_execnz .LBB6_2236
.LBB6_2021:                             ;   in Loop: Header=BB6_1935 Depth=4
	s_or_b32 exec_lo, exec_lo, s36
	s_and_saveexec_b32 s35, s14
	s_cbranch_execz .LBB6_2023
.LBB6_2022:                             ;   in Loop: Header=BB6_1935 Depth=4
	v_and_b32_e32 v36, 0xffff, v35
	v_lshlrev_b32_e32 v35, 24, v35
	s_delay_alu instid0(VALU_DEP_2) | instskip(NEXT) | instid1(VALU_DEP_2)
	v_and_b32_e32 v37, 7, v36
	v_and_b32_e32 v35, 0x80000000, v35
	s_delay_alu instid0(VALU_DEP_2) | instskip(NEXT) | instid1(VALU_DEP_1)
	v_clz_i32_u32_e32 v38, v37
	v_min_u32_e32 v38, 32, v38
	s_delay_alu instid0(VALU_DEP_1) | instskip(SKIP_1) | instid1(VALU_DEP_2)
	v_subrev_nc_u32_e32 v39, 28, v38
	v_sub_nc_u32_e32 v38, 29, v38
	v_lshlrev_b32_e32 v39, v39, v36
	v_bfe_u32 v36, v36, 3, 4
	s_delay_alu instid0(VALU_DEP_2) | instskip(NEXT) | instid1(VALU_DEP_2)
	v_and_b32_e32 v39, 7, v39
	v_cmp_eq_u32_e64 s13, 0, v36
	s_delay_alu instid0(VALU_DEP_1) | instskip(NEXT) | instid1(VALU_DEP_3)
	v_cndmask_b32_e64 v36, v36, v38, s13
	v_cndmask_b32_e64 v37, v37, v39, s13
	s_delay_alu instid0(VALU_DEP_2) | instskip(NEXT) | instid1(VALU_DEP_2)
	v_lshl_add_u32 v36, v36, 23, 0x3b800000
	v_lshlrev_b32_e32 v37, 20, v37
	s_delay_alu instid0(VALU_DEP_1)
	v_or3_b32 v36, v35, v36, v37
.LBB6_2023:                             ;   in Loop: Header=BB6_1935 Depth=4
	s_or_b32 exec_lo, exec_lo, s35
	s_delay_alu instid0(VALU_DEP_1) | instskip(NEXT) | instid1(VALU_DEP_1)
	v_add_f32_e32 v35, v34, v36
	v_and_b32_e32 v34, 0x7f800000, v35
	s_delay_alu instid0(VALU_DEP_1) | instskip(SKIP_1) | instid1(VALU_DEP_2)
	v_cmp_ne_u32_e64 s13, 0x7f800000, v34
	v_mov_b32_e32 v34, 0x8000
	s_and_saveexec_b32 s35, s13
	s_cbranch_execz .LBB6_2031
; %bb.2024:                             ;   in Loop: Header=BB6_1935 Depth=4
	v_mov_b32_e32 v34, 0
	s_mov_b32 s36, exec_lo
	v_cmpx_ne_u32_e32 0, v35
	s_cbranch_execz .LBB6_2030
; %bb.2025:                             ;   in Loop: Header=BB6_1935 Depth=4
	v_bfe_u32 v34, v35, 23, 8
	v_and_b32_e32 v36, 0x7fffff, v35
	s_delay_alu instid0(VALU_DEP_2) | instskip(SKIP_1) | instid1(VALU_DEP_3)
	v_sub_nc_u32_e32 v37, 0x78, v34
	v_cmp_gt_u32_e64 s13, 0x79, v34
	v_or_b32_e32 v38, 0x800000, v36
	s_delay_alu instid0(VALU_DEP_2) | instskip(SKIP_2) | instid1(VALU_DEP_2)
	v_cndmask_b32_e64 v37, 0, v37, s13
	v_cmp_eq_u32_e64 s13, 0, v34
	v_add_nc_u32_e32 v34, 0xffffff89, v34
	v_cndmask_b32_e64 v37, v37, 0x77, s13
	v_cndmask_b32_e64 v36, v38, v36, s13
	s_delay_alu instid0(VALU_DEP_3) | instskip(NEXT) | instid1(VALU_DEP_3)
	v_cndmask_b32_e64 v34, v34, 0xffffff8a, s13
	v_lshl_add_u32 v38, 0x100000, v37, -1
	s_delay_alu instid0(VALU_DEP_3) | instskip(SKIP_1) | instid1(VALU_DEP_4)
	v_lshrrev_b32_e32 v39, v37, v36
	v_lshlrev_b32_e64 v49, v37, 0x80000
	v_add_nc_u32_e32 v37, v37, v34
	s_delay_alu instid0(VALU_DEP_4) | instskip(NEXT) | instid1(VALU_DEP_4)
	v_and_b32_e32 v36, v38, v36
	v_bfe_u32 v48, v39, 20, 1
	s_delay_alu instid0(VALU_DEP_2) | instskip(NEXT) | instid1(VALU_DEP_2)
	v_cmp_eq_u32_e64 s14, v36, v49
	v_add_nc_u32_e32 v38, -1, v48
	s_delay_alu instid0(VALU_DEP_1) | instskip(SKIP_2) | instid1(VALU_DEP_2)
	v_cndmask_b32_e64 v36, 0, v38, s14
	v_lshrrev_b32_e32 v38, 23, v39
	s_mov_b32 s14, exec_lo
	v_add_nc_u32_e32 v36, v36, v39
	s_delay_alu instid0(VALU_DEP_2) | instskip(NEXT) | instid1(VALU_DEP_2)
	v_xor_b32_e32 v38, 1, v38
	v_and_b32_e32 v34, 0xfffff, v36
	s_delay_alu instid0(VALU_DEP_1) | instskip(NEXT) | instid1(VALU_DEP_3)
	v_add_nc_u32_e32 v36, v34, v39
                                        ; implicit-def: $vgpr34
	v_cmpx_ne_u32_e64 v37, v38
	s_xor_b32 s14, exec_lo, s14
; %bb.2026:                             ;   in Loop: Header=BB6_1935 Depth=4
	s_delay_alu instid0(VALU_DEP_2) | instskip(SKIP_1) | instid1(VALU_DEP_2)
	v_cmp_lt_u32_e64 s13, 0xffffff, v36
	v_sub_nc_u32_e32 v34, v37, v38
	v_cndmask_b32_e64 v37, 0, 1, s13
	s_delay_alu instid0(VALU_DEP_2) | instskip(NEXT) | instid1(VALU_DEP_2)
	v_add_co_ci_u32_e64 v34, s13, 0, v34, s13
	v_lshrrev_b32_e32 v36, v37, v36
; %bb.2027:                             ;   in Loop: Header=BB6_1935 Depth=4
	s_and_not1_saveexec_b32 s13, s14
; %bb.2028:                             ;   in Loop: Header=BB6_1935 Depth=4
	s_delay_alu instid0(VALU_DEP_1)
	v_bfe_u32 v34, v36, 23, 1
; %bb.2029:                             ;   in Loop: Header=BB6_1935 Depth=4
	s_or_b32 exec_lo, exec_lo, s13
	v_lshrrev_b32_e32 v36, 20, v36
	s_delay_alu instid0(VALU_DEP_2) | instskip(SKIP_2) | instid1(VALU_DEP_3)
	v_min_i32_e32 v37, 15, v34
	v_cmp_gt_i32_e64 s13, 16, v34
	v_lshrrev_b32_e32 v35, 24, v35
	v_lshlrev_b32_e32 v37, 3, v37
	s_delay_alu instid0(VALU_DEP_3) | instskip(NEXT) | instid1(VALU_DEP_3)
	v_cndmask_b32_e64 v36, 7, v36, s13
	v_and_b32_e32 v35, 0x80, v35
	s_delay_alu instid0(VALU_DEP_3) | instskip(NEXT) | instid1(VALU_DEP_3)
	v_and_b32_e32 v37, 0xf8, v37
	v_and_b32_e32 v38, 7, v36
	v_or_b32_e32 v34, v34, v36
	s_delay_alu instid0(VALU_DEP_2) | instskip(NEXT) | instid1(VALU_DEP_2)
	v_or3_b32 v35, v35, v37, v38
	v_cmp_ne_u32_e64 s13, 0, v34
	s_delay_alu instid0(VALU_DEP_2) | instskip(NEXT) | instid1(VALU_DEP_1)
	v_lshlrev_b32_e32 v35, 8, v35
	v_cndmask_b32_e64 v34, 0, v35, s13
.LBB6_2030:                             ;   in Loop: Header=BB6_1935 Depth=4
	s_or_b32 exec_lo, exec_lo, s36
.LBB6_2031:                             ;   in Loop: Header=BB6_1935 Depth=4
	s_delay_alu instid0(SALU_CYCLE_1) | instskip(SKIP_3) | instid1(VALU_DEP_1)
	s_or_b32 exec_lo, exec_lo, s35
	v_lshrrev_b32_e32 v36, 16, v13
	s_mov_b32 s14, 0
	s_mov_b32 s36, exec_lo
                                        ; implicit-def: $sgpr35
	v_and_b32_e32 v37, 0xff, v36
	s_delay_alu instid0(VALU_DEP_1)
	v_cmpx_lt_i16_e32 0x7f, v37
	s_xor_b32 s36, exec_lo, s36
	s_cbranch_execnz .LBB6_2237
; %bb.2032:                             ;   in Loop: Header=BB6_1935 Depth=4
	s_or_saveexec_b32 s36, s36
	v_mov_b32_e32 v35, s35
	s_xor_b32 exec_lo, exec_lo, s36
	s_cbranch_execnz .LBB6_2240
.LBB6_2033:                             ;   in Loop: Header=BB6_1935 Depth=4
	s_or_b32 exec_lo, exec_lo, s36
	s_and_saveexec_b32 s35, s14
	s_cbranch_execz .LBB6_2035
.LBB6_2034:                             ;   in Loop: Header=BB6_1935 Depth=4
	v_bfe_u32 v35, v13, 16, 3
	v_lshlrev_b32_e32 v39, 8, v13
	s_delay_alu instid0(VALU_DEP_2) | instskip(NEXT) | instid1(VALU_DEP_1)
	v_clz_i32_u32_e32 v37, v35
	v_min_u32_e32 v37, 32, v37
	s_delay_alu instid0(VALU_DEP_1) | instskip(SKIP_1) | instid1(VALU_DEP_2)
	v_subrev_nc_u32_e32 v38, 28, v37
	v_sub_nc_u32_e32 v37, 29, v37
	v_lshlrev_b32_e32 v36, v38, v36
	v_bfe_u32 v38, v13, 19, 4
	s_delay_alu instid0(VALU_DEP_2) | instskip(NEXT) | instid1(VALU_DEP_2)
	v_and_b32_e32 v36, 7, v36
	v_cmp_eq_u32_e64 s13, 0, v38
	s_delay_alu instid0(VALU_DEP_1) | instskip(NEXT) | instid1(VALU_DEP_3)
	v_cndmask_b32_e64 v37, v38, v37, s13
	v_cndmask_b32_e64 v35, v35, v36, s13
	v_and_b32_e32 v36, 0x80000000, v39
	s_delay_alu instid0(VALU_DEP_3) | instskip(NEXT) | instid1(VALU_DEP_3)
	v_lshl_add_u32 v37, v37, 23, 0x3b800000
	v_lshlrev_b32_e32 v35, 20, v35
	s_delay_alu instid0(VALU_DEP_1)
	v_or3_b32 v35, v36, v37, v35
.LBB6_2035:                             ;   in Loop: Header=BB6_1935 Depth=4
	s_or_b32 exec_lo, exec_lo, s35
	v_lshrrev_b32_e32 v36, 16, v9
	s_mov_b32 s14, 0
	s_mov_b32 s36, exec_lo
                                        ; implicit-def: $sgpr35
	s_delay_alu instid0(VALU_DEP_1) | instskip(NEXT) | instid1(VALU_DEP_1)
	v_and_b32_e32 v38, 0xff, v36
	v_cmpx_lt_i16_e32 0x7f, v38
	s_xor_b32 s36, exec_lo, s36
	s_cbranch_execnz .LBB6_2241
; %bb.2036:                             ;   in Loop: Header=BB6_1935 Depth=4
	s_or_saveexec_b32 s36, s36
	v_mov_b32_e32 v37, s35
	s_xor_b32 exec_lo, exec_lo, s36
	s_cbranch_execnz .LBB6_2244
.LBB6_2037:                             ;   in Loop: Header=BB6_1935 Depth=4
	s_or_b32 exec_lo, exec_lo, s36
	s_and_saveexec_b32 s35, s14
	s_cbranch_execz .LBB6_2039
.LBB6_2038:                             ;   in Loop: Header=BB6_1935 Depth=4
	v_bfe_u32 v37, v9, 16, 3
	v_lshlrev_b32_e32 v48, 8, v9
	s_delay_alu instid0(VALU_DEP_2) | instskip(NEXT) | instid1(VALU_DEP_1)
	v_clz_i32_u32_e32 v38, v37
	v_min_u32_e32 v38, 32, v38
	s_delay_alu instid0(VALU_DEP_1) | instskip(SKIP_1) | instid1(VALU_DEP_2)
	v_subrev_nc_u32_e32 v39, 28, v38
	v_sub_nc_u32_e32 v38, 29, v38
	v_lshlrev_b32_e32 v36, v39, v36
	v_bfe_u32 v39, v9, 19, 4
	s_delay_alu instid0(VALU_DEP_2) | instskip(NEXT) | instid1(VALU_DEP_2)
	v_and_b32_e32 v36, 7, v36
	v_cmp_eq_u32_e64 s13, 0, v39
	s_delay_alu instid0(VALU_DEP_1) | instskip(NEXT) | instid1(VALU_DEP_3)
	v_cndmask_b32_e64 v38, v39, v38, s13
	v_cndmask_b32_e64 v36, v37, v36, s13
	v_and_b32_e32 v37, 0x80000000, v48
	s_delay_alu instid0(VALU_DEP_3) | instskip(NEXT) | instid1(VALU_DEP_3)
	v_lshl_add_u32 v38, v38, 23, 0x3b800000
	v_lshlrev_b32_e32 v36, 20, v36
	s_delay_alu instid0(VALU_DEP_1)
	v_or3_b32 v37, v37, v38, v36
.LBB6_2039:                             ;   in Loop: Header=BB6_1935 Depth=4
	s_or_b32 exec_lo, exec_lo, s35
	s_delay_alu instid0(VALU_DEP_1) | instskip(NEXT) | instid1(VALU_DEP_1)
	v_add_f32_e32 v36, v35, v37
	v_and_b32_e32 v35, 0x7f800000, v36
	s_delay_alu instid0(VALU_DEP_1) | instskip(SKIP_1) | instid1(VALU_DEP_2)
	v_cmp_ne_u32_e64 s13, 0x7f800000, v35
	v_mov_b32_e32 v35, 0x80
	s_and_saveexec_b32 s35, s13
	s_cbranch_execz .LBB6_2047
; %bb.2040:                             ;   in Loop: Header=BB6_1935 Depth=4
	v_mov_b32_e32 v35, 0
	s_mov_b32 s36, exec_lo
	v_cmpx_ne_u32_e32 0, v36
	s_cbranch_execz .LBB6_2046
; %bb.2041:                             ;   in Loop: Header=BB6_1935 Depth=4
	v_bfe_u32 v35, v36, 23, 8
	v_and_b32_e32 v37, 0x7fffff, v36
	s_delay_alu instid0(VALU_DEP_2) | instskip(SKIP_1) | instid1(VALU_DEP_3)
	v_sub_nc_u32_e32 v38, 0x78, v35
	v_cmp_gt_u32_e64 s13, 0x79, v35
	v_or_b32_e32 v39, 0x800000, v37
	s_delay_alu instid0(VALU_DEP_2) | instskip(SKIP_2) | instid1(VALU_DEP_2)
	v_cndmask_b32_e64 v38, 0, v38, s13
	v_cmp_eq_u32_e64 s13, 0, v35
	v_add_nc_u32_e32 v35, 0xffffff89, v35
	v_cndmask_b32_e64 v38, v38, 0x77, s13
	v_cndmask_b32_e64 v37, v39, v37, s13
	s_delay_alu instid0(VALU_DEP_3) | instskip(NEXT) | instid1(VALU_DEP_3)
	v_cndmask_b32_e64 v35, v35, 0xffffff8a, s13
	v_lshl_add_u32 v39, 0x100000, v38, -1
	s_delay_alu instid0(VALU_DEP_3) | instskip(SKIP_1) | instid1(VALU_DEP_4)
	v_lshrrev_b32_e32 v48, v38, v37
	v_lshlrev_b32_e64 v50, v38, 0x80000
	v_add_nc_u32_e32 v38, v38, v35
	s_delay_alu instid0(VALU_DEP_4) | instskip(NEXT) | instid1(VALU_DEP_4)
	v_and_b32_e32 v37, v39, v37
	v_bfe_u32 v49, v48, 20, 1
	s_delay_alu instid0(VALU_DEP_2) | instskip(NEXT) | instid1(VALU_DEP_2)
	v_cmp_eq_u32_e64 s14, v37, v50
	v_add_nc_u32_e32 v39, -1, v49
	s_delay_alu instid0(VALU_DEP_1) | instskip(SKIP_2) | instid1(VALU_DEP_2)
	v_cndmask_b32_e64 v37, 0, v39, s14
	v_lshrrev_b32_e32 v39, 23, v48
	s_mov_b32 s14, exec_lo
	v_add_nc_u32_e32 v37, v37, v48
	s_delay_alu instid0(VALU_DEP_2) | instskip(NEXT) | instid1(VALU_DEP_2)
	v_xor_b32_e32 v39, 1, v39
	v_and_b32_e32 v35, 0xfffff, v37
	s_delay_alu instid0(VALU_DEP_1) | instskip(NEXT) | instid1(VALU_DEP_3)
	v_add_nc_u32_e32 v37, v35, v48
                                        ; implicit-def: $vgpr35
	v_cmpx_ne_u32_e64 v38, v39
	s_xor_b32 s14, exec_lo, s14
; %bb.2042:                             ;   in Loop: Header=BB6_1935 Depth=4
	s_delay_alu instid0(VALU_DEP_2) | instskip(SKIP_1) | instid1(VALU_DEP_2)
	v_cmp_lt_u32_e64 s13, 0xffffff, v37
	v_sub_nc_u32_e32 v35, v38, v39
	v_cndmask_b32_e64 v38, 0, 1, s13
	s_delay_alu instid0(VALU_DEP_2) | instskip(NEXT) | instid1(VALU_DEP_2)
	v_add_co_ci_u32_e64 v35, s13, 0, v35, s13
	v_lshrrev_b32_e32 v37, v38, v37
; %bb.2043:                             ;   in Loop: Header=BB6_1935 Depth=4
	s_and_not1_saveexec_b32 s13, s14
; %bb.2044:                             ;   in Loop: Header=BB6_1935 Depth=4
	s_delay_alu instid0(VALU_DEP_1)
	v_bfe_u32 v35, v37, 23, 1
; %bb.2045:                             ;   in Loop: Header=BB6_1935 Depth=4
	s_or_b32 exec_lo, exec_lo, s13
	v_lshrrev_b32_e32 v37, 20, v37
	s_delay_alu instid0(VALU_DEP_2) | instskip(SKIP_2) | instid1(VALU_DEP_3)
	v_min_i32_e32 v38, 15, v35
	v_cmp_gt_i32_e64 s13, 16, v35
	v_lshrrev_b32_e32 v36, 24, v36
	v_lshlrev_b32_e32 v38, 3, v38
	s_delay_alu instid0(VALU_DEP_3) | instskip(NEXT) | instid1(VALU_DEP_3)
	v_cndmask_b32_e64 v37, 7, v37, s13
	v_and_b32_e32 v36, 0x80, v36
	s_delay_alu instid0(VALU_DEP_3) | instskip(NEXT) | instid1(VALU_DEP_3)
	v_and_b32_e32 v38, 0xf8, v38
	v_and_b32_e32 v39, 7, v37
	v_or_b32_e32 v35, v35, v37
	s_delay_alu instid0(VALU_DEP_2) | instskip(NEXT) | instid1(VALU_DEP_2)
	v_or3_b32 v36, v38, v36, v39
	v_cmp_ne_u32_e64 s13, 0, v35
	s_delay_alu instid0(VALU_DEP_1)
	v_cndmask_b32_e64 v35, 0, v36, s13
.LBB6_2046:                             ;   in Loop: Header=BB6_1935 Depth=4
	s_or_b32 exec_lo, exec_lo, s36
.LBB6_2047:                             ;   in Loop: Header=BB6_1935 Depth=4
	s_delay_alu instid0(SALU_CYCLE_1) | instskip(SKIP_3) | instid1(VALU_DEP_1)
	s_or_b32 exec_lo, exec_lo, s35
	v_lshrrev_b32_e32 v37, 24, v13
	s_mov_b32 s14, 0
	s_mov_b32 s36, exec_lo
                                        ; implicit-def: $sgpr35
	v_cmpx_lt_i16_e32 0x7f, v37
	s_xor_b32 s36, exec_lo, s36
	s_cbranch_execnz .LBB6_2245
; %bb.2048:                             ;   in Loop: Header=BB6_1935 Depth=4
	s_or_saveexec_b32 s36, s36
	v_mov_b32_e32 v36, s35
	s_xor_b32 exec_lo, exec_lo, s36
	s_cbranch_execnz .LBB6_2248
.LBB6_2049:                             ;   in Loop: Header=BB6_1935 Depth=4
	s_or_b32 exec_lo, exec_lo, s36
	s_and_saveexec_b32 s35, s14
	s_cbranch_execz .LBB6_2051
.LBB6_2050:                             ;   in Loop: Header=BB6_1935 Depth=4
	v_bfe_u32 v36, v13, 24, 3
	s_delay_alu instid0(VALU_DEP_1) | instskip(NEXT) | instid1(VALU_DEP_1)
	v_clz_i32_u32_e32 v38, v36
	v_min_u32_e32 v38, 32, v38
	s_delay_alu instid0(VALU_DEP_1) | instskip(SKIP_1) | instid1(VALU_DEP_2)
	v_subrev_nc_u32_e32 v39, 28, v38
	v_sub_nc_u32_e32 v38, 29, v38
	v_lshlrev_b32_e32 v37, v39, v37
	v_bfe_u32 v39, v13, 27, 4
	v_and_b32_e32 v13, 0x80000000, v13
	s_delay_alu instid0(VALU_DEP_3) | instskip(NEXT) | instid1(VALU_DEP_3)
	v_and_b32_e32 v37, 7, v37
	v_cmp_eq_u32_e64 s13, 0, v39
	s_delay_alu instid0(VALU_DEP_1) | instskip(NEXT) | instid1(VALU_DEP_3)
	v_cndmask_b32_e64 v38, v39, v38, s13
	v_cndmask_b32_e64 v36, v36, v37, s13
	s_delay_alu instid0(VALU_DEP_2) | instskip(NEXT) | instid1(VALU_DEP_2)
	v_lshl_add_u32 v37, v38, 23, 0x3b800000
	v_lshlrev_b32_e32 v36, 20, v36
	s_delay_alu instid0(VALU_DEP_1)
	v_or3_b32 v36, v13, v37, v36
.LBB6_2051:                             ;   in Loop: Header=BB6_1935 Depth=4
	s_or_b32 exec_lo, exec_lo, s35
	v_lshrrev_b32_e32 v13, 24, v9
	s_mov_b32 s14, 0
	s_mov_b32 s36, exec_lo
                                        ; implicit-def: $sgpr35
	s_delay_alu instid0(VALU_DEP_1)
	v_cmpx_lt_i16_e32 0x7f, v13
	s_xor_b32 s36, exec_lo, s36
	s_cbranch_execnz .LBB6_2249
; %bb.2052:                             ;   in Loop: Header=BB6_1935 Depth=4
	s_or_saveexec_b32 s36, s36
	v_mov_b32_e32 v37, s35
	s_xor_b32 exec_lo, exec_lo, s36
	s_cbranch_execnz .LBB6_2252
.LBB6_2053:                             ;   in Loop: Header=BB6_1935 Depth=4
	s_or_b32 exec_lo, exec_lo, s36
	s_and_saveexec_b32 s35, s14
	s_cbranch_execz .LBB6_2055
.LBB6_2054:                             ;   in Loop: Header=BB6_1935 Depth=4
	v_bfe_u32 v37, v9, 24, 3
	s_delay_alu instid0(VALU_DEP_1) | instskip(NEXT) | instid1(VALU_DEP_1)
	v_clz_i32_u32_e32 v38, v37
	v_min_u32_e32 v38, 32, v38
	s_delay_alu instid0(VALU_DEP_1) | instskip(SKIP_1) | instid1(VALU_DEP_2)
	v_subrev_nc_u32_e32 v39, 28, v38
	v_sub_nc_u32_e32 v38, 29, v38
	v_lshlrev_b32_e32 v13, v39, v13
	v_bfe_u32 v39, v9, 27, 4
	v_and_b32_e32 v9, 0x80000000, v9
	s_delay_alu instid0(VALU_DEP_3) | instskip(NEXT) | instid1(VALU_DEP_3)
	v_and_b32_e32 v13, 7, v13
	v_cmp_eq_u32_e64 s13, 0, v39
	s_delay_alu instid0(VALU_DEP_1) | instskip(NEXT) | instid1(VALU_DEP_3)
	v_cndmask_b32_e64 v38, v39, v38, s13
	v_cndmask_b32_e64 v13, v37, v13, s13
	s_delay_alu instid0(VALU_DEP_2) | instskip(NEXT) | instid1(VALU_DEP_2)
	v_lshl_add_u32 v37, v38, 23, 0x3b800000
	v_lshlrev_b32_e32 v13, 20, v13
	s_delay_alu instid0(VALU_DEP_1)
	v_or3_b32 v37, v9, v37, v13
.LBB6_2055:                             ;   in Loop: Header=BB6_1935 Depth=4
	s_or_b32 exec_lo, exec_lo, s35
	s_delay_alu instid0(VALU_DEP_1) | instskip(NEXT) | instid1(VALU_DEP_1)
	v_add_f32_e32 v13, v36, v37
	v_and_b32_e32 v9, 0x7f800000, v13
	s_delay_alu instid0(VALU_DEP_1) | instskip(SKIP_1) | instid1(VALU_DEP_2)
	v_cmp_ne_u32_e64 s13, 0x7f800000, v9
	v_mov_b32_e32 v9, 0x8000
	s_and_saveexec_b32 s35, s13
	s_cbranch_execz .LBB6_2063
; %bb.2056:                             ;   in Loop: Header=BB6_1935 Depth=4
	v_mov_b32_e32 v9, 0
	s_mov_b32 s36, exec_lo
	v_cmpx_ne_u32_e32 0, v13
	s_cbranch_execz .LBB6_2062
; %bb.2057:                             ;   in Loop: Header=BB6_1935 Depth=4
	v_bfe_u32 v9, v13, 23, 8
	v_and_b32_e32 v36, 0x7fffff, v13
	s_delay_alu instid0(VALU_DEP_2) | instskip(SKIP_1) | instid1(VALU_DEP_3)
	v_sub_nc_u32_e32 v37, 0x78, v9
	v_cmp_gt_u32_e64 s13, 0x79, v9
	v_or_b32_e32 v38, 0x800000, v36
	s_delay_alu instid0(VALU_DEP_2) | instskip(SKIP_2) | instid1(VALU_DEP_2)
	v_cndmask_b32_e64 v37, 0, v37, s13
	v_cmp_eq_u32_e64 s13, 0, v9
	v_add_nc_u32_e32 v9, 0xffffff89, v9
	v_cndmask_b32_e64 v37, v37, 0x77, s13
	v_cndmask_b32_e64 v36, v38, v36, s13
	s_delay_alu instid0(VALU_DEP_3) | instskip(NEXT) | instid1(VALU_DEP_3)
	v_cndmask_b32_e64 v9, v9, 0xffffff8a, s13
	v_lshl_add_u32 v38, 0x100000, v37, -1
	s_delay_alu instid0(VALU_DEP_3) | instskip(SKIP_1) | instid1(VALU_DEP_4)
	v_lshrrev_b32_e32 v39, v37, v36
	v_lshlrev_b32_e64 v49, v37, 0x80000
	v_add_nc_u32_e32 v37, v37, v9
	s_delay_alu instid0(VALU_DEP_4) | instskip(NEXT) | instid1(VALU_DEP_4)
	v_and_b32_e32 v36, v38, v36
	v_bfe_u32 v48, v39, 20, 1
	s_delay_alu instid0(VALU_DEP_2) | instskip(NEXT) | instid1(VALU_DEP_2)
	v_cmp_eq_u32_e64 s14, v36, v49
	v_add_nc_u32_e32 v38, -1, v48
	s_delay_alu instid0(VALU_DEP_1) | instskip(SKIP_2) | instid1(VALU_DEP_2)
	v_cndmask_b32_e64 v36, 0, v38, s14
	v_lshrrev_b32_e32 v38, 23, v39
	s_mov_b32 s14, exec_lo
	v_add_nc_u32_e32 v36, v36, v39
	s_delay_alu instid0(VALU_DEP_2) | instskip(NEXT) | instid1(VALU_DEP_2)
	v_xor_b32_e32 v38, 1, v38
	v_and_b32_e32 v9, 0xfffff, v36
	s_delay_alu instid0(VALU_DEP_1) | instskip(NEXT) | instid1(VALU_DEP_3)
	v_add_nc_u32_e32 v36, v9, v39
                                        ; implicit-def: $vgpr9
	v_cmpx_ne_u32_e64 v37, v38
	s_xor_b32 s14, exec_lo, s14
; %bb.2058:                             ;   in Loop: Header=BB6_1935 Depth=4
	s_delay_alu instid0(VALU_DEP_2) | instskip(SKIP_1) | instid1(VALU_DEP_2)
	v_cmp_lt_u32_e64 s13, 0xffffff, v36
	v_sub_nc_u32_e32 v9, v37, v38
	v_cndmask_b32_e64 v37, 0, 1, s13
	s_delay_alu instid0(VALU_DEP_2) | instskip(NEXT) | instid1(VALU_DEP_2)
	v_add_co_ci_u32_e64 v9, s13, 0, v9, s13
	v_lshrrev_b32_e32 v36, v37, v36
; %bb.2059:                             ;   in Loop: Header=BB6_1935 Depth=4
	s_and_not1_saveexec_b32 s13, s14
; %bb.2060:                             ;   in Loop: Header=BB6_1935 Depth=4
	s_delay_alu instid0(VALU_DEP_1)
	v_bfe_u32 v9, v36, 23, 1
; %bb.2061:                             ;   in Loop: Header=BB6_1935 Depth=4
	s_or_b32 exec_lo, exec_lo, s13
	v_lshrrev_b32_e32 v36, 20, v36
	s_delay_alu instid0(VALU_DEP_2) | instskip(SKIP_2) | instid1(VALU_DEP_3)
	v_min_i32_e32 v37, 15, v9
	v_cmp_gt_i32_e64 s13, 16, v9
	v_lshrrev_b32_e32 v13, 24, v13
	v_lshlrev_b32_e32 v37, 3, v37
	s_delay_alu instid0(VALU_DEP_3) | instskip(NEXT) | instid1(VALU_DEP_3)
	v_cndmask_b32_e64 v36, 7, v36, s13
	v_and_b32_e32 v13, 0x80, v13
	s_delay_alu instid0(VALU_DEP_3) | instskip(NEXT) | instid1(VALU_DEP_3)
	v_and_b32_e32 v37, 0xf8, v37
	v_and_b32_e32 v38, 7, v36
	v_or_b32_e32 v9, v9, v36
	s_delay_alu instid0(VALU_DEP_2) | instskip(NEXT) | instid1(VALU_DEP_2)
	v_or3_b32 v13, v13, v37, v38
	v_cmp_ne_u32_e64 s13, 0, v9
	s_delay_alu instid0(VALU_DEP_2) | instskip(NEXT) | instid1(VALU_DEP_1)
	v_lshlrev_b32_e32 v13, 8, v13
	v_cndmask_b32_e64 v9, 0, v13, s13
.LBB6_2062:                             ;   in Loop: Header=BB6_1935 Depth=4
	s_or_b32 exec_lo, exec_lo, s36
.LBB6_2063:                             ;   in Loop: Header=BB6_1935 Depth=4
	s_delay_alu instid0(SALU_CYCLE_1) | instskip(SKIP_3) | instid1(VALU_DEP_1)
	s_or_b32 exec_lo, exec_lo, s35
	v_and_b32_e32 v36, 0xff, v14
	s_mov_b32 s14, 0
	s_mov_b32 s36, exec_lo
                                        ; implicit-def: $sgpr35
	v_cmpx_lt_i16_e32 0x7f, v36
	s_xor_b32 s36, exec_lo, s36
	s_cbranch_execnz .LBB6_2253
; %bb.2064:                             ;   in Loop: Header=BB6_1935 Depth=4
	s_or_saveexec_b32 s36, s36
	v_mov_b32_e32 v13, s35
	s_xor_b32 exec_lo, exec_lo, s36
	s_cbranch_execnz .LBB6_2256
.LBB6_2065:                             ;   in Loop: Header=BB6_1935 Depth=4
	s_or_b32 exec_lo, exec_lo, s36
	s_and_saveexec_b32 s35, s14
	s_cbranch_execz .LBB6_2067
.LBB6_2066:                             ;   in Loop: Header=BB6_1935 Depth=4
	v_and_b32_e32 v13, 7, v14
	v_bfe_u32 v38, v14, 3, 4
	v_lshlrev_b32_e32 v39, 24, v14
	s_delay_alu instid0(VALU_DEP_3) | instskip(NEXT) | instid1(VALU_DEP_3)
	v_clz_i32_u32_e32 v36, v13
	v_cmp_eq_u32_e64 s13, 0, v38
	s_delay_alu instid0(VALU_DEP_2) | instskip(NEXT) | instid1(VALU_DEP_1)
	v_min_u32_e32 v36, 32, v36
	v_subrev_nc_u32_e32 v37, 28, v36
	v_sub_nc_u32_e32 v36, 29, v36
	s_delay_alu instid0(VALU_DEP_2) | instskip(NEXT) | instid1(VALU_DEP_2)
	v_lshlrev_b32_e32 v37, v37, v14
	v_cndmask_b32_e64 v36, v38, v36, s13
	s_delay_alu instid0(VALU_DEP_2) | instskip(NEXT) | instid1(VALU_DEP_2)
	v_and_b32_e32 v37, 7, v37
	v_lshl_add_u32 v36, v36, 23, 0x3b800000
	s_delay_alu instid0(VALU_DEP_2) | instskip(SKIP_1) | instid1(VALU_DEP_2)
	v_cndmask_b32_e64 v13, v13, v37, s13
	v_and_b32_e32 v37, 0x80000000, v39
	v_lshlrev_b32_e32 v13, 20, v13
	s_delay_alu instid0(VALU_DEP_1)
	v_or3_b32 v13, v37, v36, v13
.LBB6_2067:                             ;   in Loop: Header=BB6_1935 Depth=4
	s_or_b32 exec_lo, exec_lo, s35
	v_and_b32_e32 v37, 0xff, v10
	s_mov_b32 s14, 0
	s_mov_b32 s36, exec_lo
                                        ; implicit-def: $sgpr35
	s_delay_alu instid0(VALU_DEP_1)
	v_cmpx_lt_i16_e32 0x7f, v37
	s_xor_b32 s36, exec_lo, s36
	s_cbranch_execnz .LBB6_2257
; %bb.2068:                             ;   in Loop: Header=BB6_1935 Depth=4
	s_or_saveexec_b32 s36, s36
	v_mov_b32_e32 v36, s35
	s_xor_b32 exec_lo, exec_lo, s36
	s_cbranch_execnz .LBB6_2260
.LBB6_2069:                             ;   in Loop: Header=BB6_1935 Depth=4
	s_or_b32 exec_lo, exec_lo, s36
	s_and_saveexec_b32 s35, s14
	s_cbranch_execz .LBB6_2071
.LBB6_2070:                             ;   in Loop: Header=BB6_1935 Depth=4
	v_and_b32_e32 v36, 7, v10
	v_bfe_u32 v39, v10, 3, 4
	v_lshlrev_b32_e32 v48, 24, v10
	s_delay_alu instid0(VALU_DEP_3) | instskip(NEXT) | instid1(VALU_DEP_3)
	v_clz_i32_u32_e32 v37, v36
	v_cmp_eq_u32_e64 s13, 0, v39
	s_delay_alu instid0(VALU_DEP_2) | instskip(NEXT) | instid1(VALU_DEP_1)
	v_min_u32_e32 v37, 32, v37
	v_subrev_nc_u32_e32 v38, 28, v37
	v_sub_nc_u32_e32 v37, 29, v37
	s_delay_alu instid0(VALU_DEP_2) | instskip(NEXT) | instid1(VALU_DEP_2)
	v_lshlrev_b32_e32 v38, v38, v10
	v_cndmask_b32_e64 v37, v39, v37, s13
	s_delay_alu instid0(VALU_DEP_2) | instskip(NEXT) | instid1(VALU_DEP_2)
	v_and_b32_e32 v38, 7, v38
	v_lshl_add_u32 v37, v37, 23, 0x3b800000
	s_delay_alu instid0(VALU_DEP_2) | instskip(SKIP_1) | instid1(VALU_DEP_2)
	v_cndmask_b32_e64 v36, v36, v38, s13
	v_and_b32_e32 v38, 0x80000000, v48
	v_lshlrev_b32_e32 v36, 20, v36
	s_delay_alu instid0(VALU_DEP_1)
	v_or3_b32 v36, v38, v37, v36
.LBB6_2071:                             ;   in Loop: Header=BB6_1935 Depth=4
	s_or_b32 exec_lo, exec_lo, s35
	s_delay_alu instid0(VALU_DEP_1) | instskip(NEXT) | instid1(VALU_DEP_1)
	v_add_f32_e32 v36, v13, v36
	v_and_b32_e32 v13, 0x7f800000, v36
	s_delay_alu instid0(VALU_DEP_1) | instskip(SKIP_1) | instid1(VALU_DEP_2)
	v_cmp_ne_u32_e64 s13, 0x7f800000, v13
	v_mov_b32_e32 v13, 0x80
	s_and_saveexec_b32 s35, s13
	s_cbranch_execz .LBB6_2079
; %bb.2072:                             ;   in Loop: Header=BB6_1935 Depth=4
	v_mov_b32_e32 v13, 0
	s_mov_b32 s36, exec_lo
	v_cmpx_ne_u32_e32 0, v36
	s_cbranch_execz .LBB6_2078
; %bb.2073:                             ;   in Loop: Header=BB6_1935 Depth=4
	v_bfe_u32 v13, v36, 23, 8
	v_and_b32_e32 v37, 0x7fffff, v36
	s_delay_alu instid0(VALU_DEP_2) | instskip(SKIP_1) | instid1(VALU_DEP_3)
	v_sub_nc_u32_e32 v38, 0x78, v13
	v_cmp_gt_u32_e64 s13, 0x79, v13
	v_or_b32_e32 v39, 0x800000, v37
	s_delay_alu instid0(VALU_DEP_2) | instskip(SKIP_2) | instid1(VALU_DEP_2)
	v_cndmask_b32_e64 v38, 0, v38, s13
	v_cmp_eq_u32_e64 s13, 0, v13
	v_add_nc_u32_e32 v13, 0xffffff89, v13
	v_cndmask_b32_e64 v38, v38, 0x77, s13
	v_cndmask_b32_e64 v37, v39, v37, s13
	s_delay_alu instid0(VALU_DEP_3) | instskip(NEXT) | instid1(VALU_DEP_3)
	v_cndmask_b32_e64 v13, v13, 0xffffff8a, s13
	v_lshl_add_u32 v39, 0x100000, v38, -1
	s_delay_alu instid0(VALU_DEP_3) | instskip(SKIP_1) | instid1(VALU_DEP_4)
	v_lshrrev_b32_e32 v48, v38, v37
	v_lshlrev_b32_e64 v50, v38, 0x80000
	v_add_nc_u32_e32 v38, v38, v13
	s_delay_alu instid0(VALU_DEP_4) | instskip(NEXT) | instid1(VALU_DEP_4)
	v_and_b32_e32 v37, v39, v37
	v_bfe_u32 v49, v48, 20, 1
	s_delay_alu instid0(VALU_DEP_2) | instskip(NEXT) | instid1(VALU_DEP_2)
	v_cmp_eq_u32_e64 s14, v37, v50
	v_add_nc_u32_e32 v39, -1, v49
	s_delay_alu instid0(VALU_DEP_1) | instskip(SKIP_2) | instid1(VALU_DEP_2)
	v_cndmask_b32_e64 v37, 0, v39, s14
	v_lshrrev_b32_e32 v39, 23, v48
	s_mov_b32 s14, exec_lo
	v_add_nc_u32_e32 v37, v37, v48
	s_delay_alu instid0(VALU_DEP_2) | instskip(NEXT) | instid1(VALU_DEP_2)
	v_xor_b32_e32 v39, 1, v39
	v_and_b32_e32 v13, 0xfffff, v37
	s_delay_alu instid0(VALU_DEP_1) | instskip(NEXT) | instid1(VALU_DEP_3)
	v_add_nc_u32_e32 v37, v13, v48
                                        ; implicit-def: $vgpr13
	v_cmpx_ne_u32_e64 v38, v39
	s_xor_b32 s14, exec_lo, s14
; %bb.2074:                             ;   in Loop: Header=BB6_1935 Depth=4
	s_delay_alu instid0(VALU_DEP_2) | instskip(SKIP_1) | instid1(VALU_DEP_2)
	v_cmp_lt_u32_e64 s13, 0xffffff, v37
	v_sub_nc_u32_e32 v13, v38, v39
	v_cndmask_b32_e64 v38, 0, 1, s13
	s_delay_alu instid0(VALU_DEP_2) | instskip(NEXT) | instid1(VALU_DEP_2)
	v_add_co_ci_u32_e64 v13, s13, 0, v13, s13
	v_lshrrev_b32_e32 v37, v38, v37
; %bb.2075:                             ;   in Loop: Header=BB6_1935 Depth=4
	s_and_not1_saveexec_b32 s13, s14
; %bb.2076:                             ;   in Loop: Header=BB6_1935 Depth=4
	s_delay_alu instid0(VALU_DEP_1)
	v_bfe_u32 v13, v37, 23, 1
; %bb.2077:                             ;   in Loop: Header=BB6_1935 Depth=4
	s_or_b32 exec_lo, exec_lo, s13
	v_lshrrev_b32_e32 v37, 20, v37
	s_delay_alu instid0(VALU_DEP_2) | instskip(SKIP_2) | instid1(VALU_DEP_3)
	v_cmp_gt_i32_e64 s13, 16, v13
	v_lshrrev_b32_e32 v36, 24, v36
	v_min_i32_e32 v38, 15, v13
	v_cndmask_b32_e64 v37, 7, v37, s13
	s_delay_alu instid0(VALU_DEP_3) | instskip(NEXT) | instid1(VALU_DEP_3)
	v_and_b32_e32 v36, 0x80, v36
	v_lshlrev_b32_e32 v38, 3, v38
	s_delay_alu instid0(VALU_DEP_3) | instskip(SKIP_1) | instid1(VALU_DEP_2)
	v_and_b32_e32 v39, 7, v37
	v_or_b32_e32 v13, v13, v37
	v_or3_b32 v36, v38, v36, v39
	s_delay_alu instid0(VALU_DEP_2) | instskip(NEXT) | instid1(VALU_DEP_1)
	v_cmp_ne_u32_e64 s13, 0, v13
	v_cndmask_b32_e64 v13, 0, v36, s13
.LBB6_2078:                             ;   in Loop: Header=BB6_1935 Depth=4
	s_or_b32 exec_lo, exec_lo, s36
.LBB6_2079:                             ;   in Loop: Header=BB6_1935 Depth=4
	s_delay_alu instid0(SALU_CYCLE_1) | instskip(SKIP_3) | instid1(VALU_DEP_1)
	s_or_b32 exec_lo, exec_lo, s35
	v_lshrrev_b16 v37, 8, v14
	s_mov_b32 s14, 0
	s_mov_b32 s36, exec_lo
                                        ; implicit-def: $sgpr35
	v_cmpx_lt_i16_e32 0x7f, v37
	s_xor_b32 s36, exec_lo, s36
	s_cbranch_execnz .LBB6_2261
; %bb.2080:                             ;   in Loop: Header=BB6_1935 Depth=4
	s_or_saveexec_b32 s36, s36
	v_mov_b32_e32 v36, s35
	s_xor_b32 exec_lo, exec_lo, s36
	s_cbranch_execnz .LBB6_2264
.LBB6_2081:                             ;   in Loop: Header=BB6_1935 Depth=4
	s_or_b32 exec_lo, exec_lo, s36
	s_and_saveexec_b32 s35, s14
	s_cbranch_execz .LBB6_2083
.LBB6_2082:                             ;   in Loop: Header=BB6_1935 Depth=4
	v_and_b32_e32 v36, 0xffff, v37
	v_lshlrev_b32_e32 v37, 24, v37
	s_delay_alu instid0(VALU_DEP_2) | instskip(NEXT) | instid1(VALU_DEP_2)
	v_and_b32_e32 v38, 7, v36
	v_and_b32_e32 v37, 0x80000000, v37
	s_delay_alu instid0(VALU_DEP_2) | instskip(NEXT) | instid1(VALU_DEP_1)
	v_clz_i32_u32_e32 v39, v38
	v_min_u32_e32 v39, 32, v39
	s_delay_alu instid0(VALU_DEP_1) | instskip(SKIP_1) | instid1(VALU_DEP_2)
	v_subrev_nc_u32_e32 v48, 28, v39
	v_sub_nc_u32_e32 v39, 29, v39
	v_lshlrev_b32_e32 v48, v48, v36
	v_bfe_u32 v36, v36, 3, 4
	s_delay_alu instid0(VALU_DEP_2) | instskip(NEXT) | instid1(VALU_DEP_2)
	v_and_b32_e32 v48, 7, v48
	v_cmp_eq_u32_e64 s13, 0, v36
	s_delay_alu instid0(VALU_DEP_1) | instskip(NEXT) | instid1(VALU_DEP_3)
	v_cndmask_b32_e64 v36, v36, v39, s13
	v_cndmask_b32_e64 v38, v38, v48, s13
	s_delay_alu instid0(VALU_DEP_2) | instskip(NEXT) | instid1(VALU_DEP_2)
	v_lshl_add_u32 v36, v36, 23, 0x3b800000
	v_lshlrev_b32_e32 v38, 20, v38
	s_delay_alu instid0(VALU_DEP_1)
	v_or3_b32 v36, v37, v36, v38
.LBB6_2083:                             ;   in Loop: Header=BB6_1935 Depth=4
	s_or_b32 exec_lo, exec_lo, s35
	v_lshrrev_b16 v37, 8, v10
	s_mov_b32 s14, 0
	s_mov_b32 s36, exec_lo
                                        ; implicit-def: $sgpr35
	s_delay_alu instid0(VALU_DEP_1)
	v_cmpx_lt_i16_e32 0x7f, v37
	s_xor_b32 s36, exec_lo, s36
	s_cbranch_execnz .LBB6_2265
; %bb.2084:                             ;   in Loop: Header=BB6_1935 Depth=4
	s_or_saveexec_b32 s36, s36
	v_mov_b32_e32 v38, s35
	s_xor_b32 exec_lo, exec_lo, s36
	s_cbranch_execnz .LBB6_2268
.LBB6_2085:                             ;   in Loop: Header=BB6_1935 Depth=4
	s_or_b32 exec_lo, exec_lo, s36
	s_and_saveexec_b32 s35, s14
	s_cbranch_execz .LBB6_2087
.LBB6_2086:                             ;   in Loop: Header=BB6_1935 Depth=4
	v_and_b32_e32 v38, 0xffff, v37
	v_lshlrev_b32_e32 v37, 24, v37
	s_delay_alu instid0(VALU_DEP_2) | instskip(NEXT) | instid1(VALU_DEP_2)
	v_and_b32_e32 v39, 7, v38
	v_and_b32_e32 v37, 0x80000000, v37
	s_delay_alu instid0(VALU_DEP_2) | instskip(NEXT) | instid1(VALU_DEP_1)
	v_clz_i32_u32_e32 v48, v39
	v_min_u32_e32 v48, 32, v48
	s_delay_alu instid0(VALU_DEP_1) | instskip(SKIP_1) | instid1(VALU_DEP_2)
	v_subrev_nc_u32_e32 v49, 28, v48
	v_sub_nc_u32_e32 v48, 29, v48
	v_lshlrev_b32_e32 v49, v49, v38
	v_bfe_u32 v38, v38, 3, 4
	s_delay_alu instid0(VALU_DEP_2) | instskip(NEXT) | instid1(VALU_DEP_2)
	v_and_b32_e32 v49, 7, v49
	v_cmp_eq_u32_e64 s13, 0, v38
	s_delay_alu instid0(VALU_DEP_1) | instskip(NEXT) | instid1(VALU_DEP_3)
	v_cndmask_b32_e64 v38, v38, v48, s13
	v_cndmask_b32_e64 v39, v39, v49, s13
	s_delay_alu instid0(VALU_DEP_2) | instskip(NEXT) | instid1(VALU_DEP_2)
	v_lshl_add_u32 v38, v38, 23, 0x3b800000
	v_lshlrev_b32_e32 v39, 20, v39
	s_delay_alu instid0(VALU_DEP_1)
	v_or3_b32 v38, v37, v38, v39
.LBB6_2087:                             ;   in Loop: Header=BB6_1935 Depth=4
	s_or_b32 exec_lo, exec_lo, s35
	s_delay_alu instid0(VALU_DEP_1) | instskip(NEXT) | instid1(VALU_DEP_1)
	v_add_f32_e32 v37, v36, v38
	v_and_b32_e32 v36, 0x7f800000, v37
	s_delay_alu instid0(VALU_DEP_1) | instskip(SKIP_1) | instid1(VALU_DEP_2)
	v_cmp_ne_u32_e64 s13, 0x7f800000, v36
	v_mov_b32_e32 v36, 0x80
	s_and_saveexec_b32 s35, s13
	s_cbranch_execz .LBB6_2095
; %bb.2088:                             ;   in Loop: Header=BB6_1935 Depth=4
	v_mov_b32_e32 v36, 0
	s_mov_b32 s36, exec_lo
	v_cmpx_ne_u32_e32 0, v37
	s_cbranch_execz .LBB6_2094
; %bb.2089:                             ;   in Loop: Header=BB6_1935 Depth=4
	v_bfe_u32 v36, v37, 23, 8
	v_and_b32_e32 v38, 0x7fffff, v37
	s_delay_alu instid0(VALU_DEP_2) | instskip(SKIP_1) | instid1(VALU_DEP_3)
	v_sub_nc_u32_e32 v39, 0x78, v36
	v_cmp_gt_u32_e64 s13, 0x79, v36
	v_or_b32_e32 v48, 0x800000, v38
	s_delay_alu instid0(VALU_DEP_2) | instskip(SKIP_2) | instid1(VALU_DEP_2)
	v_cndmask_b32_e64 v39, 0, v39, s13
	v_cmp_eq_u32_e64 s13, 0, v36
	v_add_nc_u32_e32 v36, 0xffffff89, v36
	v_cndmask_b32_e64 v39, v39, 0x77, s13
	v_cndmask_b32_e64 v38, v48, v38, s13
	s_delay_alu instid0(VALU_DEP_3) | instskip(NEXT) | instid1(VALU_DEP_3)
	v_cndmask_b32_e64 v36, v36, 0xffffff8a, s13
	v_lshl_add_u32 v48, 0x100000, v39, -1
	s_delay_alu instid0(VALU_DEP_3) | instskip(SKIP_1) | instid1(VALU_DEP_4)
	v_lshrrev_b32_e32 v49, v39, v38
	v_lshlrev_b32_e64 v51, v39, 0x80000
	v_add_nc_u32_e32 v39, v39, v36
	s_delay_alu instid0(VALU_DEP_4) | instskip(NEXT) | instid1(VALU_DEP_4)
	v_and_b32_e32 v38, v48, v38
	v_bfe_u32 v50, v49, 20, 1
	s_delay_alu instid0(VALU_DEP_2) | instskip(NEXT) | instid1(VALU_DEP_2)
	v_cmp_eq_u32_e64 s14, v38, v51
	v_add_nc_u32_e32 v48, -1, v50
	s_delay_alu instid0(VALU_DEP_1) | instskip(SKIP_2) | instid1(VALU_DEP_2)
	v_cndmask_b32_e64 v38, 0, v48, s14
	v_lshrrev_b32_e32 v48, 23, v49
	s_mov_b32 s14, exec_lo
	v_add_nc_u32_e32 v38, v38, v49
	s_delay_alu instid0(VALU_DEP_2) | instskip(NEXT) | instid1(VALU_DEP_2)
	v_xor_b32_e32 v48, 1, v48
	v_and_b32_e32 v36, 0xfffff, v38
	s_delay_alu instid0(VALU_DEP_1) | instskip(NEXT) | instid1(VALU_DEP_3)
	v_add_nc_u32_e32 v38, v36, v49
                                        ; implicit-def: $vgpr36
	v_cmpx_ne_u32_e64 v39, v48
	s_xor_b32 s14, exec_lo, s14
; %bb.2090:                             ;   in Loop: Header=BB6_1935 Depth=4
	s_delay_alu instid0(VALU_DEP_2) | instskip(SKIP_1) | instid1(VALU_DEP_2)
	v_cmp_lt_u32_e64 s13, 0xffffff, v38
	v_sub_nc_u32_e32 v36, v39, v48
	v_cndmask_b32_e64 v39, 0, 1, s13
	s_delay_alu instid0(VALU_DEP_2) | instskip(NEXT) | instid1(VALU_DEP_2)
	v_add_co_ci_u32_e64 v36, s13, 0, v36, s13
	v_lshrrev_b32_e32 v38, v39, v38
; %bb.2091:                             ;   in Loop: Header=BB6_1935 Depth=4
	s_and_not1_saveexec_b32 s13, s14
; %bb.2092:                             ;   in Loop: Header=BB6_1935 Depth=4
	s_delay_alu instid0(VALU_DEP_1)
	v_bfe_u32 v36, v38, 23, 1
; %bb.2093:                             ;   in Loop: Header=BB6_1935 Depth=4
	s_or_b32 exec_lo, exec_lo, s13
	v_lshrrev_b32_e32 v38, 20, v38
	s_delay_alu instid0(VALU_DEP_2) | instskip(SKIP_2) | instid1(VALU_DEP_3)
	v_cmp_gt_i32_e64 s13, 16, v36
	v_lshrrev_b32_e32 v37, 24, v37
	v_min_i32_e32 v39, 15, v36
	v_cndmask_b32_e64 v38, 7, v38, s13
	s_delay_alu instid0(VALU_DEP_3) | instskip(NEXT) | instid1(VALU_DEP_3)
	v_and_b32_e32 v37, 0x80, v37
	v_lshlrev_b32_e32 v39, 3, v39
	s_delay_alu instid0(VALU_DEP_3) | instskip(SKIP_1) | instid1(VALU_DEP_2)
	v_and_b32_e32 v48, 7, v38
	v_or_b32_e32 v36, v36, v38
	v_or3_b32 v37, v39, v37, v48
	s_delay_alu instid0(VALU_DEP_2) | instskip(NEXT) | instid1(VALU_DEP_1)
	v_cmp_ne_u32_e64 s13, 0, v36
	v_cndmask_b32_e64 v36, 0, v37, s13
.LBB6_2094:                             ;   in Loop: Header=BB6_1935 Depth=4
	s_or_b32 exec_lo, exec_lo, s36
.LBB6_2095:                             ;   in Loop: Header=BB6_1935 Depth=4
	s_delay_alu instid0(SALU_CYCLE_1) | instskip(SKIP_3) | instid1(VALU_DEP_1)
	s_or_b32 exec_lo, exec_lo, s35
	v_lshrrev_b32_e32 v38, 16, v14
	s_mov_b32 s14, 0
	s_mov_b32 s36, exec_lo
                                        ; implicit-def: $sgpr35
	v_and_b32_e32 v39, 0xff, v38
	s_delay_alu instid0(VALU_DEP_1)
	v_cmpx_lt_i16_e32 0x7f, v39
	s_xor_b32 s36, exec_lo, s36
	s_cbranch_execnz .LBB6_2269
; %bb.2096:                             ;   in Loop: Header=BB6_1935 Depth=4
	s_or_saveexec_b32 s36, s36
	v_mov_b32_e32 v37, s35
	s_xor_b32 exec_lo, exec_lo, s36
	s_cbranch_execnz .LBB6_2272
.LBB6_2097:                             ;   in Loop: Header=BB6_1935 Depth=4
	s_or_b32 exec_lo, exec_lo, s36
	s_and_saveexec_b32 s35, s14
	s_cbranch_execz .LBB6_2099
.LBB6_2098:                             ;   in Loop: Header=BB6_1935 Depth=4
	v_bfe_u32 v37, v14, 16, 3
	v_lshlrev_b32_e32 v49, 8, v14
	s_delay_alu instid0(VALU_DEP_2) | instskip(NEXT) | instid1(VALU_DEP_1)
	v_clz_i32_u32_e32 v39, v37
	v_min_u32_e32 v39, 32, v39
	s_delay_alu instid0(VALU_DEP_1) | instskip(SKIP_1) | instid1(VALU_DEP_2)
	v_subrev_nc_u32_e32 v48, 28, v39
	v_sub_nc_u32_e32 v39, 29, v39
	v_lshlrev_b32_e32 v38, v48, v38
	v_bfe_u32 v48, v14, 19, 4
	s_delay_alu instid0(VALU_DEP_2) | instskip(NEXT) | instid1(VALU_DEP_2)
	v_and_b32_e32 v38, 7, v38
	v_cmp_eq_u32_e64 s13, 0, v48
	s_delay_alu instid0(VALU_DEP_1) | instskip(NEXT) | instid1(VALU_DEP_3)
	v_cndmask_b32_e64 v39, v48, v39, s13
	v_cndmask_b32_e64 v37, v37, v38, s13
	v_and_b32_e32 v38, 0x80000000, v49
	s_delay_alu instid0(VALU_DEP_3) | instskip(NEXT) | instid1(VALU_DEP_3)
	v_lshl_add_u32 v39, v39, 23, 0x3b800000
	v_lshlrev_b32_e32 v37, 20, v37
	s_delay_alu instid0(VALU_DEP_1)
	v_or3_b32 v37, v38, v39, v37
.LBB6_2099:                             ;   in Loop: Header=BB6_1935 Depth=4
	s_or_b32 exec_lo, exec_lo, s35
	v_lshrrev_b32_e32 v38, 16, v10
	s_mov_b32 s14, 0
	s_mov_b32 s36, exec_lo
                                        ; implicit-def: $sgpr35
	s_delay_alu instid0(VALU_DEP_1) | instskip(NEXT) | instid1(VALU_DEP_1)
	v_and_b32_e32 v48, 0xff, v38
	v_cmpx_lt_i16_e32 0x7f, v48
	s_xor_b32 s36, exec_lo, s36
	s_cbranch_execnz .LBB6_2273
; %bb.2100:                             ;   in Loop: Header=BB6_1935 Depth=4
	s_or_saveexec_b32 s36, s36
	v_mov_b32_e32 v39, s35
	s_xor_b32 exec_lo, exec_lo, s36
	s_cbranch_execnz .LBB6_2276
.LBB6_2101:                             ;   in Loop: Header=BB6_1935 Depth=4
	s_or_b32 exec_lo, exec_lo, s36
	s_and_saveexec_b32 s35, s14
	s_cbranch_execz .LBB6_2103
.LBB6_2102:                             ;   in Loop: Header=BB6_1935 Depth=4
	v_bfe_u32 v39, v10, 16, 3
	v_lshlrev_b32_e32 v50, 8, v10
	s_delay_alu instid0(VALU_DEP_2) | instskip(NEXT) | instid1(VALU_DEP_1)
	v_clz_i32_u32_e32 v48, v39
	v_min_u32_e32 v48, 32, v48
	s_delay_alu instid0(VALU_DEP_1) | instskip(SKIP_1) | instid1(VALU_DEP_2)
	v_subrev_nc_u32_e32 v49, 28, v48
	v_sub_nc_u32_e32 v48, 29, v48
	v_lshlrev_b32_e32 v38, v49, v38
	v_bfe_u32 v49, v10, 19, 4
	s_delay_alu instid0(VALU_DEP_2) | instskip(NEXT) | instid1(VALU_DEP_2)
	v_and_b32_e32 v38, 7, v38
	v_cmp_eq_u32_e64 s13, 0, v49
	s_delay_alu instid0(VALU_DEP_1) | instskip(NEXT) | instid1(VALU_DEP_3)
	v_cndmask_b32_e64 v48, v49, v48, s13
	v_cndmask_b32_e64 v38, v39, v38, s13
	v_and_b32_e32 v39, 0x80000000, v50
	s_delay_alu instid0(VALU_DEP_3) | instskip(NEXT) | instid1(VALU_DEP_3)
	v_lshl_add_u32 v48, v48, 23, 0x3b800000
	v_lshlrev_b32_e32 v38, 20, v38
	s_delay_alu instid0(VALU_DEP_1)
	v_or3_b32 v39, v39, v48, v38
.LBB6_2103:                             ;   in Loop: Header=BB6_1935 Depth=4
	s_or_b32 exec_lo, exec_lo, s35
	s_delay_alu instid0(VALU_DEP_1) | instskip(NEXT) | instid1(VALU_DEP_1)
	v_add_f32_e32 v38, v37, v39
	v_and_b32_e32 v37, 0x7f800000, v38
	s_delay_alu instid0(VALU_DEP_1) | instskip(SKIP_1) | instid1(VALU_DEP_2)
	v_cmp_ne_u32_e64 s13, 0x7f800000, v37
	v_mov_b32_e32 v37, 0x80
	s_and_saveexec_b32 s35, s13
	s_cbranch_execz .LBB6_2111
; %bb.2104:                             ;   in Loop: Header=BB6_1935 Depth=4
	v_mov_b32_e32 v37, 0
	s_mov_b32 s36, exec_lo
	v_cmpx_ne_u32_e32 0, v38
	s_cbranch_execz .LBB6_2110
; %bb.2105:                             ;   in Loop: Header=BB6_1935 Depth=4
	v_bfe_u32 v37, v38, 23, 8
	v_and_b32_e32 v39, 0x7fffff, v38
	s_delay_alu instid0(VALU_DEP_2) | instskip(SKIP_1) | instid1(VALU_DEP_3)
	v_sub_nc_u32_e32 v48, 0x78, v37
	v_cmp_gt_u32_e64 s13, 0x79, v37
	v_or_b32_e32 v49, 0x800000, v39
	s_delay_alu instid0(VALU_DEP_2) | instskip(SKIP_2) | instid1(VALU_DEP_2)
	v_cndmask_b32_e64 v48, 0, v48, s13
	v_cmp_eq_u32_e64 s13, 0, v37
	v_add_nc_u32_e32 v37, 0xffffff89, v37
	v_cndmask_b32_e64 v48, v48, 0x77, s13
	v_cndmask_b32_e64 v39, v49, v39, s13
	s_delay_alu instid0(VALU_DEP_3) | instskip(NEXT) | instid1(VALU_DEP_3)
	v_cndmask_b32_e64 v37, v37, 0xffffff8a, s13
	v_lshl_add_u32 v49, 0x100000, v48, -1
	s_delay_alu instid0(VALU_DEP_3) | instskip(SKIP_1) | instid1(VALU_DEP_4)
	v_lshrrev_b32_e32 v50, v48, v39
	v_lshlrev_b32_e64 v112, v48, 0x80000
	v_add_nc_u32_e32 v48, v48, v37
	s_delay_alu instid0(VALU_DEP_4) | instskip(NEXT) | instid1(VALU_DEP_4)
	v_and_b32_e32 v39, v49, v39
	v_bfe_u32 v51, v50, 20, 1
	s_delay_alu instid0(VALU_DEP_2) | instskip(NEXT) | instid1(VALU_DEP_2)
	v_cmp_eq_u32_e64 s14, v39, v112
	v_add_nc_u32_e32 v49, -1, v51
	s_delay_alu instid0(VALU_DEP_1) | instskip(SKIP_2) | instid1(VALU_DEP_2)
	v_cndmask_b32_e64 v39, 0, v49, s14
	v_lshrrev_b32_e32 v49, 23, v50
	s_mov_b32 s14, exec_lo
	v_add_nc_u32_e32 v39, v39, v50
	s_delay_alu instid0(VALU_DEP_2) | instskip(NEXT) | instid1(VALU_DEP_2)
	v_xor_b32_e32 v49, 1, v49
	v_and_b32_e32 v37, 0xfffff, v39
	s_delay_alu instid0(VALU_DEP_1) | instskip(NEXT) | instid1(VALU_DEP_3)
	v_add_nc_u32_e32 v39, v37, v50
                                        ; implicit-def: $vgpr37
	v_cmpx_ne_u32_e64 v48, v49
	s_xor_b32 s14, exec_lo, s14
; %bb.2106:                             ;   in Loop: Header=BB6_1935 Depth=4
	s_delay_alu instid0(VALU_DEP_2) | instskip(SKIP_1) | instid1(VALU_DEP_2)
	v_cmp_lt_u32_e64 s13, 0xffffff, v39
	v_sub_nc_u32_e32 v37, v48, v49
	v_cndmask_b32_e64 v48, 0, 1, s13
	s_delay_alu instid0(VALU_DEP_2) | instskip(NEXT) | instid1(VALU_DEP_2)
	v_add_co_ci_u32_e64 v37, s13, 0, v37, s13
	v_lshrrev_b32_e32 v39, v48, v39
; %bb.2107:                             ;   in Loop: Header=BB6_1935 Depth=4
	s_and_not1_saveexec_b32 s13, s14
; %bb.2108:                             ;   in Loop: Header=BB6_1935 Depth=4
	s_delay_alu instid0(VALU_DEP_1)
	v_bfe_u32 v37, v39, 23, 1
; %bb.2109:                             ;   in Loop: Header=BB6_1935 Depth=4
	s_or_b32 exec_lo, exec_lo, s13
	v_lshrrev_b32_e32 v39, 20, v39
	s_delay_alu instid0(VALU_DEP_2) | instskip(SKIP_2) | instid1(VALU_DEP_3)
	v_cmp_gt_i32_e64 s13, 16, v37
	v_lshrrev_b32_e32 v38, 24, v38
	v_min_i32_e32 v48, 15, v37
	v_cndmask_b32_e64 v39, 7, v39, s13
	s_delay_alu instid0(VALU_DEP_3) | instskip(NEXT) | instid1(VALU_DEP_3)
	v_and_b32_e32 v38, 0x80, v38
	v_lshlrev_b32_e32 v48, 3, v48
	s_delay_alu instid0(VALU_DEP_3) | instskip(SKIP_1) | instid1(VALU_DEP_2)
	v_and_b32_e32 v49, 7, v39
	v_or_b32_e32 v37, v37, v39
	v_or3_b32 v38, v48, v38, v49
	s_delay_alu instid0(VALU_DEP_2) | instskip(NEXT) | instid1(VALU_DEP_1)
	v_cmp_ne_u32_e64 s13, 0, v37
	v_cndmask_b32_e64 v37, 0, v38, s13
.LBB6_2110:                             ;   in Loop: Header=BB6_1935 Depth=4
	s_or_b32 exec_lo, exec_lo, s36
.LBB6_2111:                             ;   in Loop: Header=BB6_1935 Depth=4
	s_delay_alu instid0(SALU_CYCLE_1) | instskip(SKIP_3) | instid1(VALU_DEP_1)
	s_or_b32 exec_lo, exec_lo, s35
	v_lshrrev_b32_e32 v39, 24, v14
	s_mov_b32 s14, 0
	s_mov_b32 s36, exec_lo
                                        ; implicit-def: $sgpr35
	v_cmpx_lt_i16_e32 0x7f, v39
	s_xor_b32 s36, exec_lo, s36
	s_cbranch_execnz .LBB6_2277
; %bb.2112:                             ;   in Loop: Header=BB6_1935 Depth=4
	s_or_saveexec_b32 s36, s36
	v_mov_b32_e32 v38, s35
	s_xor_b32 exec_lo, exec_lo, s36
	s_cbranch_execnz .LBB6_2280
.LBB6_2113:                             ;   in Loop: Header=BB6_1935 Depth=4
	s_or_b32 exec_lo, exec_lo, s36
	s_and_saveexec_b32 s35, s14
	s_cbranch_execz .LBB6_2115
.LBB6_2114:                             ;   in Loop: Header=BB6_1935 Depth=4
	v_bfe_u32 v38, v14, 24, 3
	s_delay_alu instid0(VALU_DEP_1) | instskip(NEXT) | instid1(VALU_DEP_1)
	v_clz_i32_u32_e32 v48, v38
	v_min_u32_e32 v48, 32, v48
	s_delay_alu instid0(VALU_DEP_1) | instskip(SKIP_1) | instid1(VALU_DEP_2)
	v_subrev_nc_u32_e32 v49, 28, v48
	v_sub_nc_u32_e32 v48, 29, v48
	v_lshlrev_b32_e32 v39, v49, v39
	v_bfe_u32 v49, v14, 27, 4
	v_and_b32_e32 v14, 0x80000000, v14
	s_delay_alu instid0(VALU_DEP_3) | instskip(NEXT) | instid1(VALU_DEP_3)
	v_and_b32_e32 v39, 7, v39
	v_cmp_eq_u32_e64 s13, 0, v49
	s_delay_alu instid0(VALU_DEP_1) | instskip(NEXT) | instid1(VALU_DEP_3)
	v_cndmask_b32_e64 v48, v49, v48, s13
	v_cndmask_b32_e64 v38, v38, v39, s13
	s_delay_alu instid0(VALU_DEP_2) | instskip(NEXT) | instid1(VALU_DEP_2)
	v_lshl_add_u32 v39, v48, 23, 0x3b800000
	v_lshlrev_b32_e32 v38, 20, v38
	s_delay_alu instid0(VALU_DEP_1)
	v_or3_b32 v38, v14, v39, v38
.LBB6_2115:                             ;   in Loop: Header=BB6_1935 Depth=4
	s_or_b32 exec_lo, exec_lo, s35
	v_lshrrev_b32_e32 v14, 24, v10
	s_mov_b32 s14, 0
	s_mov_b32 s36, exec_lo
                                        ; implicit-def: $sgpr35
	s_delay_alu instid0(VALU_DEP_1)
	v_cmpx_lt_i16_e32 0x7f, v14
	s_xor_b32 s36, exec_lo, s36
	s_cbranch_execnz .LBB6_2281
; %bb.2116:                             ;   in Loop: Header=BB6_1935 Depth=4
	s_or_saveexec_b32 s36, s36
	v_mov_b32_e32 v39, s35
	s_xor_b32 exec_lo, exec_lo, s36
	s_cbranch_execnz .LBB6_2284
.LBB6_2117:                             ;   in Loop: Header=BB6_1935 Depth=4
	s_or_b32 exec_lo, exec_lo, s36
	s_and_saveexec_b32 s35, s14
	s_cbranch_execz .LBB6_2119
.LBB6_2118:                             ;   in Loop: Header=BB6_1935 Depth=4
	v_bfe_u32 v39, v10, 24, 3
	s_delay_alu instid0(VALU_DEP_1) | instskip(NEXT) | instid1(VALU_DEP_1)
	v_clz_i32_u32_e32 v48, v39
	v_min_u32_e32 v48, 32, v48
	s_delay_alu instid0(VALU_DEP_1) | instskip(SKIP_1) | instid1(VALU_DEP_2)
	v_subrev_nc_u32_e32 v49, 28, v48
	v_sub_nc_u32_e32 v48, 29, v48
	v_lshlrev_b32_e32 v14, v49, v14
	v_bfe_u32 v49, v10, 27, 4
	v_and_b32_e32 v10, 0x80000000, v10
	s_delay_alu instid0(VALU_DEP_3) | instskip(NEXT) | instid1(VALU_DEP_3)
	v_and_b32_e32 v14, 7, v14
	v_cmp_eq_u32_e64 s13, 0, v49
	s_delay_alu instid0(VALU_DEP_1) | instskip(NEXT) | instid1(VALU_DEP_3)
	v_cndmask_b32_e64 v48, v49, v48, s13
	v_cndmask_b32_e64 v14, v39, v14, s13
	s_delay_alu instid0(VALU_DEP_2) | instskip(NEXT) | instid1(VALU_DEP_2)
	v_lshl_add_u32 v39, v48, 23, 0x3b800000
	v_lshlrev_b32_e32 v14, 20, v14
	s_delay_alu instid0(VALU_DEP_1)
	v_or3_b32 v39, v10, v39, v14
.LBB6_2119:                             ;   in Loop: Header=BB6_1935 Depth=4
	s_or_b32 exec_lo, exec_lo, s35
	s_delay_alu instid0(VALU_DEP_1) | instskip(NEXT) | instid1(VALU_DEP_1)
	v_add_f32_e32 v14, v38, v39
	v_and_b32_e32 v10, 0x7f800000, v14
	s_delay_alu instid0(VALU_DEP_1) | instskip(SKIP_1) | instid1(VALU_DEP_2)
	v_cmp_ne_u32_e64 s13, 0x7f800000, v10
	v_mov_b32_e32 v10, 0x80
	s_and_saveexec_b32 s35, s13
	s_cbranch_execz .LBB6_2127
; %bb.2120:                             ;   in Loop: Header=BB6_1935 Depth=4
	v_mov_b32_e32 v10, 0
	s_mov_b32 s36, exec_lo
	v_cmpx_ne_u32_e32 0, v14
	s_cbranch_execz .LBB6_2126
; %bb.2121:                             ;   in Loop: Header=BB6_1935 Depth=4
	v_bfe_u32 v10, v14, 23, 8
	v_and_b32_e32 v38, 0x7fffff, v14
	s_delay_alu instid0(VALU_DEP_2) | instskip(SKIP_1) | instid1(VALU_DEP_3)
	v_sub_nc_u32_e32 v39, 0x78, v10
	v_cmp_gt_u32_e64 s13, 0x79, v10
	v_or_b32_e32 v48, 0x800000, v38
	s_delay_alu instid0(VALU_DEP_2) | instskip(SKIP_2) | instid1(VALU_DEP_2)
	v_cndmask_b32_e64 v39, 0, v39, s13
	v_cmp_eq_u32_e64 s13, 0, v10
	v_add_nc_u32_e32 v10, 0xffffff89, v10
	v_cndmask_b32_e64 v39, v39, 0x77, s13
	v_cndmask_b32_e64 v38, v48, v38, s13
	s_delay_alu instid0(VALU_DEP_3) | instskip(NEXT) | instid1(VALU_DEP_3)
	v_cndmask_b32_e64 v10, v10, 0xffffff8a, s13
	v_lshl_add_u32 v48, 0x100000, v39, -1
	s_delay_alu instid0(VALU_DEP_3) | instskip(SKIP_1) | instid1(VALU_DEP_4)
	v_lshrrev_b32_e32 v49, v39, v38
	v_lshlrev_b32_e64 v51, v39, 0x80000
	v_add_nc_u32_e32 v39, v39, v10
	s_delay_alu instid0(VALU_DEP_4) | instskip(NEXT) | instid1(VALU_DEP_4)
	v_and_b32_e32 v38, v48, v38
	v_bfe_u32 v50, v49, 20, 1
	s_delay_alu instid0(VALU_DEP_2) | instskip(NEXT) | instid1(VALU_DEP_2)
	v_cmp_eq_u32_e64 s14, v38, v51
	v_add_nc_u32_e32 v48, -1, v50
	s_delay_alu instid0(VALU_DEP_1) | instskip(SKIP_2) | instid1(VALU_DEP_2)
	v_cndmask_b32_e64 v38, 0, v48, s14
	v_lshrrev_b32_e32 v48, 23, v49
	s_mov_b32 s14, exec_lo
	v_add_nc_u32_e32 v38, v38, v49
	s_delay_alu instid0(VALU_DEP_2) | instskip(NEXT) | instid1(VALU_DEP_2)
	v_xor_b32_e32 v48, 1, v48
	v_and_b32_e32 v10, 0xfffff, v38
	s_delay_alu instid0(VALU_DEP_1) | instskip(NEXT) | instid1(VALU_DEP_3)
	v_add_nc_u32_e32 v38, v10, v49
                                        ; implicit-def: $vgpr10
	v_cmpx_ne_u32_e64 v39, v48
	s_xor_b32 s14, exec_lo, s14
; %bb.2122:                             ;   in Loop: Header=BB6_1935 Depth=4
	s_delay_alu instid0(VALU_DEP_2) | instskip(SKIP_1) | instid1(VALU_DEP_2)
	v_cmp_lt_u32_e64 s13, 0xffffff, v38
	v_sub_nc_u32_e32 v10, v39, v48
	v_cndmask_b32_e64 v39, 0, 1, s13
	s_delay_alu instid0(VALU_DEP_2) | instskip(NEXT) | instid1(VALU_DEP_2)
	v_add_co_ci_u32_e64 v10, s13, 0, v10, s13
	v_lshrrev_b32_e32 v38, v39, v38
; %bb.2123:                             ;   in Loop: Header=BB6_1935 Depth=4
	s_and_not1_saveexec_b32 s13, s14
; %bb.2124:                             ;   in Loop: Header=BB6_1935 Depth=4
	s_delay_alu instid0(VALU_DEP_1)
	v_bfe_u32 v10, v38, 23, 1
; %bb.2125:                             ;   in Loop: Header=BB6_1935 Depth=4
	s_or_b32 exec_lo, exec_lo, s13
	v_lshrrev_b32_e32 v38, 20, v38
	s_delay_alu instid0(VALU_DEP_2) | instskip(SKIP_2) | instid1(VALU_DEP_3)
	v_cmp_gt_i32_e64 s13, 16, v10
	v_lshrrev_b32_e32 v14, 24, v14
	v_min_i32_e32 v39, 15, v10
	v_cndmask_b32_e64 v38, 7, v38, s13
	s_delay_alu instid0(VALU_DEP_3) | instskip(NEXT) | instid1(VALU_DEP_3)
	v_and_b32_e32 v14, 0x80, v14
	v_lshlrev_b32_e32 v39, 3, v39
	s_delay_alu instid0(VALU_DEP_3) | instskip(SKIP_1) | instid1(VALU_DEP_2)
	v_and_b32_e32 v48, 7, v38
	v_or_b32_e32 v10, v10, v38
	v_or3_b32 v14, v39, v14, v48
	s_delay_alu instid0(VALU_DEP_2) | instskip(NEXT) | instid1(VALU_DEP_1)
	v_cmp_ne_u32_e64 s13, 0, v10
	v_cndmask_b32_e64 v10, 0, v14, s13
.LBB6_2126:                             ;   in Loop: Header=BB6_1935 Depth=4
	s_or_b32 exec_lo, exec_lo, s36
.LBB6_2127:                             ;   in Loop: Header=BB6_1935 Depth=4
	s_delay_alu instid0(SALU_CYCLE_1) | instskip(SKIP_3) | instid1(VALU_DEP_1)
	s_or_b32 exec_lo, exec_lo, s35
	v_and_b32_e32 v38, 0xff, v15
	s_mov_b32 s14, 0
	s_mov_b32 s36, exec_lo
                                        ; implicit-def: $sgpr35
	v_cmpx_lt_i16_e32 0x7f, v38
	s_xor_b32 s36, exec_lo, s36
	s_cbranch_execnz .LBB6_2285
; %bb.2128:                             ;   in Loop: Header=BB6_1935 Depth=4
	s_or_saveexec_b32 s36, s36
	v_mov_b32_e32 v14, s35
	s_xor_b32 exec_lo, exec_lo, s36
	s_cbranch_execnz .LBB6_2288
.LBB6_2129:                             ;   in Loop: Header=BB6_1935 Depth=4
	s_or_b32 exec_lo, exec_lo, s36
	s_and_saveexec_b32 s35, s14
	s_cbranch_execz .LBB6_2131
.LBB6_2130:                             ;   in Loop: Header=BB6_1935 Depth=4
	v_and_b32_e32 v14, 7, v15
	v_bfe_u32 v48, v15, 3, 4
	v_lshlrev_b32_e32 v49, 24, v15
	s_delay_alu instid0(VALU_DEP_3) | instskip(NEXT) | instid1(VALU_DEP_3)
	v_clz_i32_u32_e32 v38, v14
	v_cmp_eq_u32_e64 s13, 0, v48
	s_delay_alu instid0(VALU_DEP_2) | instskip(NEXT) | instid1(VALU_DEP_1)
	v_min_u32_e32 v38, 32, v38
	v_subrev_nc_u32_e32 v39, 28, v38
	v_sub_nc_u32_e32 v38, 29, v38
	s_delay_alu instid0(VALU_DEP_2) | instskip(NEXT) | instid1(VALU_DEP_2)
	v_lshlrev_b32_e32 v39, v39, v15
	v_cndmask_b32_e64 v38, v48, v38, s13
	s_delay_alu instid0(VALU_DEP_2) | instskip(NEXT) | instid1(VALU_DEP_2)
	v_and_b32_e32 v39, 7, v39
	v_lshl_add_u32 v38, v38, 23, 0x3b800000
	s_delay_alu instid0(VALU_DEP_2) | instskip(SKIP_1) | instid1(VALU_DEP_2)
	v_cndmask_b32_e64 v14, v14, v39, s13
	v_and_b32_e32 v39, 0x80000000, v49
	v_lshlrev_b32_e32 v14, 20, v14
	s_delay_alu instid0(VALU_DEP_1)
	v_or3_b32 v14, v39, v38, v14
.LBB6_2131:                             ;   in Loop: Header=BB6_1935 Depth=4
	s_or_b32 exec_lo, exec_lo, s35
	v_and_b32_e32 v39, 0xff, v11
	s_mov_b32 s14, 0
	s_mov_b32 s36, exec_lo
                                        ; implicit-def: $sgpr35
	s_delay_alu instid0(VALU_DEP_1)
	v_cmpx_lt_i16_e32 0x7f, v39
	s_xor_b32 s36, exec_lo, s36
	s_cbranch_execnz .LBB6_2289
; %bb.2132:                             ;   in Loop: Header=BB6_1935 Depth=4
	s_or_saveexec_b32 s36, s36
	v_mov_b32_e32 v38, s35
	s_xor_b32 exec_lo, exec_lo, s36
	s_cbranch_execnz .LBB6_2292
.LBB6_2133:                             ;   in Loop: Header=BB6_1935 Depth=4
	s_or_b32 exec_lo, exec_lo, s36
	s_and_saveexec_b32 s35, s14
	s_cbranch_execz .LBB6_2135
.LBB6_2134:                             ;   in Loop: Header=BB6_1935 Depth=4
	v_and_b32_e32 v38, 7, v11
	v_bfe_u32 v49, v11, 3, 4
	v_lshlrev_b32_e32 v50, 24, v11
	s_delay_alu instid0(VALU_DEP_3) | instskip(NEXT) | instid1(VALU_DEP_3)
	v_clz_i32_u32_e32 v39, v38
	v_cmp_eq_u32_e64 s13, 0, v49
	s_delay_alu instid0(VALU_DEP_2) | instskip(NEXT) | instid1(VALU_DEP_1)
	v_min_u32_e32 v39, 32, v39
	v_subrev_nc_u32_e32 v48, 28, v39
	v_sub_nc_u32_e32 v39, 29, v39
	s_delay_alu instid0(VALU_DEP_2) | instskip(NEXT) | instid1(VALU_DEP_2)
	v_lshlrev_b32_e32 v48, v48, v11
	v_cndmask_b32_e64 v39, v49, v39, s13
	s_delay_alu instid0(VALU_DEP_2) | instskip(NEXT) | instid1(VALU_DEP_2)
	v_and_b32_e32 v48, 7, v48
	v_lshl_add_u32 v39, v39, 23, 0x3b800000
	s_delay_alu instid0(VALU_DEP_2) | instskip(SKIP_1) | instid1(VALU_DEP_2)
	v_cndmask_b32_e64 v38, v38, v48, s13
	v_and_b32_e32 v48, 0x80000000, v50
	v_lshlrev_b32_e32 v38, 20, v38
	s_delay_alu instid0(VALU_DEP_1)
	v_or3_b32 v38, v48, v39, v38
.LBB6_2135:                             ;   in Loop: Header=BB6_1935 Depth=4
	s_or_b32 exec_lo, exec_lo, s35
	s_delay_alu instid0(VALU_DEP_1) | instskip(NEXT) | instid1(VALU_DEP_1)
	v_add_f32_e32 v38, v14, v38
	v_and_b32_e32 v14, 0x7f800000, v38
	s_delay_alu instid0(VALU_DEP_1) | instskip(SKIP_1) | instid1(VALU_DEP_2)
	v_cmp_ne_u32_e64 s13, 0x7f800000, v14
	v_mov_b32_e32 v14, 0x80
	s_and_saveexec_b32 s35, s13
	s_cbranch_execz .LBB6_2143
; %bb.2136:                             ;   in Loop: Header=BB6_1935 Depth=4
	v_mov_b32_e32 v14, 0
	s_mov_b32 s36, exec_lo
	v_cmpx_ne_u32_e32 0, v38
	s_cbranch_execz .LBB6_2142
; %bb.2137:                             ;   in Loop: Header=BB6_1935 Depth=4
	v_bfe_u32 v14, v38, 23, 8
	v_and_b32_e32 v39, 0x7fffff, v38
	s_delay_alu instid0(VALU_DEP_2) | instskip(SKIP_1) | instid1(VALU_DEP_3)
	v_sub_nc_u32_e32 v48, 0x78, v14
	v_cmp_gt_u32_e64 s13, 0x79, v14
	v_or_b32_e32 v49, 0x800000, v39
	s_delay_alu instid0(VALU_DEP_2) | instskip(SKIP_2) | instid1(VALU_DEP_2)
	v_cndmask_b32_e64 v48, 0, v48, s13
	v_cmp_eq_u32_e64 s13, 0, v14
	v_add_nc_u32_e32 v14, 0xffffff89, v14
	v_cndmask_b32_e64 v48, v48, 0x77, s13
	v_cndmask_b32_e64 v39, v49, v39, s13
	s_delay_alu instid0(VALU_DEP_3) | instskip(NEXT) | instid1(VALU_DEP_3)
	v_cndmask_b32_e64 v14, v14, 0xffffff8a, s13
	v_lshl_add_u32 v49, 0x100000, v48, -1
	s_delay_alu instid0(VALU_DEP_3) | instskip(SKIP_1) | instid1(VALU_DEP_4)
	v_lshrrev_b32_e32 v50, v48, v39
	v_lshlrev_b32_e64 v112, v48, 0x80000
	v_add_nc_u32_e32 v48, v48, v14
	s_delay_alu instid0(VALU_DEP_4) | instskip(NEXT) | instid1(VALU_DEP_4)
	v_and_b32_e32 v39, v49, v39
	v_bfe_u32 v51, v50, 20, 1
	s_delay_alu instid0(VALU_DEP_2) | instskip(NEXT) | instid1(VALU_DEP_2)
	v_cmp_eq_u32_e64 s14, v39, v112
	v_add_nc_u32_e32 v49, -1, v51
	s_delay_alu instid0(VALU_DEP_1) | instskip(SKIP_2) | instid1(VALU_DEP_2)
	v_cndmask_b32_e64 v39, 0, v49, s14
	v_lshrrev_b32_e32 v49, 23, v50
	s_mov_b32 s14, exec_lo
	v_add_nc_u32_e32 v39, v39, v50
	s_delay_alu instid0(VALU_DEP_2) | instskip(NEXT) | instid1(VALU_DEP_2)
	v_xor_b32_e32 v49, 1, v49
	v_and_b32_e32 v14, 0xfffff, v39
	s_delay_alu instid0(VALU_DEP_1) | instskip(NEXT) | instid1(VALU_DEP_3)
	v_add_nc_u32_e32 v39, v14, v50
                                        ; implicit-def: $vgpr14
	v_cmpx_ne_u32_e64 v48, v49
	s_xor_b32 s14, exec_lo, s14
; %bb.2138:                             ;   in Loop: Header=BB6_1935 Depth=4
	s_delay_alu instid0(VALU_DEP_2) | instskip(SKIP_1) | instid1(VALU_DEP_2)
	v_cmp_lt_u32_e64 s13, 0xffffff, v39
	v_sub_nc_u32_e32 v14, v48, v49
	v_cndmask_b32_e64 v48, 0, 1, s13
	s_delay_alu instid0(VALU_DEP_2) | instskip(NEXT) | instid1(VALU_DEP_2)
	v_add_co_ci_u32_e64 v14, s13, 0, v14, s13
	v_lshrrev_b32_e32 v39, v48, v39
; %bb.2139:                             ;   in Loop: Header=BB6_1935 Depth=4
	s_and_not1_saveexec_b32 s13, s14
; %bb.2140:                             ;   in Loop: Header=BB6_1935 Depth=4
	s_delay_alu instid0(VALU_DEP_1)
	v_bfe_u32 v14, v39, 23, 1
; %bb.2141:                             ;   in Loop: Header=BB6_1935 Depth=4
	s_or_b32 exec_lo, exec_lo, s13
	v_lshrrev_b32_e32 v39, 20, v39
	s_delay_alu instid0(VALU_DEP_2) | instskip(SKIP_2) | instid1(VALU_DEP_3)
	v_cmp_gt_i32_e64 s13, 16, v14
	v_lshrrev_b32_e32 v38, 24, v38
	v_min_i32_e32 v48, 15, v14
	v_cndmask_b32_e64 v39, 7, v39, s13
	s_delay_alu instid0(VALU_DEP_3) | instskip(NEXT) | instid1(VALU_DEP_3)
	v_and_b32_e32 v38, 0x80, v38
	v_lshlrev_b32_e32 v48, 3, v48
	s_delay_alu instid0(VALU_DEP_3) | instskip(SKIP_1) | instid1(VALU_DEP_2)
	v_and_b32_e32 v49, 7, v39
	v_or_b32_e32 v14, v14, v39
	v_or3_b32 v38, v48, v38, v49
	s_delay_alu instid0(VALU_DEP_2) | instskip(NEXT) | instid1(VALU_DEP_1)
	v_cmp_ne_u32_e64 s13, 0, v14
	v_cndmask_b32_e64 v14, 0, v38, s13
.LBB6_2142:                             ;   in Loop: Header=BB6_1935 Depth=4
	s_or_b32 exec_lo, exec_lo, s36
.LBB6_2143:                             ;   in Loop: Header=BB6_1935 Depth=4
	s_delay_alu instid0(SALU_CYCLE_1) | instskip(SKIP_3) | instid1(VALU_DEP_1)
	s_or_b32 exec_lo, exec_lo, s35
	v_lshrrev_b16 v39, 8, v15
	s_mov_b32 s14, 0
	s_mov_b32 s36, exec_lo
                                        ; implicit-def: $sgpr35
	v_cmpx_lt_i16_e32 0x7f, v39
	s_xor_b32 s36, exec_lo, s36
	s_cbranch_execnz .LBB6_2293
; %bb.2144:                             ;   in Loop: Header=BB6_1935 Depth=4
	s_or_saveexec_b32 s36, s36
	v_mov_b32_e32 v38, s35
	s_xor_b32 exec_lo, exec_lo, s36
	s_cbranch_execnz .LBB6_2296
.LBB6_2145:                             ;   in Loop: Header=BB6_1935 Depth=4
	s_or_b32 exec_lo, exec_lo, s36
	s_and_saveexec_b32 s35, s14
	s_cbranch_execz .LBB6_2147
.LBB6_2146:                             ;   in Loop: Header=BB6_1935 Depth=4
	v_and_b32_e32 v38, 0xffff, v39
	v_lshlrev_b32_e32 v39, 24, v39
	s_delay_alu instid0(VALU_DEP_2) | instskip(NEXT) | instid1(VALU_DEP_2)
	v_and_b32_e32 v48, 7, v38
	v_and_b32_e32 v39, 0x80000000, v39
	s_delay_alu instid0(VALU_DEP_2) | instskip(NEXT) | instid1(VALU_DEP_1)
	v_clz_i32_u32_e32 v49, v48
	v_min_u32_e32 v49, 32, v49
	s_delay_alu instid0(VALU_DEP_1) | instskip(SKIP_1) | instid1(VALU_DEP_2)
	v_subrev_nc_u32_e32 v50, 28, v49
	v_sub_nc_u32_e32 v49, 29, v49
	v_lshlrev_b32_e32 v50, v50, v38
	v_bfe_u32 v38, v38, 3, 4
	s_delay_alu instid0(VALU_DEP_2) | instskip(NEXT) | instid1(VALU_DEP_2)
	v_and_b32_e32 v50, 7, v50
	v_cmp_eq_u32_e64 s13, 0, v38
	s_delay_alu instid0(VALU_DEP_1) | instskip(NEXT) | instid1(VALU_DEP_3)
	v_cndmask_b32_e64 v38, v38, v49, s13
	v_cndmask_b32_e64 v48, v48, v50, s13
	s_delay_alu instid0(VALU_DEP_2) | instskip(NEXT) | instid1(VALU_DEP_2)
	v_lshl_add_u32 v38, v38, 23, 0x3b800000
	v_lshlrev_b32_e32 v48, 20, v48
	s_delay_alu instid0(VALU_DEP_1)
	v_or3_b32 v38, v39, v38, v48
.LBB6_2147:                             ;   in Loop: Header=BB6_1935 Depth=4
	s_or_b32 exec_lo, exec_lo, s35
	v_lshrrev_b16 v39, 8, v11
	s_mov_b32 s14, 0
	s_mov_b32 s36, exec_lo
                                        ; implicit-def: $sgpr35
	s_delay_alu instid0(VALU_DEP_1)
	v_cmpx_lt_i16_e32 0x7f, v39
	s_xor_b32 s36, exec_lo, s36
	s_cbranch_execnz .LBB6_2297
; %bb.2148:                             ;   in Loop: Header=BB6_1935 Depth=4
	s_or_saveexec_b32 s36, s36
	v_mov_b32_e32 v48, s35
	s_xor_b32 exec_lo, exec_lo, s36
	s_cbranch_execnz .LBB6_2300
.LBB6_2149:                             ;   in Loop: Header=BB6_1935 Depth=4
	s_or_b32 exec_lo, exec_lo, s36
	s_and_saveexec_b32 s35, s14
	s_cbranch_execz .LBB6_2151
.LBB6_2150:                             ;   in Loop: Header=BB6_1935 Depth=4
	v_and_b32_e32 v48, 0xffff, v39
	v_lshlrev_b32_e32 v39, 24, v39
	s_delay_alu instid0(VALU_DEP_2) | instskip(NEXT) | instid1(VALU_DEP_2)
	v_and_b32_e32 v49, 7, v48
	v_and_b32_e32 v39, 0x80000000, v39
	s_delay_alu instid0(VALU_DEP_2) | instskip(NEXT) | instid1(VALU_DEP_1)
	v_clz_i32_u32_e32 v50, v49
	v_min_u32_e32 v50, 32, v50
	s_delay_alu instid0(VALU_DEP_1) | instskip(SKIP_1) | instid1(VALU_DEP_2)
	v_subrev_nc_u32_e32 v51, 28, v50
	v_sub_nc_u32_e32 v50, 29, v50
	v_lshlrev_b32_e32 v51, v51, v48
	v_bfe_u32 v48, v48, 3, 4
	s_delay_alu instid0(VALU_DEP_2) | instskip(NEXT) | instid1(VALU_DEP_2)
	v_and_b32_e32 v51, 7, v51
	v_cmp_eq_u32_e64 s13, 0, v48
	s_delay_alu instid0(VALU_DEP_1) | instskip(NEXT) | instid1(VALU_DEP_3)
	v_cndmask_b32_e64 v48, v48, v50, s13
	v_cndmask_b32_e64 v49, v49, v51, s13
	s_delay_alu instid0(VALU_DEP_2) | instskip(NEXT) | instid1(VALU_DEP_2)
	v_lshl_add_u32 v48, v48, 23, 0x3b800000
	v_lshlrev_b32_e32 v49, 20, v49
	s_delay_alu instid0(VALU_DEP_1)
	v_or3_b32 v48, v39, v48, v49
.LBB6_2151:                             ;   in Loop: Header=BB6_1935 Depth=4
	s_or_b32 exec_lo, exec_lo, s35
	s_delay_alu instid0(VALU_DEP_1) | instskip(NEXT) | instid1(VALU_DEP_1)
	v_add_f32_e32 v39, v38, v48
	v_and_b32_e32 v38, 0x7f800000, v39
	s_delay_alu instid0(VALU_DEP_1) | instskip(SKIP_1) | instid1(VALU_DEP_2)
	v_cmp_ne_u32_e64 s13, 0x7f800000, v38
	v_mov_b32_e32 v38, 0x8000
	s_and_saveexec_b32 s35, s13
	s_cbranch_execz .LBB6_2159
; %bb.2152:                             ;   in Loop: Header=BB6_1935 Depth=4
	v_mov_b32_e32 v38, 0
	s_mov_b32 s36, exec_lo
	v_cmpx_ne_u32_e32 0, v39
	s_cbranch_execz .LBB6_2158
; %bb.2153:                             ;   in Loop: Header=BB6_1935 Depth=4
	v_bfe_u32 v38, v39, 23, 8
	v_and_b32_e32 v48, 0x7fffff, v39
	s_delay_alu instid0(VALU_DEP_2) | instskip(SKIP_1) | instid1(VALU_DEP_3)
	v_sub_nc_u32_e32 v49, 0x78, v38
	v_cmp_gt_u32_e64 s13, 0x79, v38
	v_or_b32_e32 v50, 0x800000, v48
	s_delay_alu instid0(VALU_DEP_2) | instskip(SKIP_2) | instid1(VALU_DEP_2)
	v_cndmask_b32_e64 v49, 0, v49, s13
	v_cmp_eq_u32_e64 s13, 0, v38
	v_add_nc_u32_e32 v38, 0xffffff89, v38
	v_cndmask_b32_e64 v49, v49, 0x77, s13
	v_cndmask_b32_e64 v48, v50, v48, s13
	s_delay_alu instid0(VALU_DEP_3) | instskip(NEXT) | instid1(VALU_DEP_3)
	v_cndmask_b32_e64 v38, v38, 0xffffff8a, s13
	v_lshl_add_u32 v50, 0x100000, v49, -1
	s_delay_alu instid0(VALU_DEP_3) | instskip(SKIP_1) | instid1(VALU_DEP_4)
	v_lshrrev_b32_e32 v51, v49, v48
	v_lshlrev_b32_e64 v113, v49, 0x80000
	v_add_nc_u32_e32 v49, v49, v38
	s_delay_alu instid0(VALU_DEP_4) | instskip(NEXT) | instid1(VALU_DEP_4)
	v_and_b32_e32 v48, v50, v48
	v_bfe_u32 v112, v51, 20, 1
	s_delay_alu instid0(VALU_DEP_2) | instskip(NEXT) | instid1(VALU_DEP_2)
	v_cmp_eq_u32_e64 s14, v48, v113
	v_add_nc_u32_e32 v50, -1, v112
	s_delay_alu instid0(VALU_DEP_1) | instskip(SKIP_2) | instid1(VALU_DEP_2)
	v_cndmask_b32_e64 v48, 0, v50, s14
	v_lshrrev_b32_e32 v50, 23, v51
	s_mov_b32 s14, exec_lo
	v_add_nc_u32_e32 v48, v48, v51
	s_delay_alu instid0(VALU_DEP_2) | instskip(NEXT) | instid1(VALU_DEP_2)
	v_xor_b32_e32 v50, 1, v50
	v_and_b32_e32 v38, 0xfffff, v48
	s_delay_alu instid0(VALU_DEP_1) | instskip(NEXT) | instid1(VALU_DEP_3)
	v_add_nc_u32_e32 v48, v38, v51
                                        ; implicit-def: $vgpr38
	v_cmpx_ne_u32_e64 v49, v50
	s_xor_b32 s14, exec_lo, s14
; %bb.2154:                             ;   in Loop: Header=BB6_1935 Depth=4
	s_delay_alu instid0(VALU_DEP_2) | instskip(SKIP_1) | instid1(VALU_DEP_2)
	v_cmp_lt_u32_e64 s13, 0xffffff, v48
	v_sub_nc_u32_e32 v38, v49, v50
	v_cndmask_b32_e64 v49, 0, 1, s13
	s_delay_alu instid0(VALU_DEP_2) | instskip(NEXT) | instid1(VALU_DEP_2)
	v_add_co_ci_u32_e64 v38, s13, 0, v38, s13
	v_lshrrev_b32_e32 v48, v49, v48
; %bb.2155:                             ;   in Loop: Header=BB6_1935 Depth=4
	s_and_not1_saveexec_b32 s13, s14
; %bb.2156:                             ;   in Loop: Header=BB6_1935 Depth=4
	s_delay_alu instid0(VALU_DEP_1)
	v_bfe_u32 v38, v48, 23, 1
; %bb.2157:                             ;   in Loop: Header=BB6_1935 Depth=4
	s_or_b32 exec_lo, exec_lo, s13
	v_lshrrev_b32_e32 v48, 20, v48
	s_delay_alu instid0(VALU_DEP_2) | instskip(SKIP_2) | instid1(VALU_DEP_3)
	v_min_i32_e32 v49, 15, v38
	v_cmp_gt_i32_e64 s13, 16, v38
	v_lshrrev_b32_e32 v39, 24, v39
	v_lshlrev_b32_e32 v49, 3, v49
	s_delay_alu instid0(VALU_DEP_3) | instskip(NEXT) | instid1(VALU_DEP_3)
	v_cndmask_b32_e64 v48, 7, v48, s13
	v_and_b32_e32 v39, 0x80, v39
	s_delay_alu instid0(VALU_DEP_3) | instskip(NEXT) | instid1(VALU_DEP_3)
	v_and_b32_e32 v49, 0xf8, v49
	v_and_b32_e32 v50, 7, v48
	v_or_b32_e32 v38, v38, v48
	s_delay_alu instid0(VALU_DEP_2) | instskip(NEXT) | instid1(VALU_DEP_2)
	v_or3_b32 v39, v39, v49, v50
	v_cmp_ne_u32_e64 s13, 0, v38
	s_delay_alu instid0(VALU_DEP_2) | instskip(NEXT) | instid1(VALU_DEP_1)
	v_lshlrev_b32_e32 v39, 8, v39
	v_cndmask_b32_e64 v38, 0, v39, s13
.LBB6_2158:                             ;   in Loop: Header=BB6_1935 Depth=4
	s_or_b32 exec_lo, exec_lo, s36
.LBB6_2159:                             ;   in Loop: Header=BB6_1935 Depth=4
	s_delay_alu instid0(SALU_CYCLE_1) | instskip(SKIP_3) | instid1(VALU_DEP_1)
	s_or_b32 exec_lo, exec_lo, s35
	v_lshrrev_b32_e32 v48, 16, v15
	s_mov_b32 s14, 0
	s_mov_b32 s36, exec_lo
                                        ; implicit-def: $sgpr35
	v_and_b32_e32 v49, 0xff, v48
	s_delay_alu instid0(VALU_DEP_1)
	v_cmpx_lt_i16_e32 0x7f, v49
	s_xor_b32 s36, exec_lo, s36
	s_cbranch_execnz .LBB6_2301
; %bb.2160:                             ;   in Loop: Header=BB6_1935 Depth=4
	s_or_saveexec_b32 s36, s36
	v_mov_b32_e32 v39, s35
	s_xor_b32 exec_lo, exec_lo, s36
	s_cbranch_execnz .LBB6_2304
.LBB6_2161:                             ;   in Loop: Header=BB6_1935 Depth=4
	s_or_b32 exec_lo, exec_lo, s36
	s_and_saveexec_b32 s35, s14
	s_cbranch_execz .LBB6_2163
.LBB6_2162:                             ;   in Loop: Header=BB6_1935 Depth=4
	v_bfe_u32 v39, v15, 16, 3
	v_lshlrev_b32_e32 v51, 8, v15
	s_delay_alu instid0(VALU_DEP_2) | instskip(NEXT) | instid1(VALU_DEP_1)
	v_clz_i32_u32_e32 v49, v39
	v_min_u32_e32 v49, 32, v49
	s_delay_alu instid0(VALU_DEP_1) | instskip(SKIP_1) | instid1(VALU_DEP_2)
	v_subrev_nc_u32_e32 v50, 28, v49
	v_sub_nc_u32_e32 v49, 29, v49
	v_lshlrev_b32_e32 v48, v50, v48
	v_bfe_u32 v50, v15, 19, 4
	s_delay_alu instid0(VALU_DEP_2) | instskip(NEXT) | instid1(VALU_DEP_2)
	v_and_b32_e32 v48, 7, v48
	v_cmp_eq_u32_e64 s13, 0, v50
	s_delay_alu instid0(VALU_DEP_1) | instskip(NEXT) | instid1(VALU_DEP_3)
	v_cndmask_b32_e64 v49, v50, v49, s13
	v_cndmask_b32_e64 v39, v39, v48, s13
	v_and_b32_e32 v48, 0x80000000, v51
	s_delay_alu instid0(VALU_DEP_3) | instskip(NEXT) | instid1(VALU_DEP_3)
	v_lshl_add_u32 v49, v49, 23, 0x3b800000
	v_lshlrev_b32_e32 v39, 20, v39
	s_delay_alu instid0(VALU_DEP_1)
	v_or3_b32 v39, v48, v49, v39
.LBB6_2163:                             ;   in Loop: Header=BB6_1935 Depth=4
	s_or_b32 exec_lo, exec_lo, s35
	v_lshrrev_b32_e32 v48, 16, v11
	s_mov_b32 s14, 0
	s_mov_b32 s36, exec_lo
                                        ; implicit-def: $sgpr35
	s_delay_alu instid0(VALU_DEP_1) | instskip(NEXT) | instid1(VALU_DEP_1)
	v_and_b32_e32 v50, 0xff, v48
	v_cmpx_lt_i16_e32 0x7f, v50
	s_xor_b32 s36, exec_lo, s36
	s_cbranch_execnz .LBB6_2305
; %bb.2164:                             ;   in Loop: Header=BB6_1935 Depth=4
	s_or_saveexec_b32 s36, s36
	v_mov_b32_e32 v49, s35
	s_xor_b32 exec_lo, exec_lo, s36
	s_cbranch_execnz .LBB6_2308
.LBB6_2165:                             ;   in Loop: Header=BB6_1935 Depth=4
	s_or_b32 exec_lo, exec_lo, s36
	s_and_saveexec_b32 s35, s14
	s_cbranch_execz .LBB6_2167
.LBB6_2166:                             ;   in Loop: Header=BB6_1935 Depth=4
	v_bfe_u32 v49, v11, 16, 3
	v_lshlrev_b32_e32 v112, 8, v11
	s_delay_alu instid0(VALU_DEP_2) | instskip(NEXT) | instid1(VALU_DEP_1)
	v_clz_i32_u32_e32 v50, v49
	v_min_u32_e32 v50, 32, v50
	s_delay_alu instid0(VALU_DEP_1) | instskip(SKIP_1) | instid1(VALU_DEP_2)
	v_subrev_nc_u32_e32 v51, 28, v50
	v_sub_nc_u32_e32 v50, 29, v50
	v_lshlrev_b32_e32 v48, v51, v48
	v_bfe_u32 v51, v11, 19, 4
	s_delay_alu instid0(VALU_DEP_2) | instskip(NEXT) | instid1(VALU_DEP_2)
	v_and_b32_e32 v48, 7, v48
	v_cmp_eq_u32_e64 s13, 0, v51
	s_delay_alu instid0(VALU_DEP_1) | instskip(NEXT) | instid1(VALU_DEP_3)
	v_cndmask_b32_e64 v50, v51, v50, s13
	v_cndmask_b32_e64 v48, v49, v48, s13
	v_and_b32_e32 v49, 0x80000000, v112
	s_delay_alu instid0(VALU_DEP_3) | instskip(NEXT) | instid1(VALU_DEP_3)
	v_lshl_add_u32 v50, v50, 23, 0x3b800000
	v_lshlrev_b32_e32 v48, 20, v48
	s_delay_alu instid0(VALU_DEP_1)
	v_or3_b32 v49, v49, v50, v48
.LBB6_2167:                             ;   in Loop: Header=BB6_1935 Depth=4
	s_or_b32 exec_lo, exec_lo, s35
	s_delay_alu instid0(VALU_DEP_1) | instskip(NEXT) | instid1(VALU_DEP_1)
	v_add_f32_e32 v48, v39, v49
	v_and_b32_e32 v39, 0x7f800000, v48
	s_delay_alu instid0(VALU_DEP_1) | instskip(SKIP_1) | instid1(VALU_DEP_2)
	v_cmp_ne_u32_e64 s13, 0x7f800000, v39
	v_mov_b32_e32 v39, 0x80
	s_and_saveexec_b32 s35, s13
	s_cbranch_execz .LBB6_2175
; %bb.2168:                             ;   in Loop: Header=BB6_1935 Depth=4
	v_mov_b32_e32 v39, 0
	s_mov_b32 s36, exec_lo
	v_cmpx_ne_u32_e32 0, v48
	s_cbranch_execz .LBB6_2174
; %bb.2169:                             ;   in Loop: Header=BB6_1935 Depth=4
	v_bfe_u32 v39, v48, 23, 8
	v_and_b32_e32 v49, 0x7fffff, v48
	s_delay_alu instid0(VALU_DEP_2) | instskip(SKIP_1) | instid1(VALU_DEP_3)
	v_sub_nc_u32_e32 v50, 0x78, v39
	v_cmp_gt_u32_e64 s13, 0x79, v39
	v_or_b32_e32 v51, 0x800000, v49
	s_delay_alu instid0(VALU_DEP_2) | instskip(SKIP_2) | instid1(VALU_DEP_2)
	v_cndmask_b32_e64 v50, 0, v50, s13
	v_cmp_eq_u32_e64 s13, 0, v39
	v_add_nc_u32_e32 v39, 0xffffff89, v39
	v_cndmask_b32_e64 v50, v50, 0x77, s13
	v_cndmask_b32_e64 v49, v51, v49, s13
	s_delay_alu instid0(VALU_DEP_3) | instskip(NEXT) | instid1(VALU_DEP_3)
	v_cndmask_b32_e64 v39, v39, 0xffffff8a, s13
	v_lshl_add_u32 v51, 0x100000, v50, -1
	s_delay_alu instid0(VALU_DEP_3) | instskip(SKIP_1) | instid1(VALU_DEP_4)
	v_lshrrev_b32_e32 v112, v50, v49
	v_lshlrev_b32_e64 v114, v50, 0x80000
	v_add_nc_u32_e32 v50, v50, v39
	s_delay_alu instid0(VALU_DEP_4) | instskip(NEXT) | instid1(VALU_DEP_4)
	v_and_b32_e32 v49, v51, v49
	v_bfe_u32 v113, v112, 20, 1
	s_delay_alu instid0(VALU_DEP_2) | instskip(NEXT) | instid1(VALU_DEP_2)
	v_cmp_eq_u32_e64 s14, v49, v114
	v_add_nc_u32_e32 v51, -1, v113
	s_delay_alu instid0(VALU_DEP_1) | instskip(SKIP_2) | instid1(VALU_DEP_2)
	v_cndmask_b32_e64 v49, 0, v51, s14
	v_lshrrev_b32_e32 v51, 23, v112
	s_mov_b32 s14, exec_lo
	v_add_nc_u32_e32 v49, v49, v112
	s_delay_alu instid0(VALU_DEP_2) | instskip(NEXT) | instid1(VALU_DEP_2)
	v_xor_b32_e32 v51, 1, v51
	v_and_b32_e32 v39, 0xfffff, v49
	s_delay_alu instid0(VALU_DEP_1) | instskip(NEXT) | instid1(VALU_DEP_3)
	v_add_nc_u32_e32 v49, v39, v112
                                        ; implicit-def: $vgpr39
	v_cmpx_ne_u32_e64 v50, v51
	s_xor_b32 s14, exec_lo, s14
; %bb.2170:                             ;   in Loop: Header=BB6_1935 Depth=4
	s_delay_alu instid0(VALU_DEP_2) | instskip(SKIP_1) | instid1(VALU_DEP_2)
	v_cmp_lt_u32_e64 s13, 0xffffff, v49
	v_sub_nc_u32_e32 v39, v50, v51
	v_cndmask_b32_e64 v50, 0, 1, s13
	s_delay_alu instid0(VALU_DEP_2) | instskip(NEXT) | instid1(VALU_DEP_2)
	v_add_co_ci_u32_e64 v39, s13, 0, v39, s13
	v_lshrrev_b32_e32 v49, v50, v49
; %bb.2171:                             ;   in Loop: Header=BB6_1935 Depth=4
	s_and_not1_saveexec_b32 s13, s14
; %bb.2172:                             ;   in Loop: Header=BB6_1935 Depth=4
	s_delay_alu instid0(VALU_DEP_1)
	v_bfe_u32 v39, v49, 23, 1
; %bb.2173:                             ;   in Loop: Header=BB6_1935 Depth=4
	s_or_b32 exec_lo, exec_lo, s13
	v_lshrrev_b32_e32 v49, 20, v49
	s_delay_alu instid0(VALU_DEP_2) | instskip(SKIP_2) | instid1(VALU_DEP_3)
	v_min_i32_e32 v50, 15, v39
	v_cmp_gt_i32_e64 s13, 16, v39
	v_lshrrev_b32_e32 v48, 24, v48
	v_lshlrev_b32_e32 v50, 3, v50
	s_delay_alu instid0(VALU_DEP_3) | instskip(NEXT) | instid1(VALU_DEP_3)
	v_cndmask_b32_e64 v49, 7, v49, s13
	v_and_b32_e32 v48, 0x80, v48
	s_delay_alu instid0(VALU_DEP_3) | instskip(NEXT) | instid1(VALU_DEP_3)
	v_and_b32_e32 v50, 0xf8, v50
	v_and_b32_e32 v51, 7, v49
	v_or_b32_e32 v39, v39, v49
	s_delay_alu instid0(VALU_DEP_2) | instskip(NEXT) | instid1(VALU_DEP_2)
	v_or3_b32 v48, v50, v48, v51
	v_cmp_ne_u32_e64 s13, 0, v39
	s_delay_alu instid0(VALU_DEP_1)
	v_cndmask_b32_e64 v39, 0, v48, s13
.LBB6_2174:                             ;   in Loop: Header=BB6_1935 Depth=4
	s_or_b32 exec_lo, exec_lo, s36
.LBB6_2175:                             ;   in Loop: Header=BB6_1935 Depth=4
	s_delay_alu instid0(SALU_CYCLE_1) | instskip(SKIP_3) | instid1(VALU_DEP_1)
	s_or_b32 exec_lo, exec_lo, s35
	v_lshrrev_b32_e32 v49, 24, v15
	s_mov_b32 s14, 0
	s_mov_b32 s36, exec_lo
                                        ; implicit-def: $sgpr35
	v_cmpx_lt_i16_e32 0x7f, v49
	s_xor_b32 s36, exec_lo, s36
	s_cbranch_execnz .LBB6_2309
; %bb.2176:                             ;   in Loop: Header=BB6_1935 Depth=4
	s_or_saveexec_b32 s36, s36
	v_mov_b32_e32 v48, s35
	s_xor_b32 exec_lo, exec_lo, s36
	s_cbranch_execnz .LBB6_2312
.LBB6_2177:                             ;   in Loop: Header=BB6_1935 Depth=4
	s_or_b32 exec_lo, exec_lo, s36
	s_and_saveexec_b32 s35, s14
	s_cbranch_execz .LBB6_2179
.LBB6_2178:                             ;   in Loop: Header=BB6_1935 Depth=4
	v_bfe_u32 v48, v15, 24, 3
	s_delay_alu instid0(VALU_DEP_1) | instskip(NEXT) | instid1(VALU_DEP_1)
	v_clz_i32_u32_e32 v50, v48
	v_min_u32_e32 v50, 32, v50
	s_delay_alu instid0(VALU_DEP_1) | instskip(SKIP_1) | instid1(VALU_DEP_2)
	v_subrev_nc_u32_e32 v51, 28, v50
	v_sub_nc_u32_e32 v50, 29, v50
	v_lshlrev_b32_e32 v49, v51, v49
	v_bfe_u32 v51, v15, 27, 4
	v_and_b32_e32 v15, 0x80000000, v15
	s_delay_alu instid0(VALU_DEP_3) | instskip(NEXT) | instid1(VALU_DEP_3)
	v_and_b32_e32 v49, 7, v49
	v_cmp_eq_u32_e64 s13, 0, v51
	s_delay_alu instid0(VALU_DEP_1) | instskip(NEXT) | instid1(VALU_DEP_3)
	v_cndmask_b32_e64 v50, v51, v50, s13
	v_cndmask_b32_e64 v48, v48, v49, s13
	s_delay_alu instid0(VALU_DEP_2) | instskip(NEXT) | instid1(VALU_DEP_2)
	v_lshl_add_u32 v49, v50, 23, 0x3b800000
	v_lshlrev_b32_e32 v48, 20, v48
	s_delay_alu instid0(VALU_DEP_1)
	v_or3_b32 v48, v15, v49, v48
.LBB6_2179:                             ;   in Loop: Header=BB6_1935 Depth=4
	s_or_b32 exec_lo, exec_lo, s35
	v_lshrrev_b32_e32 v15, 24, v11
	s_mov_b32 s14, 0
	s_mov_b32 s36, exec_lo
                                        ; implicit-def: $sgpr35
	s_delay_alu instid0(VALU_DEP_1)
	v_cmpx_lt_i16_e32 0x7f, v15
	s_xor_b32 s36, exec_lo, s36
	s_cbranch_execnz .LBB6_2313
; %bb.2180:                             ;   in Loop: Header=BB6_1935 Depth=4
	s_or_saveexec_b32 s36, s36
	v_mov_b32_e32 v49, s35
	s_xor_b32 exec_lo, exec_lo, s36
	s_cbranch_execnz .LBB6_2316
.LBB6_2181:                             ;   in Loop: Header=BB6_1935 Depth=4
	s_or_b32 exec_lo, exec_lo, s36
	s_and_saveexec_b32 s35, s14
	s_cbranch_execz .LBB6_2183
.LBB6_2182:                             ;   in Loop: Header=BB6_1935 Depth=4
	v_bfe_u32 v49, v11, 24, 3
	s_delay_alu instid0(VALU_DEP_1) | instskip(NEXT) | instid1(VALU_DEP_1)
	v_clz_i32_u32_e32 v50, v49
	v_min_u32_e32 v50, 32, v50
	s_delay_alu instid0(VALU_DEP_1) | instskip(SKIP_1) | instid1(VALU_DEP_2)
	v_subrev_nc_u32_e32 v51, 28, v50
	v_sub_nc_u32_e32 v50, 29, v50
	v_lshlrev_b32_e32 v15, v51, v15
	v_bfe_u32 v51, v11, 27, 4
	v_and_b32_e32 v11, 0x80000000, v11
	s_delay_alu instid0(VALU_DEP_3) | instskip(NEXT) | instid1(VALU_DEP_3)
	v_and_b32_e32 v15, 7, v15
	v_cmp_eq_u32_e64 s13, 0, v51
	s_delay_alu instid0(VALU_DEP_1) | instskip(NEXT) | instid1(VALU_DEP_3)
	v_cndmask_b32_e64 v50, v51, v50, s13
	v_cndmask_b32_e64 v15, v49, v15, s13
	s_delay_alu instid0(VALU_DEP_2) | instskip(NEXT) | instid1(VALU_DEP_2)
	v_lshl_add_u32 v49, v50, 23, 0x3b800000
	v_lshlrev_b32_e32 v15, 20, v15
	s_delay_alu instid0(VALU_DEP_1)
	v_or3_b32 v49, v11, v49, v15
.LBB6_2183:                             ;   in Loop: Header=BB6_1935 Depth=4
	s_or_b32 exec_lo, exec_lo, s35
	s_delay_alu instid0(VALU_DEP_1) | instskip(NEXT) | instid1(VALU_DEP_1)
	v_add_f32_e32 v11, v48, v49
	v_and_b32_e32 v15, 0x7f800000, v11
	s_delay_alu instid0(VALU_DEP_1) | instskip(SKIP_1) | instid1(VALU_DEP_2)
	v_cmp_ne_u32_e64 s13, 0x7f800000, v15
	v_mov_b32_e32 v15, 0x8000
	s_and_saveexec_b32 s35, s13
	s_cbranch_execz .LBB6_1934
; %bb.2184:                             ;   in Loop: Header=BB6_1935 Depth=4
	v_mov_b32_e32 v15, 0
	s_mov_b32 s36, exec_lo
	v_cmpx_ne_u32_e32 0, v11
	s_cbranch_execz .LBB6_1933
; %bb.2185:                             ;   in Loop: Header=BB6_1935 Depth=4
	v_bfe_u32 v15, v11, 23, 8
	v_and_b32_e32 v48, 0x7fffff, v11
	s_delay_alu instid0(VALU_DEP_2) | instskip(SKIP_1) | instid1(VALU_DEP_3)
	v_sub_nc_u32_e32 v49, 0x78, v15
	v_cmp_gt_u32_e64 s13, 0x79, v15
	v_or_b32_e32 v50, 0x800000, v48
	s_delay_alu instid0(VALU_DEP_2) | instskip(SKIP_2) | instid1(VALU_DEP_2)
	v_cndmask_b32_e64 v49, 0, v49, s13
	v_cmp_eq_u32_e64 s13, 0, v15
	v_add_nc_u32_e32 v15, 0xffffff89, v15
	v_cndmask_b32_e64 v49, v49, 0x77, s13
	v_cndmask_b32_e64 v48, v50, v48, s13
	s_delay_alu instid0(VALU_DEP_3) | instskip(NEXT) | instid1(VALU_DEP_3)
	v_cndmask_b32_e64 v15, v15, 0xffffff8a, s13
	v_lshl_add_u32 v50, 0x100000, v49, -1
	s_delay_alu instid0(VALU_DEP_3) | instskip(SKIP_1) | instid1(VALU_DEP_4)
	v_lshrrev_b32_e32 v51, v49, v48
	v_lshlrev_b32_e64 v113, v49, 0x80000
	v_add_nc_u32_e32 v49, v49, v15
	s_delay_alu instid0(VALU_DEP_4) | instskip(NEXT) | instid1(VALU_DEP_4)
	v_and_b32_e32 v48, v50, v48
	v_bfe_u32 v112, v51, 20, 1
	s_delay_alu instid0(VALU_DEP_2) | instskip(NEXT) | instid1(VALU_DEP_2)
	v_cmp_eq_u32_e64 s14, v48, v113
	v_add_nc_u32_e32 v50, -1, v112
	s_delay_alu instid0(VALU_DEP_1) | instskip(SKIP_2) | instid1(VALU_DEP_2)
	v_cndmask_b32_e64 v48, 0, v50, s14
	v_lshrrev_b32_e32 v50, 23, v51
	s_mov_b32 s14, exec_lo
	v_add_nc_u32_e32 v48, v48, v51
	s_delay_alu instid0(VALU_DEP_2) | instskip(NEXT) | instid1(VALU_DEP_2)
	v_xor_b32_e32 v50, 1, v50
	v_and_b32_e32 v15, 0xfffff, v48
	s_delay_alu instid0(VALU_DEP_1) | instskip(NEXT) | instid1(VALU_DEP_3)
	v_add_nc_u32_e32 v48, v15, v51
                                        ; implicit-def: $vgpr15
	v_cmpx_ne_u32_e64 v49, v50
	s_xor_b32 s14, exec_lo, s14
; %bb.2186:                             ;   in Loop: Header=BB6_1935 Depth=4
	s_delay_alu instid0(VALU_DEP_2) | instskip(SKIP_1) | instid1(VALU_DEP_2)
	v_cmp_lt_u32_e64 s13, 0xffffff, v48
	v_sub_nc_u32_e32 v15, v49, v50
	v_cndmask_b32_e64 v49, 0, 1, s13
	s_delay_alu instid0(VALU_DEP_2) | instskip(NEXT) | instid1(VALU_DEP_2)
	v_add_co_ci_u32_e64 v15, s13, 0, v15, s13
	v_lshrrev_b32_e32 v48, v49, v48
; %bb.2187:                             ;   in Loop: Header=BB6_1935 Depth=4
	s_and_not1_saveexec_b32 s13, s14
	s_cbranch_execz .LBB6_1932
; %bb.2188:                             ;   in Loop: Header=BB6_1935 Depth=4
	s_delay_alu instid0(VALU_DEP_1)
	v_bfe_u32 v15, v48, 23, 1
	s_branch .LBB6_1932
.LBB6_2189:                             ;   in Loop: Header=BB6_1935 Depth=4
	s_mov_b32 s14, -1
	s_mov_b32 s37, exec_lo
                                        ; implicit-def: $sgpr35
	v_cmpx_eq_u16_e32 0x80, v32
; %bb.2190:                             ;   in Loop: Header=BB6_1935 Depth=4
	s_mov_b32 s35, 0x7f800001
	s_xor_b32 s14, exec_lo, -1
; %bb.2191:                             ;   in Loop: Header=BB6_1935 Depth=4
	s_or_b32 exec_lo, exec_lo, s37
	s_delay_alu instid0(SALU_CYCLE_1)
	s_and_b32 s14, s14, exec_lo
                                        ; implicit-def: $vgpr32
	s_or_saveexec_b32 s36, s36
	v_mov_b32_e32 v27, s35
	s_xor_b32 exec_lo, exec_lo, s36
	s_cbranch_execz .LBB6_1937
.LBB6_2192:                             ;   in Loop: Header=BB6_1935 Depth=4
	v_cmp_ne_u16_e64 s13, 0, v32
	v_mov_b32_e32 v27, 0
	s_and_not1_b32 s14, s14, exec_lo
	s_delay_alu instid0(VALU_DEP_2) | instskip(NEXT) | instid1(SALU_CYCLE_1)
	s_and_b32 s13, s13, exec_lo
	s_or_b32 s14, s14, s13
	s_or_b32 exec_lo, exec_lo, s36
	s_and_saveexec_b32 s35, s14
	s_cbranch_execnz .LBB6_1938
	s_branch .LBB6_1939
.LBB6_2193:                             ;   in Loop: Header=BB6_1935 Depth=4
	s_mov_b32 s14, -1
	s_mov_b32 s37, exec_lo
                                        ; implicit-def: $sgpr35
	v_cmpx_eq_u16_e32 0x80, v33
; %bb.2194:                             ;   in Loop: Header=BB6_1935 Depth=4
	s_mov_b32 s35, 0x7f800001
	s_xor_b32 s14, exec_lo, -1
; %bb.2195:                             ;   in Loop: Header=BB6_1935 Depth=4
	s_or_b32 exec_lo, exec_lo, s37
	s_delay_alu instid0(SALU_CYCLE_1)
	s_and_b32 s14, s14, exec_lo
                                        ; implicit-def: $vgpr33
	s_or_saveexec_b32 s36, s36
	v_mov_b32_e32 v32, s35
	s_xor_b32 exec_lo, exec_lo, s36
	s_cbranch_execz .LBB6_1941
.LBB6_2196:                             ;   in Loop: Header=BB6_1935 Depth=4
	v_cmp_ne_u16_e64 s13, 0, v33
	v_mov_b32_e32 v32, 0
	s_and_not1_b32 s14, s14, exec_lo
	s_delay_alu instid0(VALU_DEP_2) | instskip(NEXT) | instid1(SALU_CYCLE_1)
	s_and_b32 s13, s13, exec_lo
	s_or_b32 s14, s14, s13
	s_or_b32 exec_lo, exec_lo, s36
	s_and_saveexec_b32 s35, s14
	s_cbranch_execnz .LBB6_1942
	s_branch .LBB6_1943
.LBB6_2197:                             ;   in Loop: Header=BB6_1935 Depth=4
	s_mov_b32 s14, -1
	s_mov_b32 s37, exec_lo
                                        ; implicit-def: $sgpr35
	v_cmpx_eq_u16_e32 0x80, v33
; %bb.2198:                             ;   in Loop: Header=BB6_1935 Depth=4
	s_mov_b32 s35, 0x7f800001
	s_xor_b32 s14, exec_lo, -1
; %bb.2199:                             ;   in Loop: Header=BB6_1935 Depth=4
	s_or_b32 exec_lo, exec_lo, s37
	s_delay_alu instid0(SALU_CYCLE_1)
	s_and_b32 s14, s14, exec_lo
	s_or_saveexec_b32 s36, s36
	v_mov_b32_e32 v32, s35
	s_xor_b32 exec_lo, exec_lo, s36
	s_cbranch_execz .LBB6_1953
.LBB6_2200:                             ;   in Loop: Header=BB6_1935 Depth=4
	v_cmp_ne_u16_e64 s13, 0, v33
	v_mov_b32_e32 v32, 0
	s_and_not1_b32 s14, s14, exec_lo
	s_delay_alu instid0(VALU_DEP_2) | instskip(NEXT) | instid1(SALU_CYCLE_1)
	s_and_b32 s13, s13, exec_lo
	s_or_b32 s14, s14, s13
	s_or_b32 exec_lo, exec_lo, s36
	s_and_saveexec_b32 s35, s14
	s_cbranch_execnz .LBB6_1954
	s_branch .LBB6_1955
.LBB6_2201:                             ;   in Loop: Header=BB6_1935 Depth=4
	s_mov_b32 s14, -1
	s_mov_b32 s37, exec_lo
                                        ; implicit-def: $sgpr35
	v_cmpx_eq_u16_e32 0x80, v33
; %bb.2202:                             ;   in Loop: Header=BB6_1935 Depth=4
	s_mov_b32 s35, 0x7f800001
	s_xor_b32 s14, exec_lo, -1
; %bb.2203:                             ;   in Loop: Header=BB6_1935 Depth=4
	s_or_b32 exec_lo, exec_lo, s37
	s_delay_alu instid0(SALU_CYCLE_1)
	s_and_b32 s14, s14, exec_lo
	s_or_saveexec_b32 s36, s36
	v_mov_b32_e32 v34, s35
	s_xor_b32 exec_lo, exec_lo, s36
	s_cbranch_execz .LBB6_1957
.LBB6_2204:                             ;   in Loop: Header=BB6_1935 Depth=4
	v_cmp_ne_u16_e64 s13, 0, v33
	v_mov_b32_e32 v34, 0
	s_and_not1_b32 s14, s14, exec_lo
	s_delay_alu instid0(VALU_DEP_2) | instskip(NEXT) | instid1(SALU_CYCLE_1)
	s_and_b32 s13, s13, exec_lo
	s_or_b32 s14, s14, s13
	s_or_b32 exec_lo, exec_lo, s36
	s_and_saveexec_b32 s35, s14
	s_cbranch_execnz .LBB6_1958
	s_branch .LBB6_1959
.LBB6_2205:                             ;   in Loop: Header=BB6_1935 Depth=4
	s_mov_b32 s14, -1
	s_mov_b32 s37, exec_lo
                                        ; implicit-def: $sgpr35
	v_cmpx_eq_u16_e32 0x80, v35
; %bb.2206:                             ;   in Loop: Header=BB6_1935 Depth=4
	s_mov_b32 s35, 0x7f800001
	s_xor_b32 s14, exec_lo, -1
; %bb.2207:                             ;   in Loop: Header=BB6_1935 Depth=4
	s_or_b32 exec_lo, exec_lo, s37
	s_delay_alu instid0(SALU_CYCLE_1)
	s_and_b32 s14, s14, exec_lo
                                        ; implicit-def: $vgpr35
	s_or_saveexec_b32 s36, s36
	v_mov_b32_e32 v33, s35
	s_xor_b32 exec_lo, exec_lo, s36
	s_cbranch_execz .LBB6_1969
.LBB6_2208:                             ;   in Loop: Header=BB6_1935 Depth=4
	v_cmp_ne_u16_e64 s13, 0, v35
	v_mov_b32_e32 v33, 0
	s_and_not1_b32 s14, s14, exec_lo
	s_delay_alu instid0(VALU_DEP_2) | instskip(NEXT) | instid1(SALU_CYCLE_1)
	s_and_b32 s13, s13, exec_lo
	s_or_b32 s14, s14, s13
	s_or_b32 exec_lo, exec_lo, s36
	s_and_saveexec_b32 s35, s14
	s_cbranch_execnz .LBB6_1970
	s_branch .LBB6_1971
.LBB6_2209:                             ;   in Loop: Header=BB6_1935 Depth=4
	s_mov_b32 s14, -1
	s_mov_b32 s37, exec_lo
                                        ; implicit-def: $sgpr35
	v_cmpx_eq_u16_e32 0x80, v36
; %bb.2210:                             ;   in Loop: Header=BB6_1935 Depth=4
	s_mov_b32 s35, 0x7f800001
	s_xor_b32 s14, exec_lo, -1
; %bb.2211:                             ;   in Loop: Header=BB6_1935 Depth=4
	s_or_b32 exec_lo, exec_lo, s37
	s_delay_alu instid0(SALU_CYCLE_1)
	s_and_b32 s14, s14, exec_lo
                                        ; implicit-def: $vgpr36
	s_or_saveexec_b32 s36, s36
	v_mov_b32_e32 v35, s35
	s_xor_b32 exec_lo, exec_lo, s36
	s_cbranch_execz .LBB6_1973
.LBB6_2212:                             ;   in Loop: Header=BB6_1935 Depth=4
	v_cmp_ne_u16_e64 s13, 0, v36
	v_mov_b32_e32 v35, 0
	s_and_not1_b32 s14, s14, exec_lo
	s_delay_alu instid0(VALU_DEP_2) | instskip(NEXT) | instid1(SALU_CYCLE_1)
	s_and_b32 s13, s13, exec_lo
	s_or_b32 s14, s14, s13
	s_or_b32 exec_lo, exec_lo, s36
	s_and_saveexec_b32 s35, s14
	s_cbranch_execnz .LBB6_1974
	s_branch .LBB6_1975
.LBB6_2213:                             ;   in Loop: Header=BB6_1935 Depth=4
	s_mov_b32 s14, -1
	s_mov_b32 s37, exec_lo
                                        ; implicit-def: $sgpr35
	v_cmpx_eq_u16_e32 0x80, v35
; %bb.2214:                             ;   in Loop: Header=BB6_1935 Depth=4
	s_mov_b32 s35, 0x7f800001
	s_xor_b32 s14, exec_lo, -1
; %bb.2215:                             ;   in Loop: Header=BB6_1935 Depth=4
	s_or_b32 exec_lo, exec_lo, s37
	s_delay_alu instid0(SALU_CYCLE_1)
	s_and_b32 s14, s14, exec_lo
	s_or_saveexec_b32 s36, s36
	v_mov_b32_e32 v34, s35
	s_xor_b32 exec_lo, exec_lo, s36
	s_cbranch_execz .LBB6_1985
.LBB6_2216:                             ;   in Loop: Header=BB6_1935 Depth=4
	v_cmp_ne_u16_e64 s13, 0, v35
	v_mov_b32_e32 v34, 0
	s_and_not1_b32 s14, s14, exec_lo
	s_delay_alu instid0(VALU_DEP_2) | instskip(NEXT) | instid1(SALU_CYCLE_1)
	s_and_b32 s13, s13, exec_lo
	s_or_b32 s14, s14, s13
	s_or_b32 exec_lo, exec_lo, s36
	s_and_saveexec_b32 s35, s14
	s_cbranch_execnz .LBB6_1986
	s_branch .LBB6_1987
.LBB6_2217:                             ;   in Loop: Header=BB6_1935 Depth=4
	s_mov_b32 s14, -1
	s_mov_b32 s37, exec_lo
                                        ; implicit-def: $sgpr35
	v_cmpx_eq_u16_e32 0x80, v12
; %bb.2218:                             ;   in Loop: Header=BB6_1935 Depth=4
	s_mov_b32 s35, 0x7f800001
	s_xor_b32 s14, exec_lo, -1
; %bb.2219:                             ;   in Loop: Header=BB6_1935 Depth=4
	s_or_b32 exec_lo, exec_lo, s37
	s_delay_alu instid0(SALU_CYCLE_1)
	s_and_b32 s14, s14, exec_lo
	s_or_saveexec_b32 s36, s36
	v_mov_b32_e32 v35, s35
	s_xor_b32 exec_lo, exec_lo, s36
	s_cbranch_execz .LBB6_1989
.LBB6_2220:                             ;   in Loop: Header=BB6_1935 Depth=4
	v_cmp_ne_u16_e64 s13, 0, v12
	v_mov_b32_e32 v35, 0
	s_and_not1_b32 s14, s14, exec_lo
	s_delay_alu instid0(VALU_DEP_2) | instskip(NEXT) | instid1(SALU_CYCLE_1)
	s_and_b32 s13, s13, exec_lo
	s_or_b32 s14, s14, s13
	s_or_b32 exec_lo, exec_lo, s36
	s_and_saveexec_b32 s35, s14
	s_cbranch_execnz .LBB6_1990
	s_branch .LBB6_1991
.LBB6_2221:                             ;   in Loop: Header=BB6_1935 Depth=4
	s_mov_b32 s14, -1
	s_mov_b32 s37, exec_lo
                                        ; implicit-def: $sgpr35
	v_cmpx_eq_u16_e32 0x80, v34
; %bb.2222:                             ;   in Loop: Header=BB6_1935 Depth=4
	s_mov_b32 s35, 0x7f800001
	s_xor_b32 s14, exec_lo, -1
; %bb.2223:                             ;   in Loop: Header=BB6_1935 Depth=4
	s_or_b32 exec_lo, exec_lo, s37
	s_delay_alu instid0(SALU_CYCLE_1)
	s_and_b32 s14, s14, exec_lo
                                        ; implicit-def: $vgpr34
	s_or_saveexec_b32 s36, s36
	v_mov_b32_e32 v12, s35
	s_xor_b32 exec_lo, exec_lo, s36
	s_cbranch_execz .LBB6_2001
.LBB6_2224:                             ;   in Loop: Header=BB6_1935 Depth=4
	v_cmp_ne_u16_e64 s13, 0, v34
	v_mov_b32_e32 v12, 0
	s_and_not1_b32 s14, s14, exec_lo
	s_delay_alu instid0(VALU_DEP_2) | instskip(NEXT) | instid1(SALU_CYCLE_1)
	s_and_b32 s13, s13, exec_lo
	s_or_b32 s14, s14, s13
	s_or_b32 exec_lo, exec_lo, s36
	s_and_saveexec_b32 s35, s14
	s_cbranch_execnz .LBB6_2002
	s_branch .LBB6_2003
.LBB6_2225:                             ;   in Loop: Header=BB6_1935 Depth=4
	s_mov_b32 s14, -1
	s_mov_b32 s37, exec_lo
                                        ; implicit-def: $sgpr35
	v_cmpx_eq_u16_e32 0x80, v35
; %bb.2226:                             ;   in Loop: Header=BB6_1935 Depth=4
	s_mov_b32 s35, 0x7f800001
	s_xor_b32 s14, exec_lo, -1
; %bb.2227:                             ;   in Loop: Header=BB6_1935 Depth=4
	s_or_b32 exec_lo, exec_lo, s37
	s_delay_alu instid0(SALU_CYCLE_1)
	s_and_b32 s14, s14, exec_lo
                                        ; implicit-def: $vgpr35
	s_or_saveexec_b32 s36, s36
	v_mov_b32_e32 v34, s35
	s_xor_b32 exec_lo, exec_lo, s36
	s_cbranch_execz .LBB6_2005
.LBB6_2228:                             ;   in Loop: Header=BB6_1935 Depth=4
	v_cmp_ne_u16_e64 s13, 0, v35
	v_mov_b32_e32 v34, 0
	s_and_not1_b32 s14, s14, exec_lo
	s_delay_alu instid0(VALU_DEP_2) | instskip(NEXT) | instid1(SALU_CYCLE_1)
	s_and_b32 s13, s13, exec_lo
	s_or_b32 s14, s14, s13
	s_or_b32 exec_lo, exec_lo, s36
	s_and_saveexec_b32 s35, s14
	s_cbranch_execnz .LBB6_2006
	s_branch .LBB6_2007
.LBB6_2229:                             ;   in Loop: Header=BB6_1935 Depth=4
	s_mov_b32 s14, -1
	s_mov_b32 s37, exec_lo
                                        ; implicit-def: $sgpr35
	v_cmpx_eq_u16_e32 0x80, v35
; %bb.2230:                             ;   in Loop: Header=BB6_1935 Depth=4
	s_mov_b32 s35, 0x7f800001
	s_xor_b32 s14, exec_lo, -1
; %bb.2231:                             ;   in Loop: Header=BB6_1935 Depth=4
	s_or_b32 exec_lo, exec_lo, s37
	s_delay_alu instid0(SALU_CYCLE_1)
	s_and_b32 s14, s14, exec_lo
	s_or_saveexec_b32 s36, s36
	v_mov_b32_e32 v34, s35
	s_xor_b32 exec_lo, exec_lo, s36
	s_cbranch_execz .LBB6_2017
.LBB6_2232:                             ;   in Loop: Header=BB6_1935 Depth=4
	v_cmp_ne_u16_e64 s13, 0, v35
	v_mov_b32_e32 v34, 0
	s_and_not1_b32 s14, s14, exec_lo
	s_delay_alu instid0(VALU_DEP_2) | instskip(NEXT) | instid1(SALU_CYCLE_1)
	s_and_b32 s13, s13, exec_lo
	s_or_b32 s14, s14, s13
	s_or_b32 exec_lo, exec_lo, s36
	s_and_saveexec_b32 s35, s14
	s_cbranch_execnz .LBB6_2018
	s_branch .LBB6_2019
.LBB6_2233:                             ;   in Loop: Header=BB6_1935 Depth=4
	s_mov_b32 s14, -1
	s_mov_b32 s37, exec_lo
                                        ; implicit-def: $sgpr35
	v_cmpx_eq_u16_e32 0x80, v35
; %bb.2234:                             ;   in Loop: Header=BB6_1935 Depth=4
	s_mov_b32 s35, 0x7f800001
	s_xor_b32 s14, exec_lo, -1
; %bb.2235:                             ;   in Loop: Header=BB6_1935 Depth=4
	s_or_b32 exec_lo, exec_lo, s37
	s_delay_alu instid0(SALU_CYCLE_1)
	s_and_b32 s14, s14, exec_lo
	s_or_saveexec_b32 s36, s36
	v_mov_b32_e32 v36, s35
	s_xor_b32 exec_lo, exec_lo, s36
	s_cbranch_execz .LBB6_2021
.LBB6_2236:                             ;   in Loop: Header=BB6_1935 Depth=4
	v_cmp_ne_u16_e64 s13, 0, v35
	v_mov_b32_e32 v36, 0
	s_and_not1_b32 s14, s14, exec_lo
	s_delay_alu instid0(VALU_DEP_2) | instskip(NEXT) | instid1(SALU_CYCLE_1)
	s_and_b32 s13, s13, exec_lo
	s_or_b32 s14, s14, s13
	s_or_b32 exec_lo, exec_lo, s36
	s_and_saveexec_b32 s35, s14
	s_cbranch_execnz .LBB6_2022
	s_branch .LBB6_2023
.LBB6_2237:                             ;   in Loop: Header=BB6_1935 Depth=4
	s_mov_b32 s14, -1
	s_mov_b32 s37, exec_lo
                                        ; implicit-def: $sgpr35
	v_cmpx_eq_u16_e32 0x80, v37
; %bb.2238:                             ;   in Loop: Header=BB6_1935 Depth=4
	s_mov_b32 s35, 0x7f800001
	s_xor_b32 s14, exec_lo, -1
; %bb.2239:                             ;   in Loop: Header=BB6_1935 Depth=4
	s_or_b32 exec_lo, exec_lo, s37
	s_delay_alu instid0(SALU_CYCLE_1)
	s_and_b32 s14, s14, exec_lo
                                        ; implicit-def: $vgpr37
	s_or_saveexec_b32 s36, s36
	v_mov_b32_e32 v35, s35
	s_xor_b32 exec_lo, exec_lo, s36
	s_cbranch_execz .LBB6_2033
.LBB6_2240:                             ;   in Loop: Header=BB6_1935 Depth=4
	v_cmp_ne_u16_e64 s13, 0, v37
	v_mov_b32_e32 v35, 0
	s_and_not1_b32 s14, s14, exec_lo
	s_delay_alu instid0(VALU_DEP_2) | instskip(NEXT) | instid1(SALU_CYCLE_1)
	s_and_b32 s13, s13, exec_lo
	s_or_b32 s14, s14, s13
	s_or_b32 exec_lo, exec_lo, s36
	s_and_saveexec_b32 s35, s14
	s_cbranch_execnz .LBB6_2034
	s_branch .LBB6_2035
.LBB6_2241:                             ;   in Loop: Header=BB6_1935 Depth=4
	s_mov_b32 s14, -1
	s_mov_b32 s37, exec_lo
                                        ; implicit-def: $sgpr35
	v_cmpx_eq_u16_e32 0x80, v38
; %bb.2242:                             ;   in Loop: Header=BB6_1935 Depth=4
	s_mov_b32 s35, 0x7f800001
	s_xor_b32 s14, exec_lo, -1
; %bb.2243:                             ;   in Loop: Header=BB6_1935 Depth=4
	s_or_b32 exec_lo, exec_lo, s37
	s_delay_alu instid0(SALU_CYCLE_1)
	s_and_b32 s14, s14, exec_lo
                                        ; implicit-def: $vgpr38
	s_or_saveexec_b32 s36, s36
	v_mov_b32_e32 v37, s35
	s_xor_b32 exec_lo, exec_lo, s36
	s_cbranch_execz .LBB6_2037
.LBB6_2244:                             ;   in Loop: Header=BB6_1935 Depth=4
	v_cmp_ne_u16_e64 s13, 0, v38
	v_mov_b32_e32 v37, 0
	s_and_not1_b32 s14, s14, exec_lo
	s_delay_alu instid0(VALU_DEP_2) | instskip(NEXT) | instid1(SALU_CYCLE_1)
	s_and_b32 s13, s13, exec_lo
	s_or_b32 s14, s14, s13
	s_or_b32 exec_lo, exec_lo, s36
	s_and_saveexec_b32 s35, s14
	s_cbranch_execnz .LBB6_2038
	s_branch .LBB6_2039
.LBB6_2245:                             ;   in Loop: Header=BB6_1935 Depth=4
	s_mov_b32 s14, -1
	s_mov_b32 s37, exec_lo
                                        ; implicit-def: $sgpr35
	v_cmpx_eq_u16_e32 0x80, v37
; %bb.2246:                             ;   in Loop: Header=BB6_1935 Depth=4
	s_mov_b32 s35, 0x7f800001
	s_xor_b32 s14, exec_lo, -1
; %bb.2247:                             ;   in Loop: Header=BB6_1935 Depth=4
	s_or_b32 exec_lo, exec_lo, s37
	s_delay_alu instid0(SALU_CYCLE_1)
	s_and_b32 s14, s14, exec_lo
	s_or_saveexec_b32 s36, s36
	v_mov_b32_e32 v36, s35
	s_xor_b32 exec_lo, exec_lo, s36
	s_cbranch_execz .LBB6_2049
.LBB6_2248:                             ;   in Loop: Header=BB6_1935 Depth=4
	v_cmp_ne_u16_e64 s13, 0, v37
	v_mov_b32_e32 v36, 0
	s_and_not1_b32 s14, s14, exec_lo
	s_delay_alu instid0(VALU_DEP_2) | instskip(NEXT) | instid1(SALU_CYCLE_1)
	s_and_b32 s13, s13, exec_lo
	s_or_b32 s14, s14, s13
	s_or_b32 exec_lo, exec_lo, s36
	s_and_saveexec_b32 s35, s14
	s_cbranch_execnz .LBB6_2050
	s_branch .LBB6_2051
.LBB6_2249:                             ;   in Loop: Header=BB6_1935 Depth=4
	s_mov_b32 s14, -1
	s_mov_b32 s37, exec_lo
                                        ; implicit-def: $sgpr35
	v_cmpx_eq_u16_e32 0x80, v13
; %bb.2250:                             ;   in Loop: Header=BB6_1935 Depth=4
	s_mov_b32 s35, 0x7f800001
	s_xor_b32 s14, exec_lo, -1
; %bb.2251:                             ;   in Loop: Header=BB6_1935 Depth=4
	s_or_b32 exec_lo, exec_lo, s37
	s_delay_alu instid0(SALU_CYCLE_1)
	s_and_b32 s14, s14, exec_lo
	s_or_saveexec_b32 s36, s36
	v_mov_b32_e32 v37, s35
	s_xor_b32 exec_lo, exec_lo, s36
	s_cbranch_execz .LBB6_2053
.LBB6_2252:                             ;   in Loop: Header=BB6_1935 Depth=4
	v_cmp_ne_u16_e64 s13, 0, v13
	v_mov_b32_e32 v37, 0
	s_and_not1_b32 s14, s14, exec_lo
	s_delay_alu instid0(VALU_DEP_2) | instskip(NEXT) | instid1(SALU_CYCLE_1)
	s_and_b32 s13, s13, exec_lo
	s_or_b32 s14, s14, s13
	s_or_b32 exec_lo, exec_lo, s36
	s_and_saveexec_b32 s35, s14
	s_cbranch_execnz .LBB6_2054
	s_branch .LBB6_2055
.LBB6_2253:                             ;   in Loop: Header=BB6_1935 Depth=4
	s_mov_b32 s14, -1
	s_mov_b32 s37, exec_lo
                                        ; implicit-def: $sgpr35
	v_cmpx_eq_u16_e32 0x80, v36
; %bb.2254:                             ;   in Loop: Header=BB6_1935 Depth=4
	s_mov_b32 s35, 0x7f800001
	s_xor_b32 s14, exec_lo, -1
; %bb.2255:                             ;   in Loop: Header=BB6_1935 Depth=4
	s_or_b32 exec_lo, exec_lo, s37
	s_delay_alu instid0(SALU_CYCLE_1)
	s_and_b32 s14, s14, exec_lo
                                        ; implicit-def: $vgpr36
	s_or_saveexec_b32 s36, s36
	v_mov_b32_e32 v13, s35
	s_xor_b32 exec_lo, exec_lo, s36
	s_cbranch_execz .LBB6_2065
.LBB6_2256:                             ;   in Loop: Header=BB6_1935 Depth=4
	v_cmp_ne_u16_e64 s13, 0, v36
	v_mov_b32_e32 v13, 0
	s_and_not1_b32 s14, s14, exec_lo
	s_delay_alu instid0(VALU_DEP_2) | instskip(NEXT) | instid1(SALU_CYCLE_1)
	s_and_b32 s13, s13, exec_lo
	s_or_b32 s14, s14, s13
	s_or_b32 exec_lo, exec_lo, s36
	s_and_saveexec_b32 s35, s14
	s_cbranch_execnz .LBB6_2066
	s_branch .LBB6_2067
.LBB6_2257:                             ;   in Loop: Header=BB6_1935 Depth=4
	s_mov_b32 s14, -1
	s_mov_b32 s37, exec_lo
                                        ; implicit-def: $sgpr35
	v_cmpx_eq_u16_e32 0x80, v37
; %bb.2258:                             ;   in Loop: Header=BB6_1935 Depth=4
	s_mov_b32 s35, 0x7f800001
	s_xor_b32 s14, exec_lo, -1
; %bb.2259:                             ;   in Loop: Header=BB6_1935 Depth=4
	s_or_b32 exec_lo, exec_lo, s37
	s_delay_alu instid0(SALU_CYCLE_1)
	s_and_b32 s14, s14, exec_lo
                                        ; implicit-def: $vgpr37
	s_or_saveexec_b32 s36, s36
	v_mov_b32_e32 v36, s35
	s_xor_b32 exec_lo, exec_lo, s36
	s_cbranch_execz .LBB6_2069
.LBB6_2260:                             ;   in Loop: Header=BB6_1935 Depth=4
	v_cmp_ne_u16_e64 s13, 0, v37
	v_mov_b32_e32 v36, 0
	s_and_not1_b32 s14, s14, exec_lo
	s_delay_alu instid0(VALU_DEP_2) | instskip(NEXT) | instid1(SALU_CYCLE_1)
	s_and_b32 s13, s13, exec_lo
	s_or_b32 s14, s14, s13
	s_or_b32 exec_lo, exec_lo, s36
	s_and_saveexec_b32 s35, s14
	s_cbranch_execnz .LBB6_2070
	s_branch .LBB6_2071
.LBB6_2261:                             ;   in Loop: Header=BB6_1935 Depth=4
	s_mov_b32 s14, -1
	s_mov_b32 s37, exec_lo
                                        ; implicit-def: $sgpr35
	v_cmpx_eq_u16_e32 0x80, v37
; %bb.2262:                             ;   in Loop: Header=BB6_1935 Depth=4
	s_mov_b32 s35, 0x7f800001
	s_xor_b32 s14, exec_lo, -1
; %bb.2263:                             ;   in Loop: Header=BB6_1935 Depth=4
	s_or_b32 exec_lo, exec_lo, s37
	s_delay_alu instid0(SALU_CYCLE_1)
	s_and_b32 s14, s14, exec_lo
	s_or_saveexec_b32 s36, s36
	v_mov_b32_e32 v36, s35
	s_xor_b32 exec_lo, exec_lo, s36
	s_cbranch_execz .LBB6_2081
.LBB6_2264:                             ;   in Loop: Header=BB6_1935 Depth=4
	v_cmp_ne_u16_e64 s13, 0, v37
	v_mov_b32_e32 v36, 0
	s_and_not1_b32 s14, s14, exec_lo
	s_delay_alu instid0(VALU_DEP_2) | instskip(NEXT) | instid1(SALU_CYCLE_1)
	s_and_b32 s13, s13, exec_lo
	s_or_b32 s14, s14, s13
	s_or_b32 exec_lo, exec_lo, s36
	s_and_saveexec_b32 s35, s14
	s_cbranch_execnz .LBB6_2082
	s_branch .LBB6_2083
.LBB6_2265:                             ;   in Loop: Header=BB6_1935 Depth=4
	s_mov_b32 s14, -1
	s_mov_b32 s37, exec_lo
                                        ; implicit-def: $sgpr35
	v_cmpx_eq_u16_e32 0x80, v37
; %bb.2266:                             ;   in Loop: Header=BB6_1935 Depth=4
	s_mov_b32 s35, 0x7f800001
	s_xor_b32 s14, exec_lo, -1
; %bb.2267:                             ;   in Loop: Header=BB6_1935 Depth=4
	s_or_b32 exec_lo, exec_lo, s37
	s_delay_alu instid0(SALU_CYCLE_1)
	s_and_b32 s14, s14, exec_lo
	s_or_saveexec_b32 s36, s36
	v_mov_b32_e32 v38, s35
	s_xor_b32 exec_lo, exec_lo, s36
	s_cbranch_execz .LBB6_2085
.LBB6_2268:                             ;   in Loop: Header=BB6_1935 Depth=4
	v_cmp_ne_u16_e64 s13, 0, v37
	v_mov_b32_e32 v38, 0
	s_and_not1_b32 s14, s14, exec_lo
	s_delay_alu instid0(VALU_DEP_2) | instskip(NEXT) | instid1(SALU_CYCLE_1)
	s_and_b32 s13, s13, exec_lo
	s_or_b32 s14, s14, s13
	s_or_b32 exec_lo, exec_lo, s36
	s_and_saveexec_b32 s35, s14
	s_cbranch_execnz .LBB6_2086
	s_branch .LBB6_2087
.LBB6_2269:                             ;   in Loop: Header=BB6_1935 Depth=4
	s_mov_b32 s14, -1
	s_mov_b32 s37, exec_lo
                                        ; implicit-def: $sgpr35
	v_cmpx_eq_u16_e32 0x80, v39
; %bb.2270:                             ;   in Loop: Header=BB6_1935 Depth=4
	s_mov_b32 s35, 0x7f800001
	s_xor_b32 s14, exec_lo, -1
; %bb.2271:                             ;   in Loop: Header=BB6_1935 Depth=4
	s_or_b32 exec_lo, exec_lo, s37
	s_delay_alu instid0(SALU_CYCLE_1)
	s_and_b32 s14, s14, exec_lo
                                        ; implicit-def: $vgpr39
	s_or_saveexec_b32 s36, s36
	v_mov_b32_e32 v37, s35
	s_xor_b32 exec_lo, exec_lo, s36
	s_cbranch_execz .LBB6_2097
.LBB6_2272:                             ;   in Loop: Header=BB6_1935 Depth=4
	v_cmp_ne_u16_e64 s13, 0, v39
	v_mov_b32_e32 v37, 0
	s_and_not1_b32 s14, s14, exec_lo
	s_delay_alu instid0(VALU_DEP_2) | instskip(NEXT) | instid1(SALU_CYCLE_1)
	s_and_b32 s13, s13, exec_lo
	s_or_b32 s14, s14, s13
	s_or_b32 exec_lo, exec_lo, s36
	s_and_saveexec_b32 s35, s14
	s_cbranch_execnz .LBB6_2098
	s_branch .LBB6_2099
.LBB6_2273:                             ;   in Loop: Header=BB6_1935 Depth=4
	s_mov_b32 s14, -1
	s_mov_b32 s37, exec_lo
                                        ; implicit-def: $sgpr35
	v_cmpx_eq_u16_e32 0x80, v48
; %bb.2274:                             ;   in Loop: Header=BB6_1935 Depth=4
	s_mov_b32 s35, 0x7f800001
	s_xor_b32 s14, exec_lo, -1
; %bb.2275:                             ;   in Loop: Header=BB6_1935 Depth=4
	s_or_b32 exec_lo, exec_lo, s37
	s_delay_alu instid0(SALU_CYCLE_1)
	s_and_b32 s14, s14, exec_lo
                                        ; implicit-def: $vgpr48
	s_or_saveexec_b32 s36, s36
	v_mov_b32_e32 v39, s35
	s_xor_b32 exec_lo, exec_lo, s36
	s_cbranch_execz .LBB6_2101
.LBB6_2276:                             ;   in Loop: Header=BB6_1935 Depth=4
	v_cmp_ne_u16_e64 s13, 0, v48
	v_mov_b32_e32 v39, 0
	s_and_not1_b32 s14, s14, exec_lo
	s_delay_alu instid0(VALU_DEP_2) | instskip(NEXT) | instid1(SALU_CYCLE_1)
	s_and_b32 s13, s13, exec_lo
	s_or_b32 s14, s14, s13
	s_or_b32 exec_lo, exec_lo, s36
	s_and_saveexec_b32 s35, s14
	s_cbranch_execnz .LBB6_2102
	s_branch .LBB6_2103
.LBB6_2277:                             ;   in Loop: Header=BB6_1935 Depth=4
	s_mov_b32 s14, -1
	s_mov_b32 s37, exec_lo
                                        ; implicit-def: $sgpr35
	v_cmpx_eq_u16_e32 0x80, v39
; %bb.2278:                             ;   in Loop: Header=BB6_1935 Depth=4
	s_mov_b32 s35, 0x7f800001
	s_xor_b32 s14, exec_lo, -1
; %bb.2279:                             ;   in Loop: Header=BB6_1935 Depth=4
	s_or_b32 exec_lo, exec_lo, s37
	s_delay_alu instid0(SALU_CYCLE_1)
	s_and_b32 s14, s14, exec_lo
	s_or_saveexec_b32 s36, s36
	v_mov_b32_e32 v38, s35
	s_xor_b32 exec_lo, exec_lo, s36
	s_cbranch_execz .LBB6_2113
.LBB6_2280:                             ;   in Loop: Header=BB6_1935 Depth=4
	v_cmp_ne_u16_e64 s13, 0, v39
	v_mov_b32_e32 v38, 0
	s_and_not1_b32 s14, s14, exec_lo
	s_delay_alu instid0(VALU_DEP_2) | instskip(NEXT) | instid1(SALU_CYCLE_1)
	s_and_b32 s13, s13, exec_lo
	s_or_b32 s14, s14, s13
	s_or_b32 exec_lo, exec_lo, s36
	s_and_saveexec_b32 s35, s14
	s_cbranch_execnz .LBB6_2114
	s_branch .LBB6_2115
.LBB6_2281:                             ;   in Loop: Header=BB6_1935 Depth=4
	s_mov_b32 s14, -1
	s_mov_b32 s37, exec_lo
                                        ; implicit-def: $sgpr35
	v_cmpx_eq_u16_e32 0x80, v14
; %bb.2282:                             ;   in Loop: Header=BB6_1935 Depth=4
	s_mov_b32 s35, 0x7f800001
	s_xor_b32 s14, exec_lo, -1
; %bb.2283:                             ;   in Loop: Header=BB6_1935 Depth=4
	s_or_b32 exec_lo, exec_lo, s37
	s_delay_alu instid0(SALU_CYCLE_1)
	s_and_b32 s14, s14, exec_lo
	s_or_saveexec_b32 s36, s36
	v_mov_b32_e32 v39, s35
	s_xor_b32 exec_lo, exec_lo, s36
	s_cbranch_execz .LBB6_2117
.LBB6_2284:                             ;   in Loop: Header=BB6_1935 Depth=4
	v_cmp_ne_u16_e64 s13, 0, v14
	v_mov_b32_e32 v39, 0
	s_and_not1_b32 s14, s14, exec_lo
	s_delay_alu instid0(VALU_DEP_2) | instskip(NEXT) | instid1(SALU_CYCLE_1)
	s_and_b32 s13, s13, exec_lo
	s_or_b32 s14, s14, s13
	s_or_b32 exec_lo, exec_lo, s36
	s_and_saveexec_b32 s35, s14
	s_cbranch_execnz .LBB6_2118
	s_branch .LBB6_2119
.LBB6_2285:                             ;   in Loop: Header=BB6_1935 Depth=4
	s_mov_b32 s14, -1
	s_mov_b32 s37, exec_lo
                                        ; implicit-def: $sgpr35
	v_cmpx_eq_u16_e32 0x80, v38
; %bb.2286:                             ;   in Loop: Header=BB6_1935 Depth=4
	s_mov_b32 s35, 0x7f800001
	s_xor_b32 s14, exec_lo, -1
; %bb.2287:                             ;   in Loop: Header=BB6_1935 Depth=4
	s_or_b32 exec_lo, exec_lo, s37
	s_delay_alu instid0(SALU_CYCLE_1)
	s_and_b32 s14, s14, exec_lo
                                        ; implicit-def: $vgpr38
	s_or_saveexec_b32 s36, s36
	v_mov_b32_e32 v14, s35
	s_xor_b32 exec_lo, exec_lo, s36
	s_cbranch_execz .LBB6_2129
.LBB6_2288:                             ;   in Loop: Header=BB6_1935 Depth=4
	v_cmp_ne_u16_e64 s13, 0, v38
	v_mov_b32_e32 v14, 0
	s_and_not1_b32 s14, s14, exec_lo
	s_delay_alu instid0(VALU_DEP_2) | instskip(NEXT) | instid1(SALU_CYCLE_1)
	s_and_b32 s13, s13, exec_lo
	s_or_b32 s14, s14, s13
	s_or_b32 exec_lo, exec_lo, s36
	s_and_saveexec_b32 s35, s14
	s_cbranch_execnz .LBB6_2130
	s_branch .LBB6_2131
.LBB6_2289:                             ;   in Loop: Header=BB6_1935 Depth=4
	s_mov_b32 s14, -1
	s_mov_b32 s37, exec_lo
                                        ; implicit-def: $sgpr35
	v_cmpx_eq_u16_e32 0x80, v39
; %bb.2290:                             ;   in Loop: Header=BB6_1935 Depth=4
	s_mov_b32 s35, 0x7f800001
	s_xor_b32 s14, exec_lo, -1
; %bb.2291:                             ;   in Loop: Header=BB6_1935 Depth=4
	s_or_b32 exec_lo, exec_lo, s37
	s_delay_alu instid0(SALU_CYCLE_1)
	s_and_b32 s14, s14, exec_lo
                                        ; implicit-def: $vgpr39
	s_or_saveexec_b32 s36, s36
	v_mov_b32_e32 v38, s35
	s_xor_b32 exec_lo, exec_lo, s36
	s_cbranch_execz .LBB6_2133
.LBB6_2292:                             ;   in Loop: Header=BB6_1935 Depth=4
	v_cmp_ne_u16_e64 s13, 0, v39
	v_mov_b32_e32 v38, 0
	s_and_not1_b32 s14, s14, exec_lo
	s_delay_alu instid0(VALU_DEP_2) | instskip(NEXT) | instid1(SALU_CYCLE_1)
	s_and_b32 s13, s13, exec_lo
	s_or_b32 s14, s14, s13
	s_or_b32 exec_lo, exec_lo, s36
	s_and_saveexec_b32 s35, s14
	s_cbranch_execnz .LBB6_2134
	s_branch .LBB6_2135
.LBB6_2293:                             ;   in Loop: Header=BB6_1935 Depth=4
	s_mov_b32 s14, -1
	s_mov_b32 s37, exec_lo
                                        ; implicit-def: $sgpr35
	v_cmpx_eq_u16_e32 0x80, v39
; %bb.2294:                             ;   in Loop: Header=BB6_1935 Depth=4
	s_mov_b32 s35, 0x7f800001
	s_xor_b32 s14, exec_lo, -1
; %bb.2295:                             ;   in Loop: Header=BB6_1935 Depth=4
	s_or_b32 exec_lo, exec_lo, s37
	s_delay_alu instid0(SALU_CYCLE_1)
	s_and_b32 s14, s14, exec_lo
	s_or_saveexec_b32 s36, s36
	v_mov_b32_e32 v38, s35
	s_xor_b32 exec_lo, exec_lo, s36
	s_cbranch_execz .LBB6_2145
.LBB6_2296:                             ;   in Loop: Header=BB6_1935 Depth=4
	v_cmp_ne_u16_e64 s13, 0, v39
	v_mov_b32_e32 v38, 0
	s_and_not1_b32 s14, s14, exec_lo
	s_delay_alu instid0(VALU_DEP_2) | instskip(NEXT) | instid1(SALU_CYCLE_1)
	s_and_b32 s13, s13, exec_lo
	s_or_b32 s14, s14, s13
	s_or_b32 exec_lo, exec_lo, s36
	s_and_saveexec_b32 s35, s14
	s_cbranch_execnz .LBB6_2146
	s_branch .LBB6_2147
.LBB6_2297:                             ;   in Loop: Header=BB6_1935 Depth=4
	s_mov_b32 s14, -1
	s_mov_b32 s37, exec_lo
                                        ; implicit-def: $sgpr35
	v_cmpx_eq_u16_e32 0x80, v39
; %bb.2298:                             ;   in Loop: Header=BB6_1935 Depth=4
	s_mov_b32 s35, 0x7f800001
	s_xor_b32 s14, exec_lo, -1
; %bb.2299:                             ;   in Loop: Header=BB6_1935 Depth=4
	s_or_b32 exec_lo, exec_lo, s37
	s_delay_alu instid0(SALU_CYCLE_1)
	s_and_b32 s14, s14, exec_lo
	s_or_saveexec_b32 s36, s36
	v_mov_b32_e32 v48, s35
	s_xor_b32 exec_lo, exec_lo, s36
	s_cbranch_execz .LBB6_2149
.LBB6_2300:                             ;   in Loop: Header=BB6_1935 Depth=4
	v_cmp_ne_u16_e64 s13, 0, v39
	v_mov_b32_e32 v48, 0
	s_and_not1_b32 s14, s14, exec_lo
	s_delay_alu instid0(VALU_DEP_2) | instskip(NEXT) | instid1(SALU_CYCLE_1)
	s_and_b32 s13, s13, exec_lo
	s_or_b32 s14, s14, s13
	s_or_b32 exec_lo, exec_lo, s36
	s_and_saveexec_b32 s35, s14
	s_cbranch_execnz .LBB6_2150
	s_branch .LBB6_2151
.LBB6_2301:                             ;   in Loop: Header=BB6_1935 Depth=4
	s_mov_b32 s14, -1
	s_mov_b32 s37, exec_lo
                                        ; implicit-def: $sgpr35
	v_cmpx_eq_u16_e32 0x80, v49
; %bb.2302:                             ;   in Loop: Header=BB6_1935 Depth=4
	s_mov_b32 s35, 0x7f800001
	s_xor_b32 s14, exec_lo, -1
; %bb.2303:                             ;   in Loop: Header=BB6_1935 Depth=4
	s_or_b32 exec_lo, exec_lo, s37
	s_delay_alu instid0(SALU_CYCLE_1)
	s_and_b32 s14, s14, exec_lo
                                        ; implicit-def: $vgpr49
	s_or_saveexec_b32 s36, s36
	v_mov_b32_e32 v39, s35
	s_xor_b32 exec_lo, exec_lo, s36
	s_cbranch_execz .LBB6_2161
.LBB6_2304:                             ;   in Loop: Header=BB6_1935 Depth=4
	v_cmp_ne_u16_e64 s13, 0, v49
	v_mov_b32_e32 v39, 0
	s_and_not1_b32 s14, s14, exec_lo
	s_delay_alu instid0(VALU_DEP_2) | instskip(NEXT) | instid1(SALU_CYCLE_1)
	s_and_b32 s13, s13, exec_lo
	s_or_b32 s14, s14, s13
	s_or_b32 exec_lo, exec_lo, s36
	s_and_saveexec_b32 s35, s14
	s_cbranch_execnz .LBB6_2162
	s_branch .LBB6_2163
.LBB6_2305:                             ;   in Loop: Header=BB6_1935 Depth=4
	s_mov_b32 s14, -1
	s_mov_b32 s37, exec_lo
                                        ; implicit-def: $sgpr35
	v_cmpx_eq_u16_e32 0x80, v50
; %bb.2306:                             ;   in Loop: Header=BB6_1935 Depth=4
	s_mov_b32 s35, 0x7f800001
	s_xor_b32 s14, exec_lo, -1
; %bb.2307:                             ;   in Loop: Header=BB6_1935 Depth=4
	s_or_b32 exec_lo, exec_lo, s37
	s_delay_alu instid0(SALU_CYCLE_1)
	s_and_b32 s14, s14, exec_lo
                                        ; implicit-def: $vgpr50
	s_or_saveexec_b32 s36, s36
	v_mov_b32_e32 v49, s35
	s_xor_b32 exec_lo, exec_lo, s36
	s_cbranch_execz .LBB6_2165
.LBB6_2308:                             ;   in Loop: Header=BB6_1935 Depth=4
	v_cmp_ne_u16_e64 s13, 0, v50
	v_mov_b32_e32 v49, 0
	s_and_not1_b32 s14, s14, exec_lo
	s_delay_alu instid0(VALU_DEP_2) | instskip(NEXT) | instid1(SALU_CYCLE_1)
	s_and_b32 s13, s13, exec_lo
	s_or_b32 s14, s14, s13
	s_or_b32 exec_lo, exec_lo, s36
	s_and_saveexec_b32 s35, s14
	s_cbranch_execnz .LBB6_2166
	s_branch .LBB6_2167
.LBB6_2309:                             ;   in Loop: Header=BB6_1935 Depth=4
	s_mov_b32 s14, -1
	s_mov_b32 s37, exec_lo
                                        ; implicit-def: $sgpr35
	v_cmpx_eq_u16_e32 0x80, v49
; %bb.2310:                             ;   in Loop: Header=BB6_1935 Depth=4
	s_mov_b32 s35, 0x7f800001
	s_xor_b32 s14, exec_lo, -1
; %bb.2311:                             ;   in Loop: Header=BB6_1935 Depth=4
	s_or_b32 exec_lo, exec_lo, s37
	s_delay_alu instid0(SALU_CYCLE_1)
	s_and_b32 s14, s14, exec_lo
	s_or_saveexec_b32 s36, s36
	v_mov_b32_e32 v48, s35
	s_xor_b32 exec_lo, exec_lo, s36
	s_cbranch_execz .LBB6_2177
.LBB6_2312:                             ;   in Loop: Header=BB6_1935 Depth=4
	v_cmp_ne_u16_e64 s13, 0, v49
	v_mov_b32_e32 v48, 0
	s_and_not1_b32 s14, s14, exec_lo
	s_delay_alu instid0(VALU_DEP_2) | instskip(NEXT) | instid1(SALU_CYCLE_1)
	s_and_b32 s13, s13, exec_lo
	s_or_b32 s14, s14, s13
	s_or_b32 exec_lo, exec_lo, s36
	s_and_saveexec_b32 s35, s14
	s_cbranch_execnz .LBB6_2178
	s_branch .LBB6_2179
.LBB6_2313:                             ;   in Loop: Header=BB6_1935 Depth=4
	s_mov_b32 s14, -1
	s_mov_b32 s37, exec_lo
                                        ; implicit-def: $sgpr35
	v_cmpx_eq_u16_e32 0x80, v15
; %bb.2314:                             ;   in Loop: Header=BB6_1935 Depth=4
	s_mov_b32 s35, 0x7f800001
	s_xor_b32 s14, exec_lo, -1
; %bb.2315:                             ;   in Loop: Header=BB6_1935 Depth=4
	s_or_b32 exec_lo, exec_lo, s37
	s_delay_alu instid0(SALU_CYCLE_1)
	s_and_b32 s14, s14, exec_lo
	s_or_saveexec_b32 s36, s36
	v_mov_b32_e32 v49, s35
	s_xor_b32 exec_lo, exec_lo, s36
	s_cbranch_execz .LBB6_2181
.LBB6_2316:                             ;   in Loop: Header=BB6_1935 Depth=4
	v_cmp_ne_u16_e64 s13, 0, v15
	v_mov_b32_e32 v49, 0
	s_and_not1_b32 s14, s14, exec_lo
	s_delay_alu instid0(VALU_DEP_2) | instskip(NEXT) | instid1(SALU_CYCLE_1)
	s_and_b32 s13, s13, exec_lo
	s_or_b32 s14, s14, s13
	s_or_b32 exec_lo, exec_lo, s36
	s_and_saveexec_b32 s35, s14
	s_cbranch_execnz .LBB6_2182
	s_branch .LBB6_2183
.LBB6_2317:                             ;   in Loop: Header=BB6_305 Depth=3
	s_or_b32 exec_lo, exec_lo, s34
.LBB6_2318:                             ;   in Loop: Header=BB6_305 Depth=3
	s_delay_alu instid0(SALU_CYCLE_1) | instskip(SKIP_3) | instid1(VALU_DEP_1)
	s_or_b32 exec_lo, exec_lo, s31
	v_dual_mov_b32 v14, 0 :: v_dual_and_b32 v9, 15, v101
	s_mov_b32 s14, 0
	s_mov_b32 s31, exec_lo
                                        ; implicit-def: $vgpr16
                                        ; implicit-def: $vgpr8
	v_cndmask_b32_e32 v15, v24, v9, vcc_lo
	s_delay_alu instid0(VALU_DEP_1)
	v_cmpx_ne_u32_e32 0, v15
; %bb.2319:                             ;   in Loop: Header=BB6_305 Depth=3
	v_cmp_lt_i32_e64 s13, 0, v25
	v_sub_nc_u32_e32 v9, v24, v9
	s_mov_b32 s14, exec_lo
	s_delay_alu instid0(VALU_DEP_2) | instskip(NEXT) | instid1(VALU_DEP_1)
	v_cndmask_b32_e64 v8, 0, v129, s13
	v_sub_nc_u32_e32 v8, v8, v25
	s_delay_alu instid0(VALU_DEP_1) | instskip(NEXT) | instid1(VALU_DEP_1)
	v_lshl_add_u32 v16, v8, 5, v23
	v_ashrrev_i32_e32 v8, 31, v16
	s_delay_alu instid0(VALU_DEP_1) | instskip(NEXT) | instid1(VALU_DEP_1)
	v_lshrrev_b32_e32 v8, 27, v8
	v_dual_cndmask_b32 v9, 0, v9 :: v_dual_add_nc_u32 v8, v16, v8
	s_delay_alu instid0(VALU_DEP_1) | instskip(NEXT) | instid1(VALU_DEP_2)
	v_add3_u32 v14, v2, v22, v9
	v_ashrrev_i32_e32 v8, 5, v8
; %bb.2320:                             ;   in Loop: Header=BB6_305 Depth=3
	s_or_b32 exec_lo, exec_lo, s31
	s_delay_alu instid0(SALU_CYCLE_1)
	s_and_b32 s13, s14, exec_lo
.LBB6_2321:                             ;   in Loop: Header=BB6_305 Depth=3
	s_or_b32 exec_lo, exec_lo, s30
.LBB6_2322:                             ;   in Loop: Header=BB6_305 Depth=3
	s_and_saveexec_b32 s14, s13
	s_cbranch_execz .LBB6_3126
; %bb.2323:                             ;   in Loop: Header=BB6_305 Depth=3
	s_delay_alu instid0(VALU_DEP_1) | instskip(SKIP_1) | instid1(VALU_DEP_1)
	v_ashrrev_i32_e32 v2, 31, v15
	s_mov_b32 s30, exec_lo
	v_lshrrev_b32_e32 v2, 22, v2
	s_delay_alu instid0(VALU_DEP_1) | instskip(NEXT) | instid1(VALU_DEP_1)
	v_add_nc_u32_e32 v2, v15, v2
	v_ashrrev_i32_e32 v17, 10, v2
	s_delay_alu instid0(VALU_DEP_1) | instskip(NEXT) | instid1(VALU_DEP_1)
	v_sub_nc_u32_e32 v2, v17, v8
	v_cmpx_lt_i32_e32 0, v2
	s_cbranch_execz .LBB6_3096
; %bb.2324:                             ;   in Loop: Header=BB6_305 Depth=3
	s_cbranch_execz .LBB6_2325
; %bb.10223:
	s_getpc_b64 s[48:49]
.Lpost_getpc287:
	s_add_u32 s48, s48, (.LBB6_9791-.Lpost_getpc287)&4294967295
	s_addc_u32 s49, s49, (.LBB6_9791-.Lpost_getpc287)>>32
	s_setpc_b64 s[48:49]
.LBB6_2325:                             ;   in Loop: Header=BB6_305 Depth=3
	v_ashrrev_i32_e32 v9, 31, v16
	ds_load_b64 v[18:19], v0
	v_lshlrev_b32_e32 v8, 10, v8
	s_mov_b32 s31, 0
	v_lshrrev_b32_e32 v9, 27, v9
	s_delay_alu instid0(VALU_DEP_1) | instskip(NEXT) | instid1(VALU_DEP_1)
	v_add_nc_u32_e32 v9, v16, v9
	v_and_b32_e32 v13, 0xffffffe0, v9
	ds_load_b128 v[9:12], v0
	v_sub_nc_u32_e32 v13, v16, v13
	s_waitcnt lgkmcnt(1)
	v_add_co_u32 v18, vcc_lo, 0x3e0, v18
	v_add_co_ci_u32_e32 v19, vcc_lo, 0, v19, vcc_lo
	s_delay_alu instid0(VALU_DEP_3) | instskip(NEXT) | instid1(VALU_DEP_1)
	v_add3_u32 v13, v14, v13, v8
	v_ashrrev_i32_e32 v20, 31, v13
	s_waitcnt lgkmcnt(0)
	v_add_co_u32 v8, vcc_lo, v9, v13
	s_delay_alu instid0(VALU_DEP_2)
	v_add_co_ci_u32_e32 v9, vcc_lo, v10, v20, vcc_lo
	v_add_co_u32 v10, vcc_lo, v11, v13
	v_add_co_ci_u32_e32 v11, vcc_lo, v12, v20, vcc_lo
	v_add_co_u32 v12, vcc_lo, v18, v13
	v_add_co_ci_u32_e32 v13, vcc_lo, v19, v20, vcc_lo
	s_branch .LBB6_2329
.LBB6_2326:                             ;   in Loop: Header=BB6_2329 Depth=4
	s_or_b32 exec_lo, exec_lo, s13
	s_delay_alu instid0(VALU_DEP_1) | instskip(NEXT) | instid1(VALU_DEP_2)
	v_lshrrev_b32_e32 v22, 20, v22
	v_cmp_gt_i32_e32 vcc_lo, 16, v18
	v_lshrrev_b32_e32 v19, 24, v19
	v_min_i32_e32 v25, 15, v18
	s_delay_alu instid0(VALU_DEP_2) | instskip(NEXT) | instid1(VALU_DEP_1)
	v_dual_cndmask_b32 v22, 7, v22 :: v_dual_and_b32 v19, 0x80, v19
	v_or_b32_e32 v18, v18, v22
	v_and_b32_e32 v32, 7, v22
	s_delay_alu instid0(VALU_DEP_2) | instskip(SKIP_1) | instid1(VALU_DEP_1)
	v_cmp_ne_u32_e32 vcc_lo, 0, v18
	v_lshlrev_b32_e32 v25, 3, v25
	v_or3_b32 v19, v25, v19, v32
	s_delay_alu instid0(VALU_DEP_1)
	v_cndmask_b32_e32 v18, 0, v19, vcc_lo
.LBB6_2327:                             ;   in Loop: Header=BB6_2329 Depth=4
	s_or_b32 exec_lo, exec_lo, s35
.LBB6_2328:                             ;   in Loop: Header=BB6_2329 Depth=4
	s_delay_alu instid0(SALU_CYCLE_1)
	s_or_b32 exec_lo, exec_lo, s34
	v_add_co_u32 v73, vcc_lo, 0xfffffc20, v12
	v_add_co_ci_u32_e32 v74, vcc_lo, -1, v13, vcc_lo
	v_add_co_u32 v19, vcc_lo, 0xfffffc40, v12
	v_sub_nc_u32_e32 v2, v2, v129
	flat_store_b8 v[73:74], v20 glc slc dlc
	v_add_co_ci_u32_e32 v20, vcc_lo, -1, v13, vcc_lo
	v_add_co_u32 v73, vcc_lo, 0xfffffc60, v12
	v_add_co_ci_u32_e32 v74, vcc_lo, -1, v13, vcc_lo
	v_add_co_u32 v75, vcc_lo, 0xfffffc80, v12
	v_add_co_ci_u32_e32 v76, vcc_lo, -1, v13, vcc_lo
	v_add_co_u32 v77, vcc_lo, 0xfffffca0, v12
	v_add_co_ci_u32_e32 v78, vcc_lo, -1, v13, vcc_lo
	v_add_co_u32 v88, vcc_lo, 0xfffffcc0, v12
	v_add_co_ci_u32_e32 v89, vcc_lo, -1, v13, vcc_lo
	flat_store_b8 v[19:20], v23 glc slc dlc
	flat_store_b8 v[73:74], v26 glc slc dlc
	flat_store_b8 v[75:76], v33 glc slc dlc
	flat_store_b8 v[77:78], v36 glc slc dlc
	flat_store_b8 v[88:89], v39 glc slc dlc
	v_add_co_u32 v19, vcc_lo, 0xfffffce0, v12
	v_add_co_ci_u32_e32 v20, vcc_lo, -1, v13, vcc_lo
	v_add_co_u32 v22, vcc_lo, 0xfffffd00, v12
	v_add_co_ci_u32_e32 v23, vcc_lo, -1, v13, vcc_lo
	v_add_co_u32 v25, vcc_lo, 0xfffffd20, v12
	v_add_co_ci_u32_e32 v26, vcc_lo, -1, v13, vcc_lo
	v_add_co_u32 v32, vcc_lo, 0xfffffd40, v12
	v_add_co_ci_u32_e32 v33, vcc_lo, -1, v13, vcc_lo
	v_add_co_u32 v35, vcc_lo, 0xfffffd60, v12
	v_add_co_ci_u32_e32 v36, vcc_lo, -1, v13, vcc_lo
	flat_store_b8 v[19:20], v50 glc slc dlc
	flat_store_b8 v[22:23], v113 glc slc dlc
	flat_store_b8 v[25:26], v116 glc slc dlc
	flat_store_b8 v[32:33], v182 glc slc dlc
	flat_store_b8 v[35:36], v41 glc slc dlc
	v_add_co_u32 v19, vcc_lo, 0xfffffd80, v12
	;; [unrolled: 15-line block ×5, first 2 shown]
	v_add_co_ci_u32_e32 v20, vcc_lo, -1, v13, vcc_lo
	v_add_co_u32 v22, vcc_lo, 0xffffff80, v12
	v_add_co_ci_u32_e32 v23, vcc_lo, -1, v13, vcc_lo
	v_add_co_u32 v25, vcc_lo, 0xffffffa0, v12
	;; [unrolled: 2-line block ×5, first 2 shown]
	v_add_co_ci_u32_e32 v9, vcc_lo, v9, v160, vcc_lo
	v_add_co_u32 v10, vcc_lo, v10, v151
	v_add_co_ci_u32_e32 v11, vcc_lo, v11, v160, vcc_lo
	flat_store_b8 v[19:20], v37 glc slc dlc
	flat_store_b8 v[22:23], v34 glc slc dlc
	;; [unrolled: 1-line block ×6, first 2 shown]
	v_cmp_gt_i32_e32 vcc_lo, 1, v2
	v_add_co_u32 v12, s13, v12, v151
	s_delay_alu instid0(VALU_DEP_1) | instskip(SKIP_1) | instid1(SALU_CYCLE_1)
	v_add_co_ci_u32_e64 v13, s13, v13, v160, s13
	s_or_b32 s31, vcc_lo, s31
	s_and_not1_b32 exec_lo, exec_lo, s31
	s_cbranch_execz .LBB6_3095
.LBB6_2329:                             ;   Parent Loop BB6_51 Depth=1
                                        ;     Parent Loop BB6_303 Depth=2
                                        ;       Parent Loop BB6_305 Depth=3
                                        ; =>      This Inner Loop Header: Depth=4
	s_clause 0x1f
	flat_load_u8 v104, v[8:9] slc dlc
	flat_load_u8 v95, v[8:9] offset:32 slc dlc
	flat_load_u8 v94, v[8:9] offset:64 slc dlc
	flat_load_u8 v93, v[8:9] offset:96 slc dlc
	flat_load_u8 v92, v[8:9] offset:128 slc dlc
	flat_load_u8 v91, v[8:9] offset:160 slc dlc
	flat_load_u8 v90, v[8:9] offset:192 slc dlc
	flat_load_u8 v89, v[8:9] offset:224 slc dlc
	flat_load_u8 v88, v[8:9] offset:256 slc dlc
	flat_load_u8 v79, v[8:9] offset:288 slc dlc
	flat_load_u8 v78, v[8:9] offset:320 slc dlc
	flat_load_u8 v77, v[8:9] offset:352 slc dlc
	flat_load_u8 v76, v[8:9] offset:384 slc dlc
	flat_load_u8 v75, v[8:9] offset:416 slc dlc
	flat_load_u8 v74, v[8:9] offset:448 slc dlc
	flat_load_u8 v73, v[8:9] offset:480 slc dlc
	flat_load_u8 v63, v[8:9] offset:512 slc dlc
	flat_load_u8 v60, v[8:9] offset:544 slc dlc
	flat_load_u8 v57, v[8:9] offset:576 slc dlc
	flat_load_u8 v46, v[8:9] offset:608 slc dlc
	flat_load_u8 v43, v[8:9] offset:640 slc dlc
	flat_load_u8 v40, v[8:9] offset:672 slc dlc
	flat_load_u8 v181, v[8:9] offset:704 slc dlc
	flat_load_u8 v115, v[8:9] offset:736 slc dlc
	flat_load_u8 v112, v[8:9] offset:768 slc dlc
	flat_load_u8 v49, v[8:9] offset:800 slc dlc
	flat_load_u8 v38, v[8:9] offset:832 slc dlc
	flat_load_u8 v35, v[8:9] offset:864 slc dlc
	flat_load_u8 v32, v[8:9] offset:896 slc dlc
	flat_load_u8 v25, v[8:9] offset:928 slc dlc
	flat_load_u8 v22, v[8:9] offset:960 slc dlc
	flat_load_u8 v19, v[8:9] offset:992 slc dlc
	s_clause 0x1f
	flat_load_u8 v20, v[10:11] slc dlc
	flat_load_u8 v23, v[10:11] offset:32 slc dlc
	flat_load_u8 v26, v[10:11] offset:64 slc dlc
	;; [unrolled: 1-line block ×31, first 2 shown]
	s_mov_b32 s13, 0
	s_mov_b32 s35, exec_lo
                                        ; implicit-def: $sgpr34
	s_waitcnt vmcnt(62) lgkmcnt(62)
	v_cmpx_lt_i16_e32 0x7f, v104
	s_xor_b32 s35, exec_lo, s35
	s_cbranch_execnz .LBB6_2839
; %bb.2330:                             ;   in Loop: Header=BB6_2329 Depth=4
	s_or_saveexec_b32 s35, s35
	v_mov_b32_e32 v105, s34
	s_xor_b32 exec_lo, exec_lo, s35
	s_cbranch_execnz .LBB6_2842
.LBB6_2331:                             ;   in Loop: Header=BB6_2329 Depth=4
	s_or_b32 exec_lo, exec_lo, s35
	s_and_saveexec_b32 s34, s13
	s_cbranch_execz .LBB6_2333
.LBB6_2332:                             ;   in Loop: Header=BB6_2329 Depth=4
	v_and_b32_e32 v105, 0xffff, v104
	v_lshlrev_b32_e32 v104, 24, v104
	s_delay_alu instid0(VALU_DEP_2) | instskip(NEXT) | instid1(VALU_DEP_2)
	v_and_b32_e32 v106, 7, v105
	v_and_b32_e32 v104, 0x80000000, v104
	s_delay_alu instid0(VALU_DEP_2) | instskip(NEXT) | instid1(VALU_DEP_1)
	v_clz_i32_u32_e32 v107, v106
	v_min_u32_e32 v107, 32, v107
	s_delay_alu instid0(VALU_DEP_1) | instskip(SKIP_1) | instid1(VALU_DEP_2)
	v_subrev_nc_u32_e32 v108, 28, v107
	v_sub_nc_u32_e32 v107, 29, v107
	v_lshlrev_b32_e32 v108, v108, v105
	v_bfe_u32 v105, v105, 3, 4
	s_delay_alu instid0(VALU_DEP_2) | instskip(NEXT) | instid1(VALU_DEP_2)
	v_and_b32_e32 v108, 7, v108
	v_cmp_eq_u32_e32 vcc_lo, 0, v105
	s_delay_alu instid0(VALU_DEP_2) | instskip(NEXT) | instid1(VALU_DEP_1)
	v_dual_cndmask_b32 v105, v105, v107 :: v_dual_cndmask_b32 v106, v106, v108
	v_lshl_add_u32 v105, v105, 23, 0x3b800000
	s_delay_alu instid0(VALU_DEP_2) | instskip(NEXT) | instid1(VALU_DEP_1)
	v_lshlrev_b32_e32 v106, 20, v106
	v_or3_b32 v105, v104, v105, v106
.LBB6_2333:                             ;   in Loop: Header=BB6_2329 Depth=4
	s_or_b32 exec_lo, exec_lo, s34
	s_waitcnt vmcnt(31) lgkmcnt(31)
	v_and_b32_e32 v106, 0xff, v20
	s_mov_b32 s13, 0
	s_mov_b32 s35, exec_lo
                                        ; implicit-def: $sgpr34
	s_delay_alu instid0(VALU_DEP_1)
	v_cmpx_lt_i16_e32 0x7f, v106
	s_xor_b32 s35, exec_lo, s35
	s_cbranch_execnz .LBB6_2843
; %bb.2334:                             ;   in Loop: Header=BB6_2329 Depth=4
	s_or_saveexec_b32 s35, s35
	v_mov_b32_e32 v104, s34
	s_xor_b32 exec_lo, exec_lo, s35
	s_cbranch_execnz .LBB6_2846
.LBB6_2335:                             ;   in Loop: Header=BB6_2329 Depth=4
	s_or_b32 exec_lo, exec_lo, s35
	s_and_saveexec_b32 s34, s13
	s_cbranch_execz .LBB6_2337
.LBB6_2336:                             ;   in Loop: Header=BB6_2329 Depth=4
	v_and_b32_e32 v104, 7, v20
	v_lshrrev_b16 v108, 3, v20
	s_delay_alu instid0(VALU_DEP_2) | instskip(NEXT) | instid1(VALU_DEP_2)
	v_clz_i32_u32_e32 v106, v104
	v_and_b32_e32 v108, 15, v108
	s_delay_alu instid0(VALU_DEP_2) | instskip(NEXT) | instid1(VALU_DEP_2)
	v_min_u32_e32 v106, 32, v106
	v_cmp_eq_u32_e32 vcc_lo, 0, v108
	s_delay_alu instid0(VALU_DEP_2) | instskip(SKIP_1) | instid1(VALU_DEP_1)
	v_subrev_nc_u32_e32 v107, 28, v106
	v_sub_nc_u32_e32 v106, 29, v106
	v_dual_cndmask_b32 v106, v108, v106 :: v_dual_lshlrev_b32 v107, v107, v20
	v_lshlrev_b32_e32 v20, 24, v20
	s_delay_alu instid0(VALU_DEP_2) | instskip(NEXT) | instid1(VALU_DEP_3)
	v_and_b32_e32 v107, 7, v107
	v_lshl_add_u32 v106, v106, 23, 0x3b800000
	s_delay_alu instid0(VALU_DEP_3) | instskip(NEXT) | instid1(VALU_DEP_3)
	v_and_b32_e32 v20, 0x80000000, v20
	v_cndmask_b32_e32 v104, v104, v107, vcc_lo
	s_delay_alu instid0(VALU_DEP_1) | instskip(NEXT) | instid1(VALU_DEP_1)
	v_lshlrev_b32_e32 v104, 20, v104
	v_or3_b32 v104, v20, v106, v104
.LBB6_2337:                             ;   in Loop: Header=BB6_2329 Depth=4
	s_or_b32 exec_lo, exec_lo, s34
	s_delay_alu instid0(VALU_DEP_1) | instskip(NEXT) | instid1(VALU_DEP_1)
	v_add_f32_e32 v104, v105, v104
	v_and_b32_e32 v20, 0x7f800000, v104
	s_delay_alu instid0(VALU_DEP_1)
	v_cmp_ne_u32_e32 vcc_lo, 0x7f800000, v20
	v_mov_b32_e32 v20, 0x80
	s_and_saveexec_b32 s34, vcc_lo
	s_cbranch_execz .LBB6_2345
; %bb.2338:                             ;   in Loop: Header=BB6_2329 Depth=4
	v_mov_b32_e32 v20, 0
	s_mov_b32 s35, exec_lo
	v_cmpx_ne_u32_e32 0, v104
	s_cbranch_execz .LBB6_2344
; %bb.2339:                             ;   in Loop: Header=BB6_2329 Depth=4
	v_bfe_u32 v20, v104, 23, 8
	s_delay_alu instid0(VALU_DEP_1) | instskip(SKIP_1) | instid1(VALU_DEP_2)
	v_sub_nc_u32_e32 v106, 0x78, v20
	v_cmp_gt_u32_e32 vcc_lo, 0x79, v20
	v_dual_cndmask_b32 v106, 0, v106 :: v_dual_and_b32 v105, 0x7fffff, v104
	s_delay_alu instid0(VALU_DEP_1) | instskip(SKIP_2) | instid1(VALU_DEP_4)
	v_or_b32_e32 v107, 0x800000, v105
	v_cmp_eq_u32_e32 vcc_lo, 0, v20
	v_add_nc_u32_e32 v20, 0xffffff89, v20
	v_cndmask_b32_e64 v106, v106, 0x77, vcc_lo
	s_delay_alu instid0(VALU_DEP_4) | instskip(NEXT) | instid1(VALU_DEP_3)
	v_cndmask_b32_e32 v105, v107, v105, vcc_lo
	v_cndmask_b32_e64 v20, v20, 0xffffff8a, vcc_lo
	s_delay_alu instid0(VALU_DEP_3) | instskip(NEXT) | instid1(VALU_DEP_3)
	v_lshl_add_u32 v107, 0x100000, v106, -1
	v_lshrrev_b32_e32 v108, v106, v105
	v_lshlrev_b32_e64 v110, v106, 0x80000
	s_delay_alu instid0(VALU_DEP_4) | instskip(NEXT) | instid1(VALU_DEP_4)
	v_add_nc_u32_e32 v106, v106, v20
	v_and_b32_e32 v105, v107, v105
	s_delay_alu instid0(VALU_DEP_4) | instskip(NEXT) | instid1(VALU_DEP_2)
	v_bfe_u32 v109, v108, 20, 1
	v_cmp_eq_u32_e64 s13, v105, v110
	s_delay_alu instid0(VALU_DEP_2) | instskip(NEXT) | instid1(VALU_DEP_1)
	v_add_nc_u32_e32 v107, -1, v109
	v_cndmask_b32_e64 v105, 0, v107, s13
	v_lshrrev_b32_e32 v107, 23, v108
	s_mov_b32 s13, exec_lo
	s_delay_alu instid0(VALU_DEP_2) | instskip(NEXT) | instid1(VALU_DEP_2)
	v_add_nc_u32_e32 v105, v105, v108
	v_xor_b32_e32 v107, 1, v107
	s_delay_alu instid0(VALU_DEP_2) | instskip(NEXT) | instid1(VALU_DEP_1)
	v_and_b32_e32 v20, 0xfffff, v105
	v_add_nc_u32_e32 v105, v20, v108
                                        ; implicit-def: $vgpr20
	s_delay_alu instid0(VALU_DEP_3)
	v_cmpx_ne_u32_e64 v106, v107
	s_xor_b32 s13, exec_lo, s13
; %bb.2340:                             ;   in Loop: Header=BB6_2329 Depth=4
	s_delay_alu instid0(VALU_DEP_2) | instskip(SKIP_2) | instid1(VALU_DEP_2)
	v_cmp_lt_u32_e32 vcc_lo, 0xffffff, v105
	v_sub_nc_u32_e32 v20, v106, v107
	v_cndmask_b32_e64 v106, 0, 1, vcc_lo
	v_add_co_ci_u32_e32 v20, vcc_lo, 0, v20, vcc_lo
	s_delay_alu instid0(VALU_DEP_2)
	v_lshrrev_b32_e32 v105, v106, v105
; %bb.2341:                             ;   in Loop: Header=BB6_2329 Depth=4
	s_and_not1_saveexec_b32 s13, s13
; %bb.2342:                             ;   in Loop: Header=BB6_2329 Depth=4
	s_delay_alu instid0(VALU_DEP_1)
	v_bfe_u32 v20, v105, 23, 1
; %bb.2343:                             ;   in Loop: Header=BB6_2329 Depth=4
	s_or_b32 exec_lo, exec_lo, s13
	v_lshrrev_b32_e32 v105, 20, v105
	s_delay_alu instid0(VALU_DEP_2) | instskip(SKIP_2) | instid1(VALU_DEP_2)
	v_cmp_gt_i32_e32 vcc_lo, 16, v20
	v_lshrrev_b32_e32 v104, 24, v104
	v_min_i32_e32 v106, 15, v20
	v_dual_cndmask_b32 v105, 7, v105 :: v_dual_and_b32 v104, 0x80, v104
	s_delay_alu instid0(VALU_DEP_2) | instskip(NEXT) | instid1(VALU_DEP_2)
	v_lshlrev_b32_e32 v106, 3, v106
	v_or_b32_e32 v20, v20, v105
	s_delay_alu instid0(VALU_DEP_1) | instskip(SKIP_1) | instid1(VALU_DEP_1)
	v_cmp_ne_u32_e32 vcc_lo, 0, v20
	v_and_b32_e32 v107, 7, v105
	v_or3_b32 v104, v106, v104, v107
	s_delay_alu instid0(VALU_DEP_1)
	v_cndmask_b32_e32 v20, 0, v104, vcc_lo
.LBB6_2344:                             ;   in Loop: Header=BB6_2329 Depth=4
	s_or_b32 exec_lo, exec_lo, s35
.LBB6_2345:                             ;   in Loop: Header=BB6_2329 Depth=4
	s_delay_alu instid0(SALU_CYCLE_1) | instskip(SKIP_3) | instid1(VALU_DEP_1)
	s_or_b32 exec_lo, exec_lo, s34
	v_and_b32_e32 v105, 0xff, v95
	s_mov_b32 s13, 0
	s_mov_b32 s35, exec_lo
                                        ; implicit-def: $sgpr34
	v_cmpx_lt_i16_e32 0x7f, v105
	s_xor_b32 s35, exec_lo, s35
	s_cbranch_execnz .LBB6_2847
; %bb.2346:                             ;   in Loop: Header=BB6_2329 Depth=4
	s_or_saveexec_b32 s35, s35
	v_mov_b32_e32 v104, s34
	s_xor_b32 exec_lo, exec_lo, s35
	s_cbranch_execnz .LBB6_2850
.LBB6_2347:                             ;   in Loop: Header=BB6_2329 Depth=4
	s_or_b32 exec_lo, exec_lo, s35
	s_and_saveexec_b32 s34, s13
	s_cbranch_execz .LBB6_2349
.LBB6_2348:                             ;   in Loop: Header=BB6_2329 Depth=4
	v_lshrrev_b16 v107, 3, v95
	s_delay_alu instid0(VALU_DEP_1) | instskip(NEXT) | instid1(VALU_DEP_1)
	v_and_b32_e32 v107, 15, v107
	v_cmp_eq_u32_e32 vcc_lo, 0, v107
	v_and_b32_e32 v104, 7, v95
	s_delay_alu instid0(VALU_DEP_1) | instskip(NEXT) | instid1(VALU_DEP_1)
	v_clz_i32_u32_e32 v105, v104
	v_min_u32_e32 v105, 32, v105
	s_delay_alu instid0(VALU_DEP_1) | instskip(SKIP_1) | instid1(VALU_DEP_1)
	v_subrev_nc_u32_e32 v106, 28, v105
	v_sub_nc_u32_e32 v105, 29, v105
	v_dual_cndmask_b32 v105, v107, v105 :: v_dual_lshlrev_b32 v106, v106, v95
	v_lshlrev_b32_e32 v95, 24, v95
	s_delay_alu instid0(VALU_DEP_2) | instskip(NEXT) | instid1(VALU_DEP_3)
	v_and_b32_e32 v106, 7, v106
	v_lshl_add_u32 v105, v105, 23, 0x3b800000
	s_delay_alu instid0(VALU_DEP_2) | instskip(NEXT) | instid1(VALU_DEP_1)
	v_dual_cndmask_b32 v104, v104, v106 :: v_dual_and_b32 v95, 0x80000000, v95
	v_lshlrev_b32_e32 v104, 20, v104
	s_delay_alu instid0(VALU_DEP_1)
	v_or3_b32 v104, v95, v105, v104
.LBB6_2349:                             ;   in Loop: Header=BB6_2329 Depth=4
	s_or_b32 exec_lo, exec_lo, s34
	s_waitcnt vmcnt(30) lgkmcnt(30)
	v_and_b32_e32 v105, 0xff, v23
	s_mov_b32 s13, 0
	s_mov_b32 s35, exec_lo
                                        ; implicit-def: $sgpr34
	s_delay_alu instid0(VALU_DEP_1)
	v_cmpx_lt_i16_e32 0x7f, v105
	s_xor_b32 s35, exec_lo, s35
	s_cbranch_execnz .LBB6_2851
; %bb.2350:                             ;   in Loop: Header=BB6_2329 Depth=4
	s_or_saveexec_b32 s35, s35
	v_mov_b32_e32 v95, s34
	s_xor_b32 exec_lo, exec_lo, s35
	s_cbranch_execnz .LBB6_2854
.LBB6_2351:                             ;   in Loop: Header=BB6_2329 Depth=4
	s_or_b32 exec_lo, exec_lo, s35
	s_and_saveexec_b32 s34, s13
	s_cbranch_execz .LBB6_2353
.LBB6_2352:                             ;   in Loop: Header=BB6_2329 Depth=4
	v_and_b32_e32 v95, 7, v23
	v_lshrrev_b16 v107, 3, v23
	s_delay_alu instid0(VALU_DEP_2) | instskip(NEXT) | instid1(VALU_DEP_2)
	v_clz_i32_u32_e32 v105, v95
	v_and_b32_e32 v107, 15, v107
	s_delay_alu instid0(VALU_DEP_2) | instskip(NEXT) | instid1(VALU_DEP_2)
	v_min_u32_e32 v105, 32, v105
	v_cmp_eq_u32_e32 vcc_lo, 0, v107
	s_delay_alu instid0(VALU_DEP_2) | instskip(SKIP_1) | instid1(VALU_DEP_1)
	v_subrev_nc_u32_e32 v106, 28, v105
	v_sub_nc_u32_e32 v105, 29, v105
	v_dual_cndmask_b32 v105, v107, v105 :: v_dual_lshlrev_b32 v106, v106, v23
	v_lshlrev_b32_e32 v23, 24, v23
	s_delay_alu instid0(VALU_DEP_2) | instskip(NEXT) | instid1(VALU_DEP_3)
	v_and_b32_e32 v106, 7, v106
	v_lshl_add_u32 v105, v105, 23, 0x3b800000
	s_delay_alu instid0(VALU_DEP_3) | instskip(NEXT) | instid1(VALU_DEP_3)
	v_and_b32_e32 v23, 0x80000000, v23
	v_cndmask_b32_e32 v95, v95, v106, vcc_lo
	s_delay_alu instid0(VALU_DEP_1) | instskip(NEXT) | instid1(VALU_DEP_1)
	v_lshlrev_b32_e32 v95, 20, v95
	v_or3_b32 v95, v23, v105, v95
.LBB6_2353:                             ;   in Loop: Header=BB6_2329 Depth=4
	s_or_b32 exec_lo, exec_lo, s34
	s_delay_alu instid0(VALU_DEP_1) | instskip(NEXT) | instid1(VALU_DEP_1)
	v_add_f32_e32 v95, v104, v95
	v_and_b32_e32 v23, 0x7f800000, v95
	s_delay_alu instid0(VALU_DEP_1)
	v_cmp_ne_u32_e32 vcc_lo, 0x7f800000, v23
	v_mov_b32_e32 v23, 0x80
	s_and_saveexec_b32 s34, vcc_lo
	s_cbranch_execz .LBB6_2361
; %bb.2354:                             ;   in Loop: Header=BB6_2329 Depth=4
	v_mov_b32_e32 v23, 0
	s_mov_b32 s35, exec_lo
	v_cmpx_ne_u32_e32 0, v95
	s_cbranch_execz .LBB6_2360
; %bb.2355:                             ;   in Loop: Header=BB6_2329 Depth=4
	v_bfe_u32 v23, v95, 23, 8
	s_delay_alu instid0(VALU_DEP_1) | instskip(SKIP_1) | instid1(VALU_DEP_2)
	v_sub_nc_u32_e32 v105, 0x78, v23
	v_cmp_gt_u32_e32 vcc_lo, 0x79, v23
	v_dual_cndmask_b32 v105, 0, v105 :: v_dual_and_b32 v104, 0x7fffff, v95
	s_delay_alu instid0(VALU_DEP_1) | instskip(SKIP_2) | instid1(VALU_DEP_4)
	v_or_b32_e32 v106, 0x800000, v104
	v_cmp_eq_u32_e32 vcc_lo, 0, v23
	v_add_nc_u32_e32 v23, 0xffffff89, v23
	v_cndmask_b32_e64 v105, v105, 0x77, vcc_lo
	s_delay_alu instid0(VALU_DEP_4) | instskip(NEXT) | instid1(VALU_DEP_3)
	v_cndmask_b32_e32 v104, v106, v104, vcc_lo
	v_cndmask_b32_e64 v23, v23, 0xffffff8a, vcc_lo
	s_delay_alu instid0(VALU_DEP_3) | instskip(NEXT) | instid1(VALU_DEP_3)
	v_lshl_add_u32 v106, 0x100000, v105, -1
	v_lshrrev_b32_e32 v107, v105, v104
	v_lshlrev_b32_e64 v109, v105, 0x80000
	s_delay_alu instid0(VALU_DEP_4) | instskip(NEXT) | instid1(VALU_DEP_4)
	v_add_nc_u32_e32 v105, v105, v23
	v_and_b32_e32 v104, v106, v104
	s_delay_alu instid0(VALU_DEP_4) | instskip(NEXT) | instid1(VALU_DEP_2)
	v_bfe_u32 v108, v107, 20, 1
	v_cmp_eq_u32_e64 s13, v104, v109
	s_delay_alu instid0(VALU_DEP_2) | instskip(NEXT) | instid1(VALU_DEP_1)
	v_add_nc_u32_e32 v106, -1, v108
	v_cndmask_b32_e64 v104, 0, v106, s13
	v_lshrrev_b32_e32 v106, 23, v107
	s_mov_b32 s13, exec_lo
	s_delay_alu instid0(VALU_DEP_2) | instskip(NEXT) | instid1(VALU_DEP_2)
	v_add_nc_u32_e32 v104, v104, v107
	v_xor_b32_e32 v106, 1, v106
	s_delay_alu instid0(VALU_DEP_2) | instskip(NEXT) | instid1(VALU_DEP_1)
	v_and_b32_e32 v23, 0xfffff, v104
	v_add_nc_u32_e32 v104, v23, v107
                                        ; implicit-def: $vgpr23
	s_delay_alu instid0(VALU_DEP_3)
	v_cmpx_ne_u32_e64 v105, v106
	s_xor_b32 s13, exec_lo, s13
; %bb.2356:                             ;   in Loop: Header=BB6_2329 Depth=4
	s_delay_alu instid0(VALU_DEP_2) | instskip(SKIP_2) | instid1(VALU_DEP_2)
	v_cmp_lt_u32_e32 vcc_lo, 0xffffff, v104
	v_sub_nc_u32_e32 v23, v105, v106
	v_cndmask_b32_e64 v105, 0, 1, vcc_lo
	v_add_co_ci_u32_e32 v23, vcc_lo, 0, v23, vcc_lo
	s_delay_alu instid0(VALU_DEP_2)
	v_lshrrev_b32_e32 v104, v105, v104
; %bb.2357:                             ;   in Loop: Header=BB6_2329 Depth=4
	s_and_not1_saveexec_b32 s13, s13
; %bb.2358:                             ;   in Loop: Header=BB6_2329 Depth=4
	s_delay_alu instid0(VALU_DEP_1)
	v_bfe_u32 v23, v104, 23, 1
; %bb.2359:                             ;   in Loop: Header=BB6_2329 Depth=4
	s_or_b32 exec_lo, exec_lo, s13
	v_lshrrev_b32_e32 v104, 20, v104
	s_delay_alu instid0(VALU_DEP_2) | instskip(SKIP_2) | instid1(VALU_DEP_2)
	v_cmp_gt_i32_e32 vcc_lo, 16, v23
	v_lshrrev_b32_e32 v95, 24, v95
	v_min_i32_e32 v105, 15, v23
	v_dual_cndmask_b32 v104, 7, v104 :: v_dual_and_b32 v95, 0x80, v95
	s_delay_alu instid0(VALU_DEP_2) | instskip(NEXT) | instid1(VALU_DEP_2)
	v_lshlrev_b32_e32 v105, 3, v105
	v_or_b32_e32 v23, v23, v104
	s_delay_alu instid0(VALU_DEP_1) | instskip(SKIP_1) | instid1(VALU_DEP_1)
	v_cmp_ne_u32_e32 vcc_lo, 0, v23
	v_and_b32_e32 v106, 7, v104
	v_or3_b32 v95, v105, v95, v106
	s_delay_alu instid0(VALU_DEP_1)
	v_cndmask_b32_e32 v23, 0, v95, vcc_lo
.LBB6_2360:                             ;   in Loop: Header=BB6_2329 Depth=4
	s_or_b32 exec_lo, exec_lo, s35
.LBB6_2361:                             ;   in Loop: Header=BB6_2329 Depth=4
	s_delay_alu instid0(SALU_CYCLE_1) | instskip(SKIP_3) | instid1(VALU_DEP_1)
	s_or_b32 exec_lo, exec_lo, s34
	v_and_b32_e32 v104, 0xff, v94
	s_mov_b32 s13, 0
	s_mov_b32 s35, exec_lo
                                        ; implicit-def: $sgpr34
	v_cmpx_lt_i16_e32 0x7f, v104
	s_xor_b32 s35, exec_lo, s35
	s_cbranch_execnz .LBB6_2855
; %bb.2362:                             ;   in Loop: Header=BB6_2329 Depth=4
	s_or_saveexec_b32 s35, s35
	v_mov_b32_e32 v95, s34
	s_xor_b32 exec_lo, exec_lo, s35
	s_cbranch_execnz .LBB6_2858
.LBB6_2363:                             ;   in Loop: Header=BB6_2329 Depth=4
	s_or_b32 exec_lo, exec_lo, s35
	s_and_saveexec_b32 s34, s13
	s_cbranch_execz .LBB6_2365
.LBB6_2364:                             ;   in Loop: Header=BB6_2329 Depth=4
	v_lshrrev_b16 v106, 3, v94
	s_delay_alu instid0(VALU_DEP_1) | instskip(NEXT) | instid1(VALU_DEP_1)
	v_and_b32_e32 v106, 15, v106
	v_cmp_eq_u32_e32 vcc_lo, 0, v106
	v_and_b32_e32 v95, 7, v94
	s_delay_alu instid0(VALU_DEP_1) | instskip(NEXT) | instid1(VALU_DEP_1)
	v_clz_i32_u32_e32 v104, v95
	v_min_u32_e32 v104, 32, v104
	s_delay_alu instid0(VALU_DEP_1) | instskip(SKIP_1) | instid1(VALU_DEP_1)
	v_subrev_nc_u32_e32 v105, 28, v104
	v_sub_nc_u32_e32 v104, 29, v104
	v_dual_cndmask_b32 v104, v106, v104 :: v_dual_lshlrev_b32 v105, v105, v94
	v_lshlrev_b32_e32 v94, 24, v94
	s_delay_alu instid0(VALU_DEP_2) | instskip(NEXT) | instid1(VALU_DEP_3)
	v_and_b32_e32 v105, 7, v105
	v_lshl_add_u32 v104, v104, 23, 0x3b800000
	s_delay_alu instid0(VALU_DEP_2) | instskip(NEXT) | instid1(VALU_DEP_1)
	v_dual_cndmask_b32 v95, v95, v105 :: v_dual_and_b32 v94, 0x80000000, v94
	v_lshlrev_b32_e32 v95, 20, v95
	s_delay_alu instid0(VALU_DEP_1)
	v_or3_b32 v95, v94, v104, v95
.LBB6_2365:                             ;   in Loop: Header=BB6_2329 Depth=4
	s_or_b32 exec_lo, exec_lo, s34
	s_waitcnt vmcnt(29) lgkmcnt(29)
	v_and_b32_e32 v104, 0xff, v26
	s_mov_b32 s13, 0
	s_mov_b32 s35, exec_lo
                                        ; implicit-def: $sgpr34
	s_delay_alu instid0(VALU_DEP_1)
	v_cmpx_lt_i16_e32 0x7f, v104
	s_xor_b32 s35, exec_lo, s35
	s_cbranch_execnz .LBB6_2859
; %bb.2366:                             ;   in Loop: Header=BB6_2329 Depth=4
	s_or_saveexec_b32 s35, s35
	v_mov_b32_e32 v94, s34
	s_xor_b32 exec_lo, exec_lo, s35
	s_cbranch_execnz .LBB6_2862
.LBB6_2367:                             ;   in Loop: Header=BB6_2329 Depth=4
	s_or_b32 exec_lo, exec_lo, s35
	s_and_saveexec_b32 s34, s13
	s_cbranch_execz .LBB6_2369
.LBB6_2368:                             ;   in Loop: Header=BB6_2329 Depth=4
	v_and_b32_e32 v94, 7, v26
	v_lshrrev_b16 v106, 3, v26
	s_delay_alu instid0(VALU_DEP_2) | instskip(NEXT) | instid1(VALU_DEP_2)
	v_clz_i32_u32_e32 v104, v94
	v_and_b32_e32 v106, 15, v106
	s_delay_alu instid0(VALU_DEP_2) | instskip(NEXT) | instid1(VALU_DEP_2)
	v_min_u32_e32 v104, 32, v104
	v_cmp_eq_u32_e32 vcc_lo, 0, v106
	s_delay_alu instid0(VALU_DEP_2) | instskip(SKIP_1) | instid1(VALU_DEP_1)
	v_subrev_nc_u32_e32 v105, 28, v104
	v_sub_nc_u32_e32 v104, 29, v104
	v_dual_cndmask_b32 v104, v106, v104 :: v_dual_lshlrev_b32 v105, v105, v26
	v_lshlrev_b32_e32 v26, 24, v26
	s_delay_alu instid0(VALU_DEP_2) | instskip(NEXT) | instid1(VALU_DEP_3)
	v_and_b32_e32 v105, 7, v105
	v_lshl_add_u32 v104, v104, 23, 0x3b800000
	s_delay_alu instid0(VALU_DEP_3) | instskip(NEXT) | instid1(VALU_DEP_3)
	v_and_b32_e32 v26, 0x80000000, v26
	v_cndmask_b32_e32 v94, v94, v105, vcc_lo
	s_delay_alu instid0(VALU_DEP_1) | instskip(NEXT) | instid1(VALU_DEP_1)
	v_lshlrev_b32_e32 v94, 20, v94
	v_or3_b32 v94, v26, v104, v94
.LBB6_2369:                             ;   in Loop: Header=BB6_2329 Depth=4
	s_or_b32 exec_lo, exec_lo, s34
	s_delay_alu instid0(VALU_DEP_1) | instskip(NEXT) | instid1(VALU_DEP_1)
	v_add_f32_e32 v94, v95, v94
	v_and_b32_e32 v26, 0x7f800000, v94
	s_delay_alu instid0(VALU_DEP_1)
	v_cmp_ne_u32_e32 vcc_lo, 0x7f800000, v26
	v_mov_b32_e32 v26, 0x80
	s_and_saveexec_b32 s34, vcc_lo
	s_cbranch_execz .LBB6_2377
; %bb.2370:                             ;   in Loop: Header=BB6_2329 Depth=4
	v_mov_b32_e32 v26, 0
	s_mov_b32 s35, exec_lo
	v_cmpx_ne_u32_e32 0, v94
	s_cbranch_execz .LBB6_2376
; %bb.2371:                             ;   in Loop: Header=BB6_2329 Depth=4
	v_bfe_u32 v26, v94, 23, 8
	s_delay_alu instid0(VALU_DEP_1) | instskip(SKIP_1) | instid1(VALU_DEP_2)
	v_sub_nc_u32_e32 v104, 0x78, v26
	v_cmp_gt_u32_e32 vcc_lo, 0x79, v26
	v_dual_cndmask_b32 v104, 0, v104 :: v_dual_and_b32 v95, 0x7fffff, v94
	s_delay_alu instid0(VALU_DEP_1) | instskip(SKIP_2) | instid1(VALU_DEP_4)
	v_or_b32_e32 v105, 0x800000, v95
	v_cmp_eq_u32_e32 vcc_lo, 0, v26
	v_add_nc_u32_e32 v26, 0xffffff89, v26
	v_cndmask_b32_e64 v104, v104, 0x77, vcc_lo
	s_delay_alu instid0(VALU_DEP_4) | instskip(NEXT) | instid1(VALU_DEP_3)
	v_cndmask_b32_e32 v95, v105, v95, vcc_lo
	v_cndmask_b32_e64 v26, v26, 0xffffff8a, vcc_lo
	s_delay_alu instid0(VALU_DEP_3) | instskip(NEXT) | instid1(VALU_DEP_3)
	v_lshl_add_u32 v105, 0x100000, v104, -1
	v_lshrrev_b32_e32 v106, v104, v95
	v_lshlrev_b32_e64 v108, v104, 0x80000
	s_delay_alu instid0(VALU_DEP_4) | instskip(NEXT) | instid1(VALU_DEP_4)
	v_add_nc_u32_e32 v104, v104, v26
	v_and_b32_e32 v95, v105, v95
	s_delay_alu instid0(VALU_DEP_4) | instskip(NEXT) | instid1(VALU_DEP_2)
	v_bfe_u32 v107, v106, 20, 1
	v_cmp_eq_u32_e64 s13, v95, v108
	s_delay_alu instid0(VALU_DEP_2) | instskip(NEXT) | instid1(VALU_DEP_1)
	v_add_nc_u32_e32 v105, -1, v107
	v_cndmask_b32_e64 v95, 0, v105, s13
	v_lshrrev_b32_e32 v105, 23, v106
	s_mov_b32 s13, exec_lo
	s_delay_alu instid0(VALU_DEP_2) | instskip(NEXT) | instid1(VALU_DEP_2)
	v_add_nc_u32_e32 v95, v95, v106
	v_xor_b32_e32 v105, 1, v105
	s_delay_alu instid0(VALU_DEP_2) | instskip(NEXT) | instid1(VALU_DEP_1)
	v_and_b32_e32 v26, 0xfffff, v95
	v_add_nc_u32_e32 v95, v26, v106
                                        ; implicit-def: $vgpr26
	s_delay_alu instid0(VALU_DEP_3)
	v_cmpx_ne_u32_e64 v104, v105
	s_xor_b32 s13, exec_lo, s13
; %bb.2372:                             ;   in Loop: Header=BB6_2329 Depth=4
	s_delay_alu instid0(VALU_DEP_2) | instskip(SKIP_2) | instid1(VALU_DEP_2)
	v_cmp_lt_u32_e32 vcc_lo, 0xffffff, v95
	v_sub_nc_u32_e32 v26, v104, v105
	v_cndmask_b32_e64 v104, 0, 1, vcc_lo
	v_add_co_ci_u32_e32 v26, vcc_lo, 0, v26, vcc_lo
	s_delay_alu instid0(VALU_DEP_2)
	v_lshrrev_b32_e32 v95, v104, v95
; %bb.2373:                             ;   in Loop: Header=BB6_2329 Depth=4
	s_and_not1_saveexec_b32 s13, s13
; %bb.2374:                             ;   in Loop: Header=BB6_2329 Depth=4
	s_delay_alu instid0(VALU_DEP_1)
	v_bfe_u32 v26, v95, 23, 1
; %bb.2375:                             ;   in Loop: Header=BB6_2329 Depth=4
	s_or_b32 exec_lo, exec_lo, s13
	v_lshrrev_b32_e32 v95, 20, v95
	s_delay_alu instid0(VALU_DEP_2) | instskip(SKIP_2) | instid1(VALU_DEP_2)
	v_cmp_gt_i32_e32 vcc_lo, 16, v26
	v_lshrrev_b32_e32 v94, 24, v94
	v_min_i32_e32 v104, 15, v26
	v_dual_cndmask_b32 v95, 7, v95 :: v_dual_and_b32 v94, 0x80, v94
	s_delay_alu instid0(VALU_DEP_2) | instskip(NEXT) | instid1(VALU_DEP_2)
	v_lshlrev_b32_e32 v104, 3, v104
	v_or_b32_e32 v26, v26, v95
	s_delay_alu instid0(VALU_DEP_1) | instskip(SKIP_1) | instid1(VALU_DEP_1)
	v_cmp_ne_u32_e32 vcc_lo, 0, v26
	v_and_b32_e32 v105, 7, v95
	v_or3_b32 v94, v104, v94, v105
	s_delay_alu instid0(VALU_DEP_1)
	v_cndmask_b32_e32 v26, 0, v94, vcc_lo
.LBB6_2376:                             ;   in Loop: Header=BB6_2329 Depth=4
	s_or_b32 exec_lo, exec_lo, s35
.LBB6_2377:                             ;   in Loop: Header=BB6_2329 Depth=4
	s_delay_alu instid0(SALU_CYCLE_1) | instskip(SKIP_3) | instid1(VALU_DEP_1)
	s_or_b32 exec_lo, exec_lo, s34
	v_and_b32_e32 v95, 0xff, v93
	s_mov_b32 s13, 0
	s_mov_b32 s35, exec_lo
                                        ; implicit-def: $sgpr34
	v_cmpx_lt_i16_e32 0x7f, v95
	s_xor_b32 s35, exec_lo, s35
	s_cbranch_execnz .LBB6_2863
; %bb.2378:                             ;   in Loop: Header=BB6_2329 Depth=4
	s_or_saveexec_b32 s35, s35
	v_mov_b32_e32 v94, s34
	s_xor_b32 exec_lo, exec_lo, s35
	s_cbranch_execnz .LBB6_2866
.LBB6_2379:                             ;   in Loop: Header=BB6_2329 Depth=4
	s_or_b32 exec_lo, exec_lo, s35
	s_and_saveexec_b32 s34, s13
	s_cbranch_execz .LBB6_2381
.LBB6_2380:                             ;   in Loop: Header=BB6_2329 Depth=4
	v_lshrrev_b16 v105, 3, v93
	s_delay_alu instid0(VALU_DEP_1) | instskip(NEXT) | instid1(VALU_DEP_1)
	v_and_b32_e32 v105, 15, v105
	v_cmp_eq_u32_e32 vcc_lo, 0, v105
	v_and_b32_e32 v94, 7, v93
	s_delay_alu instid0(VALU_DEP_1) | instskip(NEXT) | instid1(VALU_DEP_1)
	v_clz_i32_u32_e32 v95, v94
	v_min_u32_e32 v95, 32, v95
	s_delay_alu instid0(VALU_DEP_1) | instskip(SKIP_1) | instid1(VALU_DEP_1)
	v_subrev_nc_u32_e32 v104, 28, v95
	v_sub_nc_u32_e32 v95, 29, v95
	v_dual_cndmask_b32 v95, v105, v95 :: v_dual_lshlrev_b32 v104, v104, v93
	v_lshlrev_b32_e32 v93, 24, v93
	s_delay_alu instid0(VALU_DEP_2) | instskip(NEXT) | instid1(VALU_DEP_3)
	v_and_b32_e32 v104, 7, v104
	v_lshl_add_u32 v95, v95, 23, 0x3b800000
	s_delay_alu instid0(VALU_DEP_2) | instskip(NEXT) | instid1(VALU_DEP_1)
	v_dual_cndmask_b32 v94, v94, v104 :: v_dual_and_b32 v93, 0x80000000, v93
	v_lshlrev_b32_e32 v94, 20, v94
	s_delay_alu instid0(VALU_DEP_1)
	v_or3_b32 v94, v93, v95, v94
.LBB6_2381:                             ;   in Loop: Header=BB6_2329 Depth=4
	s_or_b32 exec_lo, exec_lo, s34
	s_waitcnt vmcnt(28) lgkmcnt(28)
	v_and_b32_e32 v95, 0xff, v33
	s_mov_b32 s13, 0
	s_mov_b32 s35, exec_lo
                                        ; implicit-def: $sgpr34
	s_delay_alu instid0(VALU_DEP_1)
	v_cmpx_lt_i16_e32 0x7f, v95
	s_xor_b32 s35, exec_lo, s35
	s_cbranch_execnz .LBB6_2867
; %bb.2382:                             ;   in Loop: Header=BB6_2329 Depth=4
	s_or_saveexec_b32 s35, s35
	v_mov_b32_e32 v93, s34
	s_xor_b32 exec_lo, exec_lo, s35
	s_cbranch_execnz .LBB6_2870
.LBB6_2383:                             ;   in Loop: Header=BB6_2329 Depth=4
	s_or_b32 exec_lo, exec_lo, s35
	s_and_saveexec_b32 s34, s13
	s_cbranch_execz .LBB6_2385
.LBB6_2384:                             ;   in Loop: Header=BB6_2329 Depth=4
	v_and_b32_e32 v93, 7, v33
	v_lshrrev_b16 v105, 3, v33
	s_delay_alu instid0(VALU_DEP_2) | instskip(NEXT) | instid1(VALU_DEP_2)
	v_clz_i32_u32_e32 v95, v93
	v_and_b32_e32 v105, 15, v105
	s_delay_alu instid0(VALU_DEP_2) | instskip(NEXT) | instid1(VALU_DEP_2)
	v_min_u32_e32 v95, 32, v95
	v_cmp_eq_u32_e32 vcc_lo, 0, v105
	s_delay_alu instid0(VALU_DEP_2) | instskip(SKIP_1) | instid1(VALU_DEP_1)
	v_subrev_nc_u32_e32 v104, 28, v95
	v_sub_nc_u32_e32 v95, 29, v95
	v_dual_cndmask_b32 v95, v105, v95 :: v_dual_lshlrev_b32 v104, v104, v33
	v_lshlrev_b32_e32 v33, 24, v33
	s_delay_alu instid0(VALU_DEP_2) | instskip(NEXT) | instid1(VALU_DEP_3)
	v_and_b32_e32 v104, 7, v104
	v_lshl_add_u32 v95, v95, 23, 0x3b800000
	s_delay_alu instid0(VALU_DEP_3) | instskip(NEXT) | instid1(VALU_DEP_3)
	v_and_b32_e32 v33, 0x80000000, v33
	v_cndmask_b32_e32 v93, v93, v104, vcc_lo
	s_delay_alu instid0(VALU_DEP_1) | instskip(NEXT) | instid1(VALU_DEP_1)
	v_lshlrev_b32_e32 v93, 20, v93
	v_or3_b32 v93, v33, v95, v93
.LBB6_2385:                             ;   in Loop: Header=BB6_2329 Depth=4
	s_or_b32 exec_lo, exec_lo, s34
	s_delay_alu instid0(VALU_DEP_1) | instskip(NEXT) | instid1(VALU_DEP_1)
	v_add_f32_e32 v93, v94, v93
	v_and_b32_e32 v33, 0x7f800000, v93
	s_delay_alu instid0(VALU_DEP_1)
	v_cmp_ne_u32_e32 vcc_lo, 0x7f800000, v33
	v_mov_b32_e32 v33, 0x80
	s_and_saveexec_b32 s34, vcc_lo
	s_cbranch_execz .LBB6_2393
; %bb.2386:                             ;   in Loop: Header=BB6_2329 Depth=4
	v_mov_b32_e32 v33, 0
	s_mov_b32 s35, exec_lo
	v_cmpx_ne_u32_e32 0, v93
	s_cbranch_execz .LBB6_2392
; %bb.2387:                             ;   in Loop: Header=BB6_2329 Depth=4
	v_bfe_u32 v33, v93, 23, 8
	s_delay_alu instid0(VALU_DEP_1) | instskip(SKIP_1) | instid1(VALU_DEP_2)
	v_sub_nc_u32_e32 v95, 0x78, v33
	v_cmp_gt_u32_e32 vcc_lo, 0x79, v33
	v_dual_cndmask_b32 v95, 0, v95 :: v_dual_and_b32 v94, 0x7fffff, v93
	s_delay_alu instid0(VALU_DEP_1) | instskip(SKIP_2) | instid1(VALU_DEP_4)
	v_or_b32_e32 v104, 0x800000, v94
	v_cmp_eq_u32_e32 vcc_lo, 0, v33
	v_add_nc_u32_e32 v33, 0xffffff89, v33
	v_cndmask_b32_e64 v95, v95, 0x77, vcc_lo
	s_delay_alu instid0(VALU_DEP_4) | instskip(NEXT) | instid1(VALU_DEP_3)
	v_cndmask_b32_e32 v94, v104, v94, vcc_lo
	v_cndmask_b32_e64 v33, v33, 0xffffff8a, vcc_lo
	s_delay_alu instid0(VALU_DEP_3) | instskip(NEXT) | instid1(VALU_DEP_3)
	v_lshl_add_u32 v104, 0x100000, v95, -1
	v_lshrrev_b32_e32 v105, v95, v94
	v_lshlrev_b32_e64 v107, v95, 0x80000
	s_delay_alu instid0(VALU_DEP_4) | instskip(NEXT) | instid1(VALU_DEP_4)
	v_add_nc_u32_e32 v95, v95, v33
	v_and_b32_e32 v94, v104, v94
	s_delay_alu instid0(VALU_DEP_4) | instskip(NEXT) | instid1(VALU_DEP_2)
	v_bfe_u32 v106, v105, 20, 1
	v_cmp_eq_u32_e64 s13, v94, v107
	s_delay_alu instid0(VALU_DEP_2) | instskip(NEXT) | instid1(VALU_DEP_1)
	v_add_nc_u32_e32 v104, -1, v106
	v_cndmask_b32_e64 v94, 0, v104, s13
	v_lshrrev_b32_e32 v104, 23, v105
	s_mov_b32 s13, exec_lo
	s_delay_alu instid0(VALU_DEP_2) | instskip(NEXT) | instid1(VALU_DEP_2)
	v_add_nc_u32_e32 v94, v94, v105
	v_xor_b32_e32 v104, 1, v104
	s_delay_alu instid0(VALU_DEP_2) | instskip(NEXT) | instid1(VALU_DEP_1)
	v_and_b32_e32 v33, 0xfffff, v94
	v_add_nc_u32_e32 v94, v33, v105
                                        ; implicit-def: $vgpr33
	s_delay_alu instid0(VALU_DEP_3)
	v_cmpx_ne_u32_e64 v95, v104
	s_xor_b32 s13, exec_lo, s13
; %bb.2388:                             ;   in Loop: Header=BB6_2329 Depth=4
	s_delay_alu instid0(VALU_DEP_2) | instskip(SKIP_2) | instid1(VALU_DEP_2)
	v_cmp_lt_u32_e32 vcc_lo, 0xffffff, v94
	v_sub_nc_u32_e32 v33, v95, v104
	v_cndmask_b32_e64 v95, 0, 1, vcc_lo
	v_add_co_ci_u32_e32 v33, vcc_lo, 0, v33, vcc_lo
	s_delay_alu instid0(VALU_DEP_2)
	v_lshrrev_b32_e32 v94, v95, v94
; %bb.2389:                             ;   in Loop: Header=BB6_2329 Depth=4
	s_and_not1_saveexec_b32 s13, s13
; %bb.2390:                             ;   in Loop: Header=BB6_2329 Depth=4
	s_delay_alu instid0(VALU_DEP_1)
	v_bfe_u32 v33, v94, 23, 1
; %bb.2391:                             ;   in Loop: Header=BB6_2329 Depth=4
	s_or_b32 exec_lo, exec_lo, s13
	v_lshrrev_b32_e32 v94, 20, v94
	s_delay_alu instid0(VALU_DEP_2) | instskip(SKIP_2) | instid1(VALU_DEP_2)
	v_cmp_gt_i32_e32 vcc_lo, 16, v33
	v_lshrrev_b32_e32 v93, 24, v93
	v_min_i32_e32 v95, 15, v33
	v_dual_cndmask_b32 v94, 7, v94 :: v_dual_and_b32 v93, 0x80, v93
	s_delay_alu instid0(VALU_DEP_2) | instskip(NEXT) | instid1(VALU_DEP_2)
	v_lshlrev_b32_e32 v95, 3, v95
	v_or_b32_e32 v33, v33, v94
	s_delay_alu instid0(VALU_DEP_1) | instskip(SKIP_1) | instid1(VALU_DEP_1)
	v_cmp_ne_u32_e32 vcc_lo, 0, v33
	v_and_b32_e32 v104, 7, v94
	v_or3_b32 v93, v95, v93, v104
	s_delay_alu instid0(VALU_DEP_1)
	v_cndmask_b32_e32 v33, 0, v93, vcc_lo
.LBB6_2392:                             ;   in Loop: Header=BB6_2329 Depth=4
	s_or_b32 exec_lo, exec_lo, s35
.LBB6_2393:                             ;   in Loop: Header=BB6_2329 Depth=4
	s_delay_alu instid0(SALU_CYCLE_1) | instskip(SKIP_3) | instid1(VALU_DEP_1)
	s_or_b32 exec_lo, exec_lo, s34
	v_and_b32_e32 v94, 0xff, v92
	s_mov_b32 s13, 0
	s_mov_b32 s35, exec_lo
                                        ; implicit-def: $sgpr34
	v_cmpx_lt_i16_e32 0x7f, v94
	s_xor_b32 s35, exec_lo, s35
	s_cbranch_execnz .LBB6_2871
; %bb.2394:                             ;   in Loop: Header=BB6_2329 Depth=4
	s_or_saveexec_b32 s35, s35
	v_mov_b32_e32 v93, s34
	s_xor_b32 exec_lo, exec_lo, s35
	s_cbranch_execnz .LBB6_2874
.LBB6_2395:                             ;   in Loop: Header=BB6_2329 Depth=4
	s_or_b32 exec_lo, exec_lo, s35
	s_and_saveexec_b32 s34, s13
	s_cbranch_execz .LBB6_2397
.LBB6_2396:                             ;   in Loop: Header=BB6_2329 Depth=4
	v_lshrrev_b16 v104, 3, v92
	s_delay_alu instid0(VALU_DEP_1) | instskip(NEXT) | instid1(VALU_DEP_1)
	v_and_b32_e32 v104, 15, v104
	v_cmp_eq_u32_e32 vcc_lo, 0, v104
	v_and_b32_e32 v93, 7, v92
	s_delay_alu instid0(VALU_DEP_1) | instskip(NEXT) | instid1(VALU_DEP_1)
	v_clz_i32_u32_e32 v94, v93
	v_min_u32_e32 v94, 32, v94
	s_delay_alu instid0(VALU_DEP_1) | instskip(SKIP_1) | instid1(VALU_DEP_1)
	v_subrev_nc_u32_e32 v95, 28, v94
	v_sub_nc_u32_e32 v94, 29, v94
	v_dual_cndmask_b32 v94, v104, v94 :: v_dual_lshlrev_b32 v95, v95, v92
	v_lshlrev_b32_e32 v92, 24, v92
	s_delay_alu instid0(VALU_DEP_2) | instskip(NEXT) | instid1(VALU_DEP_3)
	v_and_b32_e32 v95, 7, v95
	v_lshl_add_u32 v94, v94, 23, 0x3b800000
	s_delay_alu instid0(VALU_DEP_2) | instskip(NEXT) | instid1(VALU_DEP_1)
	v_dual_cndmask_b32 v93, v93, v95 :: v_dual_and_b32 v92, 0x80000000, v92
	v_lshlrev_b32_e32 v93, 20, v93
	s_delay_alu instid0(VALU_DEP_1)
	v_or3_b32 v93, v92, v94, v93
.LBB6_2397:                             ;   in Loop: Header=BB6_2329 Depth=4
	s_or_b32 exec_lo, exec_lo, s34
	s_waitcnt vmcnt(27) lgkmcnt(27)
	v_and_b32_e32 v94, 0xff, v36
	s_mov_b32 s13, 0
	s_mov_b32 s35, exec_lo
                                        ; implicit-def: $sgpr34
	s_delay_alu instid0(VALU_DEP_1)
	v_cmpx_lt_i16_e32 0x7f, v94
	s_xor_b32 s35, exec_lo, s35
	s_cbranch_execnz .LBB6_2875
; %bb.2398:                             ;   in Loop: Header=BB6_2329 Depth=4
	s_or_saveexec_b32 s35, s35
	v_mov_b32_e32 v92, s34
	s_xor_b32 exec_lo, exec_lo, s35
	s_cbranch_execnz .LBB6_2878
.LBB6_2399:                             ;   in Loop: Header=BB6_2329 Depth=4
	s_or_b32 exec_lo, exec_lo, s35
	s_and_saveexec_b32 s34, s13
	s_cbranch_execz .LBB6_2401
.LBB6_2400:                             ;   in Loop: Header=BB6_2329 Depth=4
	v_and_b32_e32 v92, 7, v36
	v_lshrrev_b16 v104, 3, v36
	s_delay_alu instid0(VALU_DEP_2) | instskip(NEXT) | instid1(VALU_DEP_2)
	v_clz_i32_u32_e32 v94, v92
	v_and_b32_e32 v104, 15, v104
	s_delay_alu instid0(VALU_DEP_2) | instskip(NEXT) | instid1(VALU_DEP_2)
	v_min_u32_e32 v94, 32, v94
	v_cmp_eq_u32_e32 vcc_lo, 0, v104
	s_delay_alu instid0(VALU_DEP_2) | instskip(SKIP_1) | instid1(VALU_DEP_1)
	v_subrev_nc_u32_e32 v95, 28, v94
	v_sub_nc_u32_e32 v94, 29, v94
	v_dual_cndmask_b32 v94, v104, v94 :: v_dual_lshlrev_b32 v95, v95, v36
	v_lshlrev_b32_e32 v36, 24, v36
	s_delay_alu instid0(VALU_DEP_2) | instskip(NEXT) | instid1(VALU_DEP_3)
	v_and_b32_e32 v95, 7, v95
	v_lshl_add_u32 v94, v94, 23, 0x3b800000
	s_delay_alu instid0(VALU_DEP_3) | instskip(NEXT) | instid1(VALU_DEP_3)
	v_and_b32_e32 v36, 0x80000000, v36
	v_cndmask_b32_e32 v92, v92, v95, vcc_lo
	s_delay_alu instid0(VALU_DEP_1) | instskip(NEXT) | instid1(VALU_DEP_1)
	v_lshlrev_b32_e32 v92, 20, v92
	v_or3_b32 v92, v36, v94, v92
.LBB6_2401:                             ;   in Loop: Header=BB6_2329 Depth=4
	s_or_b32 exec_lo, exec_lo, s34
	s_delay_alu instid0(VALU_DEP_1) | instskip(NEXT) | instid1(VALU_DEP_1)
	v_add_f32_e32 v92, v93, v92
	v_and_b32_e32 v36, 0x7f800000, v92
	s_delay_alu instid0(VALU_DEP_1)
	v_cmp_ne_u32_e32 vcc_lo, 0x7f800000, v36
	v_mov_b32_e32 v36, 0x80
	s_and_saveexec_b32 s34, vcc_lo
	s_cbranch_execz .LBB6_2409
; %bb.2402:                             ;   in Loop: Header=BB6_2329 Depth=4
	v_mov_b32_e32 v36, 0
	s_mov_b32 s35, exec_lo
	v_cmpx_ne_u32_e32 0, v92
	s_cbranch_execz .LBB6_2408
; %bb.2403:                             ;   in Loop: Header=BB6_2329 Depth=4
	v_bfe_u32 v36, v92, 23, 8
	s_delay_alu instid0(VALU_DEP_1) | instskip(SKIP_1) | instid1(VALU_DEP_2)
	v_sub_nc_u32_e32 v94, 0x78, v36
	v_cmp_gt_u32_e32 vcc_lo, 0x79, v36
	v_dual_cndmask_b32 v94, 0, v94 :: v_dual_and_b32 v93, 0x7fffff, v92
	s_delay_alu instid0(VALU_DEP_1) | instskip(SKIP_2) | instid1(VALU_DEP_4)
	v_or_b32_e32 v95, 0x800000, v93
	v_cmp_eq_u32_e32 vcc_lo, 0, v36
	v_add_nc_u32_e32 v36, 0xffffff89, v36
	v_cndmask_b32_e64 v94, v94, 0x77, vcc_lo
	s_delay_alu instid0(VALU_DEP_4) | instskip(NEXT) | instid1(VALU_DEP_3)
	v_cndmask_b32_e32 v93, v95, v93, vcc_lo
	v_cndmask_b32_e64 v36, v36, 0xffffff8a, vcc_lo
	s_delay_alu instid0(VALU_DEP_3) | instskip(NEXT) | instid1(VALU_DEP_3)
	v_lshl_add_u32 v95, 0x100000, v94, -1
	v_lshrrev_b32_e32 v104, v94, v93
	v_lshlrev_b32_e64 v106, v94, 0x80000
	s_delay_alu instid0(VALU_DEP_4) | instskip(NEXT) | instid1(VALU_DEP_4)
	v_add_nc_u32_e32 v94, v94, v36
	v_and_b32_e32 v93, v95, v93
	s_delay_alu instid0(VALU_DEP_4) | instskip(NEXT) | instid1(VALU_DEP_2)
	v_bfe_u32 v105, v104, 20, 1
	v_cmp_eq_u32_e64 s13, v93, v106
	s_delay_alu instid0(VALU_DEP_2) | instskip(NEXT) | instid1(VALU_DEP_1)
	v_add_nc_u32_e32 v95, -1, v105
	v_cndmask_b32_e64 v93, 0, v95, s13
	v_lshrrev_b32_e32 v95, 23, v104
	s_mov_b32 s13, exec_lo
	s_delay_alu instid0(VALU_DEP_2) | instskip(NEXT) | instid1(VALU_DEP_2)
	v_add_nc_u32_e32 v93, v93, v104
	v_xor_b32_e32 v95, 1, v95
	s_delay_alu instid0(VALU_DEP_2) | instskip(NEXT) | instid1(VALU_DEP_1)
	v_and_b32_e32 v36, 0xfffff, v93
	v_add_nc_u32_e32 v93, v36, v104
                                        ; implicit-def: $vgpr36
	s_delay_alu instid0(VALU_DEP_3)
	v_cmpx_ne_u32_e64 v94, v95
	s_xor_b32 s13, exec_lo, s13
; %bb.2404:                             ;   in Loop: Header=BB6_2329 Depth=4
	s_delay_alu instid0(VALU_DEP_2) | instskip(SKIP_2) | instid1(VALU_DEP_2)
	v_cmp_lt_u32_e32 vcc_lo, 0xffffff, v93
	v_sub_nc_u32_e32 v36, v94, v95
	v_cndmask_b32_e64 v94, 0, 1, vcc_lo
	v_add_co_ci_u32_e32 v36, vcc_lo, 0, v36, vcc_lo
	s_delay_alu instid0(VALU_DEP_2)
	v_lshrrev_b32_e32 v93, v94, v93
; %bb.2405:                             ;   in Loop: Header=BB6_2329 Depth=4
	s_and_not1_saveexec_b32 s13, s13
; %bb.2406:                             ;   in Loop: Header=BB6_2329 Depth=4
	s_delay_alu instid0(VALU_DEP_1)
	v_bfe_u32 v36, v93, 23, 1
; %bb.2407:                             ;   in Loop: Header=BB6_2329 Depth=4
	s_or_b32 exec_lo, exec_lo, s13
	v_lshrrev_b32_e32 v93, 20, v93
	s_delay_alu instid0(VALU_DEP_2) | instskip(SKIP_2) | instid1(VALU_DEP_2)
	v_cmp_gt_i32_e32 vcc_lo, 16, v36
	v_lshrrev_b32_e32 v92, 24, v92
	v_min_i32_e32 v94, 15, v36
	v_dual_cndmask_b32 v93, 7, v93 :: v_dual_and_b32 v92, 0x80, v92
	s_delay_alu instid0(VALU_DEP_2) | instskip(NEXT) | instid1(VALU_DEP_2)
	v_lshlrev_b32_e32 v94, 3, v94
	v_or_b32_e32 v36, v36, v93
	s_delay_alu instid0(VALU_DEP_1) | instskip(SKIP_1) | instid1(VALU_DEP_1)
	v_cmp_ne_u32_e32 vcc_lo, 0, v36
	v_and_b32_e32 v95, 7, v93
	v_or3_b32 v92, v94, v92, v95
	s_delay_alu instid0(VALU_DEP_1)
	v_cndmask_b32_e32 v36, 0, v92, vcc_lo
.LBB6_2408:                             ;   in Loop: Header=BB6_2329 Depth=4
	s_or_b32 exec_lo, exec_lo, s35
.LBB6_2409:                             ;   in Loop: Header=BB6_2329 Depth=4
	s_delay_alu instid0(SALU_CYCLE_1) | instskip(SKIP_3) | instid1(VALU_DEP_1)
	s_or_b32 exec_lo, exec_lo, s34
	v_and_b32_e32 v93, 0xff, v91
	s_mov_b32 s13, 0
	s_mov_b32 s35, exec_lo
                                        ; implicit-def: $sgpr34
	v_cmpx_lt_i16_e32 0x7f, v93
	s_xor_b32 s35, exec_lo, s35
	s_cbranch_execnz .LBB6_2879
; %bb.2410:                             ;   in Loop: Header=BB6_2329 Depth=4
	s_or_saveexec_b32 s35, s35
	v_mov_b32_e32 v92, s34
	s_xor_b32 exec_lo, exec_lo, s35
	s_cbranch_execnz .LBB6_2882
.LBB6_2411:                             ;   in Loop: Header=BB6_2329 Depth=4
	s_or_b32 exec_lo, exec_lo, s35
	s_and_saveexec_b32 s34, s13
	s_cbranch_execz .LBB6_2413
.LBB6_2412:                             ;   in Loop: Header=BB6_2329 Depth=4
	v_lshrrev_b16 v95, 3, v91
	s_delay_alu instid0(VALU_DEP_1) | instskip(NEXT) | instid1(VALU_DEP_1)
	v_and_b32_e32 v95, 15, v95
	v_cmp_eq_u32_e32 vcc_lo, 0, v95
	v_and_b32_e32 v92, 7, v91
	s_delay_alu instid0(VALU_DEP_1) | instskip(NEXT) | instid1(VALU_DEP_1)
	v_clz_i32_u32_e32 v93, v92
	v_min_u32_e32 v93, 32, v93
	s_delay_alu instid0(VALU_DEP_1) | instskip(SKIP_1) | instid1(VALU_DEP_1)
	v_subrev_nc_u32_e32 v94, 28, v93
	v_sub_nc_u32_e32 v93, 29, v93
	v_dual_cndmask_b32 v93, v95, v93 :: v_dual_lshlrev_b32 v94, v94, v91
	v_lshlrev_b32_e32 v91, 24, v91
	s_delay_alu instid0(VALU_DEP_2) | instskip(NEXT) | instid1(VALU_DEP_3)
	v_and_b32_e32 v94, 7, v94
	v_lshl_add_u32 v93, v93, 23, 0x3b800000
	s_delay_alu instid0(VALU_DEP_2) | instskip(NEXT) | instid1(VALU_DEP_1)
	v_dual_cndmask_b32 v92, v92, v94 :: v_dual_and_b32 v91, 0x80000000, v91
	v_lshlrev_b32_e32 v92, 20, v92
	s_delay_alu instid0(VALU_DEP_1)
	v_or3_b32 v92, v91, v93, v92
.LBB6_2413:                             ;   in Loop: Header=BB6_2329 Depth=4
	s_or_b32 exec_lo, exec_lo, s34
	s_waitcnt vmcnt(26) lgkmcnt(26)
	v_and_b32_e32 v93, 0xff, v39
	s_mov_b32 s13, 0
	s_mov_b32 s35, exec_lo
                                        ; implicit-def: $sgpr34
	s_delay_alu instid0(VALU_DEP_1)
	v_cmpx_lt_i16_e32 0x7f, v93
	s_xor_b32 s35, exec_lo, s35
	s_cbranch_execnz .LBB6_2883
; %bb.2414:                             ;   in Loop: Header=BB6_2329 Depth=4
	s_or_saveexec_b32 s35, s35
	v_mov_b32_e32 v91, s34
	s_xor_b32 exec_lo, exec_lo, s35
	s_cbranch_execnz .LBB6_2886
.LBB6_2415:                             ;   in Loop: Header=BB6_2329 Depth=4
	s_or_b32 exec_lo, exec_lo, s35
	s_and_saveexec_b32 s34, s13
	s_cbranch_execz .LBB6_2417
.LBB6_2416:                             ;   in Loop: Header=BB6_2329 Depth=4
	v_and_b32_e32 v91, 7, v39
	v_lshrrev_b16 v95, 3, v39
	s_delay_alu instid0(VALU_DEP_2) | instskip(NEXT) | instid1(VALU_DEP_2)
	v_clz_i32_u32_e32 v93, v91
	v_and_b32_e32 v95, 15, v95
	s_delay_alu instid0(VALU_DEP_2) | instskip(NEXT) | instid1(VALU_DEP_2)
	v_min_u32_e32 v93, 32, v93
	v_cmp_eq_u32_e32 vcc_lo, 0, v95
	s_delay_alu instid0(VALU_DEP_2) | instskip(SKIP_1) | instid1(VALU_DEP_1)
	v_subrev_nc_u32_e32 v94, 28, v93
	v_sub_nc_u32_e32 v93, 29, v93
	v_dual_cndmask_b32 v93, v95, v93 :: v_dual_lshlrev_b32 v94, v94, v39
	v_lshlrev_b32_e32 v39, 24, v39
	s_delay_alu instid0(VALU_DEP_2) | instskip(NEXT) | instid1(VALU_DEP_3)
	v_and_b32_e32 v94, 7, v94
	v_lshl_add_u32 v93, v93, 23, 0x3b800000
	s_delay_alu instid0(VALU_DEP_3) | instskip(NEXT) | instid1(VALU_DEP_3)
	v_and_b32_e32 v39, 0x80000000, v39
	v_cndmask_b32_e32 v91, v91, v94, vcc_lo
	s_delay_alu instid0(VALU_DEP_1) | instskip(NEXT) | instid1(VALU_DEP_1)
	v_lshlrev_b32_e32 v91, 20, v91
	v_or3_b32 v91, v39, v93, v91
.LBB6_2417:                             ;   in Loop: Header=BB6_2329 Depth=4
	s_or_b32 exec_lo, exec_lo, s34
	s_delay_alu instid0(VALU_DEP_1) | instskip(NEXT) | instid1(VALU_DEP_1)
	v_add_f32_e32 v91, v92, v91
	v_and_b32_e32 v39, 0x7f800000, v91
	s_delay_alu instid0(VALU_DEP_1)
	v_cmp_ne_u32_e32 vcc_lo, 0x7f800000, v39
	v_mov_b32_e32 v39, 0x80
	s_and_saveexec_b32 s34, vcc_lo
	s_cbranch_execz .LBB6_2425
; %bb.2418:                             ;   in Loop: Header=BB6_2329 Depth=4
	v_mov_b32_e32 v39, 0
	s_mov_b32 s35, exec_lo
	v_cmpx_ne_u32_e32 0, v91
	s_cbranch_execz .LBB6_2424
; %bb.2419:                             ;   in Loop: Header=BB6_2329 Depth=4
	v_bfe_u32 v39, v91, 23, 8
	s_delay_alu instid0(VALU_DEP_1) | instskip(SKIP_1) | instid1(VALU_DEP_2)
	v_sub_nc_u32_e32 v93, 0x78, v39
	v_cmp_gt_u32_e32 vcc_lo, 0x79, v39
	v_dual_cndmask_b32 v93, 0, v93 :: v_dual_and_b32 v92, 0x7fffff, v91
	s_delay_alu instid0(VALU_DEP_1) | instskip(SKIP_2) | instid1(VALU_DEP_4)
	v_or_b32_e32 v94, 0x800000, v92
	v_cmp_eq_u32_e32 vcc_lo, 0, v39
	v_add_nc_u32_e32 v39, 0xffffff89, v39
	v_cndmask_b32_e64 v93, v93, 0x77, vcc_lo
	s_delay_alu instid0(VALU_DEP_4) | instskip(NEXT) | instid1(VALU_DEP_3)
	v_cndmask_b32_e32 v92, v94, v92, vcc_lo
	v_cndmask_b32_e64 v39, v39, 0xffffff8a, vcc_lo
	s_delay_alu instid0(VALU_DEP_3) | instskip(NEXT) | instid1(VALU_DEP_3)
	v_lshl_add_u32 v94, 0x100000, v93, -1
	v_lshrrev_b32_e32 v95, v93, v92
	v_lshlrev_b32_e64 v105, v93, 0x80000
	s_delay_alu instid0(VALU_DEP_4) | instskip(NEXT) | instid1(VALU_DEP_4)
	v_add_nc_u32_e32 v93, v93, v39
	v_and_b32_e32 v92, v94, v92
	s_delay_alu instid0(VALU_DEP_4) | instskip(NEXT) | instid1(VALU_DEP_2)
	v_bfe_u32 v104, v95, 20, 1
	v_cmp_eq_u32_e64 s13, v92, v105
	s_delay_alu instid0(VALU_DEP_2) | instskip(NEXT) | instid1(VALU_DEP_1)
	v_add_nc_u32_e32 v94, -1, v104
	v_cndmask_b32_e64 v92, 0, v94, s13
	v_lshrrev_b32_e32 v94, 23, v95
	s_mov_b32 s13, exec_lo
	s_delay_alu instid0(VALU_DEP_2) | instskip(NEXT) | instid1(VALU_DEP_2)
	v_add_nc_u32_e32 v92, v92, v95
	v_xor_b32_e32 v94, 1, v94
	s_delay_alu instid0(VALU_DEP_2) | instskip(NEXT) | instid1(VALU_DEP_1)
	v_and_b32_e32 v39, 0xfffff, v92
	v_add_nc_u32_e32 v92, v39, v95
                                        ; implicit-def: $vgpr39
	s_delay_alu instid0(VALU_DEP_3)
	v_cmpx_ne_u32_e64 v93, v94
	s_xor_b32 s13, exec_lo, s13
; %bb.2420:                             ;   in Loop: Header=BB6_2329 Depth=4
	s_delay_alu instid0(VALU_DEP_2) | instskip(SKIP_2) | instid1(VALU_DEP_2)
	v_cmp_lt_u32_e32 vcc_lo, 0xffffff, v92
	v_sub_nc_u32_e32 v39, v93, v94
	v_cndmask_b32_e64 v93, 0, 1, vcc_lo
	v_add_co_ci_u32_e32 v39, vcc_lo, 0, v39, vcc_lo
	s_delay_alu instid0(VALU_DEP_2)
	v_lshrrev_b32_e32 v92, v93, v92
; %bb.2421:                             ;   in Loop: Header=BB6_2329 Depth=4
	s_and_not1_saveexec_b32 s13, s13
; %bb.2422:                             ;   in Loop: Header=BB6_2329 Depth=4
	s_delay_alu instid0(VALU_DEP_1)
	v_bfe_u32 v39, v92, 23, 1
; %bb.2423:                             ;   in Loop: Header=BB6_2329 Depth=4
	s_or_b32 exec_lo, exec_lo, s13
	v_lshrrev_b32_e32 v92, 20, v92
	s_delay_alu instid0(VALU_DEP_2) | instskip(SKIP_2) | instid1(VALU_DEP_2)
	v_cmp_gt_i32_e32 vcc_lo, 16, v39
	v_lshrrev_b32_e32 v91, 24, v91
	v_min_i32_e32 v93, 15, v39
	v_dual_cndmask_b32 v92, 7, v92 :: v_dual_and_b32 v91, 0x80, v91
	s_delay_alu instid0(VALU_DEP_2) | instskip(NEXT) | instid1(VALU_DEP_2)
	v_lshlrev_b32_e32 v93, 3, v93
	v_or_b32_e32 v39, v39, v92
	s_delay_alu instid0(VALU_DEP_1) | instskip(SKIP_1) | instid1(VALU_DEP_1)
	v_cmp_ne_u32_e32 vcc_lo, 0, v39
	v_and_b32_e32 v94, 7, v92
	v_or3_b32 v91, v93, v91, v94
	s_delay_alu instid0(VALU_DEP_1)
	v_cndmask_b32_e32 v39, 0, v91, vcc_lo
.LBB6_2424:                             ;   in Loop: Header=BB6_2329 Depth=4
	s_or_b32 exec_lo, exec_lo, s35
.LBB6_2425:                             ;   in Loop: Header=BB6_2329 Depth=4
	s_delay_alu instid0(SALU_CYCLE_1) | instskip(SKIP_3) | instid1(VALU_DEP_1)
	s_or_b32 exec_lo, exec_lo, s34
	v_and_b32_e32 v92, 0xff, v90
	s_mov_b32 s13, 0
	s_mov_b32 s35, exec_lo
                                        ; implicit-def: $sgpr34
	v_cmpx_lt_i16_e32 0x7f, v92
	s_xor_b32 s35, exec_lo, s35
	s_cbranch_execnz .LBB6_2887
; %bb.2426:                             ;   in Loop: Header=BB6_2329 Depth=4
	s_or_saveexec_b32 s35, s35
	v_mov_b32_e32 v91, s34
	s_xor_b32 exec_lo, exec_lo, s35
	s_cbranch_execnz .LBB6_2890
.LBB6_2427:                             ;   in Loop: Header=BB6_2329 Depth=4
	s_or_b32 exec_lo, exec_lo, s35
	s_and_saveexec_b32 s34, s13
	s_cbranch_execz .LBB6_2429
.LBB6_2428:                             ;   in Loop: Header=BB6_2329 Depth=4
	v_lshrrev_b16 v94, 3, v90
	s_delay_alu instid0(VALU_DEP_1) | instskip(NEXT) | instid1(VALU_DEP_1)
	v_and_b32_e32 v94, 15, v94
	v_cmp_eq_u32_e32 vcc_lo, 0, v94
	v_and_b32_e32 v91, 7, v90
	s_delay_alu instid0(VALU_DEP_1) | instskip(NEXT) | instid1(VALU_DEP_1)
	v_clz_i32_u32_e32 v92, v91
	v_min_u32_e32 v92, 32, v92
	s_delay_alu instid0(VALU_DEP_1) | instskip(SKIP_1) | instid1(VALU_DEP_1)
	v_subrev_nc_u32_e32 v93, 28, v92
	v_sub_nc_u32_e32 v92, 29, v92
	v_dual_cndmask_b32 v92, v94, v92 :: v_dual_lshlrev_b32 v93, v93, v90
	v_lshlrev_b32_e32 v90, 24, v90
	s_delay_alu instid0(VALU_DEP_2) | instskip(NEXT) | instid1(VALU_DEP_3)
	v_and_b32_e32 v93, 7, v93
	v_lshl_add_u32 v92, v92, 23, 0x3b800000
	s_delay_alu instid0(VALU_DEP_2) | instskip(NEXT) | instid1(VALU_DEP_1)
	v_dual_cndmask_b32 v91, v91, v93 :: v_dual_and_b32 v90, 0x80000000, v90
	v_lshlrev_b32_e32 v91, 20, v91
	s_delay_alu instid0(VALU_DEP_1)
	v_or3_b32 v91, v90, v92, v91
.LBB6_2429:                             ;   in Loop: Header=BB6_2329 Depth=4
	s_or_b32 exec_lo, exec_lo, s34
	s_waitcnt vmcnt(25) lgkmcnt(25)
	v_and_b32_e32 v92, 0xff, v50
	s_mov_b32 s13, 0
	s_mov_b32 s35, exec_lo
                                        ; implicit-def: $sgpr34
	s_delay_alu instid0(VALU_DEP_1)
	v_cmpx_lt_i16_e32 0x7f, v92
	s_xor_b32 s35, exec_lo, s35
	s_cbranch_execnz .LBB6_2891
; %bb.2430:                             ;   in Loop: Header=BB6_2329 Depth=4
	s_or_saveexec_b32 s35, s35
	v_mov_b32_e32 v90, s34
	s_xor_b32 exec_lo, exec_lo, s35
	s_cbranch_execnz .LBB6_2894
.LBB6_2431:                             ;   in Loop: Header=BB6_2329 Depth=4
	s_or_b32 exec_lo, exec_lo, s35
	s_and_saveexec_b32 s34, s13
	s_cbranch_execz .LBB6_2433
.LBB6_2432:                             ;   in Loop: Header=BB6_2329 Depth=4
	v_and_b32_e32 v90, 7, v50
	v_lshrrev_b16 v94, 3, v50
	s_delay_alu instid0(VALU_DEP_2) | instskip(NEXT) | instid1(VALU_DEP_2)
	v_clz_i32_u32_e32 v92, v90
	v_and_b32_e32 v94, 15, v94
	s_delay_alu instid0(VALU_DEP_2) | instskip(NEXT) | instid1(VALU_DEP_2)
	v_min_u32_e32 v92, 32, v92
	v_cmp_eq_u32_e32 vcc_lo, 0, v94
	s_delay_alu instid0(VALU_DEP_2) | instskip(SKIP_1) | instid1(VALU_DEP_1)
	v_subrev_nc_u32_e32 v93, 28, v92
	v_sub_nc_u32_e32 v92, 29, v92
	v_dual_cndmask_b32 v92, v94, v92 :: v_dual_lshlrev_b32 v93, v93, v50
	v_lshlrev_b32_e32 v50, 24, v50
	s_delay_alu instid0(VALU_DEP_2) | instskip(NEXT) | instid1(VALU_DEP_3)
	v_and_b32_e32 v93, 7, v93
	v_lshl_add_u32 v92, v92, 23, 0x3b800000
	s_delay_alu instid0(VALU_DEP_3) | instskip(NEXT) | instid1(VALU_DEP_3)
	v_and_b32_e32 v50, 0x80000000, v50
	v_cndmask_b32_e32 v90, v90, v93, vcc_lo
	s_delay_alu instid0(VALU_DEP_1) | instskip(NEXT) | instid1(VALU_DEP_1)
	v_lshlrev_b32_e32 v90, 20, v90
	v_or3_b32 v90, v50, v92, v90
.LBB6_2433:                             ;   in Loop: Header=BB6_2329 Depth=4
	s_or_b32 exec_lo, exec_lo, s34
	s_delay_alu instid0(VALU_DEP_1) | instskip(NEXT) | instid1(VALU_DEP_1)
	v_add_f32_e32 v90, v91, v90
	v_and_b32_e32 v50, 0x7f800000, v90
	s_delay_alu instid0(VALU_DEP_1)
	v_cmp_ne_u32_e32 vcc_lo, 0x7f800000, v50
	v_mov_b32_e32 v50, 0x80
	s_and_saveexec_b32 s34, vcc_lo
	s_cbranch_execz .LBB6_2441
; %bb.2434:                             ;   in Loop: Header=BB6_2329 Depth=4
	v_mov_b32_e32 v50, 0
	s_mov_b32 s35, exec_lo
	v_cmpx_ne_u32_e32 0, v90
	s_cbranch_execz .LBB6_2440
; %bb.2435:                             ;   in Loop: Header=BB6_2329 Depth=4
	v_bfe_u32 v50, v90, 23, 8
	s_delay_alu instid0(VALU_DEP_1) | instskip(SKIP_1) | instid1(VALU_DEP_2)
	v_sub_nc_u32_e32 v92, 0x78, v50
	v_cmp_gt_u32_e32 vcc_lo, 0x79, v50
	v_dual_cndmask_b32 v92, 0, v92 :: v_dual_and_b32 v91, 0x7fffff, v90
	s_delay_alu instid0(VALU_DEP_1) | instskip(SKIP_2) | instid1(VALU_DEP_4)
	v_or_b32_e32 v93, 0x800000, v91
	v_cmp_eq_u32_e32 vcc_lo, 0, v50
	v_add_nc_u32_e32 v50, 0xffffff89, v50
	v_cndmask_b32_e64 v92, v92, 0x77, vcc_lo
	s_delay_alu instid0(VALU_DEP_4) | instskip(NEXT) | instid1(VALU_DEP_3)
	v_cndmask_b32_e32 v91, v93, v91, vcc_lo
	v_cndmask_b32_e64 v50, v50, 0xffffff8a, vcc_lo
	s_delay_alu instid0(VALU_DEP_3) | instskip(NEXT) | instid1(VALU_DEP_3)
	v_lshl_add_u32 v93, 0x100000, v92, -1
	v_lshrrev_b32_e32 v94, v92, v91
	v_lshlrev_b32_e64 v104, v92, 0x80000
	s_delay_alu instid0(VALU_DEP_4) | instskip(NEXT) | instid1(VALU_DEP_4)
	v_add_nc_u32_e32 v92, v92, v50
	v_and_b32_e32 v91, v93, v91
	s_delay_alu instid0(VALU_DEP_4) | instskip(NEXT) | instid1(VALU_DEP_2)
	v_bfe_u32 v95, v94, 20, 1
	v_cmp_eq_u32_e64 s13, v91, v104
	s_delay_alu instid0(VALU_DEP_2) | instskip(NEXT) | instid1(VALU_DEP_1)
	v_add_nc_u32_e32 v93, -1, v95
	v_cndmask_b32_e64 v91, 0, v93, s13
	v_lshrrev_b32_e32 v93, 23, v94
	s_mov_b32 s13, exec_lo
	s_delay_alu instid0(VALU_DEP_2) | instskip(NEXT) | instid1(VALU_DEP_2)
	v_add_nc_u32_e32 v91, v91, v94
	v_xor_b32_e32 v93, 1, v93
	s_delay_alu instid0(VALU_DEP_2) | instskip(NEXT) | instid1(VALU_DEP_1)
	v_and_b32_e32 v50, 0xfffff, v91
	v_add_nc_u32_e32 v91, v50, v94
                                        ; implicit-def: $vgpr50
	s_delay_alu instid0(VALU_DEP_3)
	v_cmpx_ne_u32_e64 v92, v93
	s_xor_b32 s13, exec_lo, s13
; %bb.2436:                             ;   in Loop: Header=BB6_2329 Depth=4
	s_delay_alu instid0(VALU_DEP_2) | instskip(SKIP_2) | instid1(VALU_DEP_2)
	v_cmp_lt_u32_e32 vcc_lo, 0xffffff, v91
	v_sub_nc_u32_e32 v50, v92, v93
	v_cndmask_b32_e64 v92, 0, 1, vcc_lo
	v_add_co_ci_u32_e32 v50, vcc_lo, 0, v50, vcc_lo
	s_delay_alu instid0(VALU_DEP_2)
	v_lshrrev_b32_e32 v91, v92, v91
; %bb.2437:                             ;   in Loop: Header=BB6_2329 Depth=4
	s_and_not1_saveexec_b32 s13, s13
; %bb.2438:                             ;   in Loop: Header=BB6_2329 Depth=4
	s_delay_alu instid0(VALU_DEP_1)
	v_bfe_u32 v50, v91, 23, 1
; %bb.2439:                             ;   in Loop: Header=BB6_2329 Depth=4
	s_or_b32 exec_lo, exec_lo, s13
	v_lshrrev_b32_e32 v91, 20, v91
	s_delay_alu instid0(VALU_DEP_2) | instskip(SKIP_2) | instid1(VALU_DEP_2)
	v_cmp_gt_i32_e32 vcc_lo, 16, v50
	v_lshrrev_b32_e32 v90, 24, v90
	v_min_i32_e32 v92, 15, v50
	v_dual_cndmask_b32 v91, 7, v91 :: v_dual_and_b32 v90, 0x80, v90
	s_delay_alu instid0(VALU_DEP_2) | instskip(NEXT) | instid1(VALU_DEP_2)
	v_lshlrev_b32_e32 v92, 3, v92
	v_or_b32_e32 v50, v50, v91
	s_delay_alu instid0(VALU_DEP_1) | instskip(SKIP_1) | instid1(VALU_DEP_1)
	v_cmp_ne_u32_e32 vcc_lo, 0, v50
	v_and_b32_e32 v93, 7, v91
	v_or3_b32 v90, v92, v90, v93
	s_delay_alu instid0(VALU_DEP_1)
	v_cndmask_b32_e32 v50, 0, v90, vcc_lo
.LBB6_2440:                             ;   in Loop: Header=BB6_2329 Depth=4
	s_or_b32 exec_lo, exec_lo, s35
.LBB6_2441:                             ;   in Loop: Header=BB6_2329 Depth=4
	s_delay_alu instid0(SALU_CYCLE_1) | instskip(SKIP_3) | instid1(VALU_DEP_1)
	s_or_b32 exec_lo, exec_lo, s34
	v_and_b32_e32 v91, 0xff, v89
	s_mov_b32 s13, 0
	s_mov_b32 s35, exec_lo
                                        ; implicit-def: $sgpr34
	v_cmpx_lt_i16_e32 0x7f, v91
	s_xor_b32 s35, exec_lo, s35
	s_cbranch_execnz .LBB6_2895
; %bb.2442:                             ;   in Loop: Header=BB6_2329 Depth=4
	s_or_saveexec_b32 s35, s35
	v_mov_b32_e32 v90, s34
	s_xor_b32 exec_lo, exec_lo, s35
	s_cbranch_execnz .LBB6_2898
.LBB6_2443:                             ;   in Loop: Header=BB6_2329 Depth=4
	s_or_b32 exec_lo, exec_lo, s35
	s_and_saveexec_b32 s34, s13
	s_cbranch_execz .LBB6_2445
.LBB6_2444:                             ;   in Loop: Header=BB6_2329 Depth=4
	v_lshrrev_b16 v93, 3, v89
	s_delay_alu instid0(VALU_DEP_1) | instskip(NEXT) | instid1(VALU_DEP_1)
	v_and_b32_e32 v93, 15, v93
	v_cmp_eq_u32_e32 vcc_lo, 0, v93
	v_and_b32_e32 v90, 7, v89
	s_delay_alu instid0(VALU_DEP_1) | instskip(NEXT) | instid1(VALU_DEP_1)
	v_clz_i32_u32_e32 v91, v90
	v_min_u32_e32 v91, 32, v91
	s_delay_alu instid0(VALU_DEP_1) | instskip(SKIP_1) | instid1(VALU_DEP_1)
	v_subrev_nc_u32_e32 v92, 28, v91
	v_sub_nc_u32_e32 v91, 29, v91
	v_dual_cndmask_b32 v91, v93, v91 :: v_dual_lshlrev_b32 v92, v92, v89
	v_lshlrev_b32_e32 v89, 24, v89
	s_delay_alu instid0(VALU_DEP_2) | instskip(NEXT) | instid1(VALU_DEP_3)
	v_and_b32_e32 v92, 7, v92
	v_lshl_add_u32 v91, v91, 23, 0x3b800000
	s_delay_alu instid0(VALU_DEP_2) | instskip(NEXT) | instid1(VALU_DEP_1)
	v_dual_cndmask_b32 v90, v90, v92 :: v_dual_and_b32 v89, 0x80000000, v89
	v_lshlrev_b32_e32 v90, 20, v90
	s_delay_alu instid0(VALU_DEP_1)
	v_or3_b32 v90, v89, v91, v90
.LBB6_2445:                             ;   in Loop: Header=BB6_2329 Depth=4
	s_or_b32 exec_lo, exec_lo, s34
	s_waitcnt vmcnt(24) lgkmcnt(24)
	v_and_b32_e32 v91, 0xff, v113
	s_mov_b32 s13, 0
	s_mov_b32 s35, exec_lo
                                        ; implicit-def: $sgpr34
	s_delay_alu instid0(VALU_DEP_1)
	v_cmpx_lt_i16_e32 0x7f, v91
	s_xor_b32 s35, exec_lo, s35
	s_cbranch_execnz .LBB6_2899
; %bb.2446:                             ;   in Loop: Header=BB6_2329 Depth=4
	s_or_saveexec_b32 s35, s35
	v_mov_b32_e32 v89, s34
	s_xor_b32 exec_lo, exec_lo, s35
	s_cbranch_execnz .LBB6_2902
.LBB6_2447:                             ;   in Loop: Header=BB6_2329 Depth=4
	s_or_b32 exec_lo, exec_lo, s35
	s_and_saveexec_b32 s34, s13
	s_cbranch_execz .LBB6_2449
.LBB6_2448:                             ;   in Loop: Header=BB6_2329 Depth=4
	v_and_b32_e32 v89, 7, v113
	v_lshrrev_b16 v93, 3, v113
	s_delay_alu instid0(VALU_DEP_2) | instskip(NEXT) | instid1(VALU_DEP_2)
	v_clz_i32_u32_e32 v91, v89
	v_and_b32_e32 v93, 15, v93
	s_delay_alu instid0(VALU_DEP_2) | instskip(NEXT) | instid1(VALU_DEP_2)
	v_min_u32_e32 v91, 32, v91
	v_cmp_eq_u32_e32 vcc_lo, 0, v93
	s_delay_alu instid0(VALU_DEP_2) | instskip(SKIP_1) | instid1(VALU_DEP_1)
	v_subrev_nc_u32_e32 v92, 28, v91
	v_sub_nc_u32_e32 v91, 29, v91
	v_dual_cndmask_b32 v91, v93, v91 :: v_dual_lshlrev_b32 v92, v92, v113
	v_lshlrev_b32_e32 v113, 24, v113
	s_delay_alu instid0(VALU_DEP_2) | instskip(NEXT) | instid1(VALU_DEP_3)
	v_and_b32_e32 v92, 7, v92
	v_lshl_add_u32 v91, v91, 23, 0x3b800000
	s_delay_alu instid0(VALU_DEP_3) | instskip(NEXT) | instid1(VALU_DEP_3)
	v_and_b32_e32 v113, 0x80000000, v113
	v_cndmask_b32_e32 v89, v89, v92, vcc_lo
	s_delay_alu instid0(VALU_DEP_1) | instskip(NEXT) | instid1(VALU_DEP_1)
	v_lshlrev_b32_e32 v89, 20, v89
	v_or3_b32 v89, v113, v91, v89
.LBB6_2449:                             ;   in Loop: Header=BB6_2329 Depth=4
	s_or_b32 exec_lo, exec_lo, s34
	s_delay_alu instid0(VALU_DEP_1) | instskip(NEXT) | instid1(VALU_DEP_1)
	v_add_f32_e32 v89, v90, v89
	v_and_b32_e32 v113, 0x7f800000, v89
	s_delay_alu instid0(VALU_DEP_1)
	v_cmp_ne_u32_e32 vcc_lo, 0x7f800000, v113
	v_mov_b32_e32 v113, 0x80
	s_and_saveexec_b32 s34, vcc_lo
	s_cbranch_execz .LBB6_2457
; %bb.2450:                             ;   in Loop: Header=BB6_2329 Depth=4
	v_mov_b32_e32 v113, 0
	s_mov_b32 s35, exec_lo
	v_cmpx_ne_u32_e32 0, v89
	s_cbranch_execz .LBB6_2456
; %bb.2451:                             ;   in Loop: Header=BB6_2329 Depth=4
	v_bfe_u32 v113, v89, 23, 8
	s_delay_alu instid0(VALU_DEP_1) | instskip(SKIP_1) | instid1(VALU_DEP_2)
	v_sub_nc_u32_e32 v91, 0x78, v113
	v_cmp_gt_u32_e32 vcc_lo, 0x79, v113
	v_dual_cndmask_b32 v91, 0, v91 :: v_dual_and_b32 v90, 0x7fffff, v89
	s_delay_alu instid0(VALU_DEP_1) | instskip(SKIP_2) | instid1(VALU_DEP_4)
	v_or_b32_e32 v92, 0x800000, v90
	v_cmp_eq_u32_e32 vcc_lo, 0, v113
	v_add_nc_u32_e32 v113, 0xffffff89, v113
	v_cndmask_b32_e64 v91, v91, 0x77, vcc_lo
	s_delay_alu instid0(VALU_DEP_4) | instskip(NEXT) | instid1(VALU_DEP_3)
	v_cndmask_b32_e32 v90, v92, v90, vcc_lo
	v_cndmask_b32_e64 v113, v113, 0xffffff8a, vcc_lo
	s_delay_alu instid0(VALU_DEP_3) | instskip(NEXT) | instid1(VALU_DEP_3)
	v_lshl_add_u32 v92, 0x100000, v91, -1
	v_lshrrev_b32_e32 v93, v91, v90
	v_lshlrev_b32_e64 v95, v91, 0x80000
	s_delay_alu instid0(VALU_DEP_4) | instskip(NEXT) | instid1(VALU_DEP_4)
	v_add_nc_u32_e32 v91, v91, v113
	v_and_b32_e32 v90, v92, v90
	s_delay_alu instid0(VALU_DEP_4) | instskip(NEXT) | instid1(VALU_DEP_2)
	v_bfe_u32 v94, v93, 20, 1
	v_cmp_eq_u32_e64 s13, v90, v95
	s_delay_alu instid0(VALU_DEP_2) | instskip(NEXT) | instid1(VALU_DEP_1)
	v_add_nc_u32_e32 v92, -1, v94
	v_cndmask_b32_e64 v90, 0, v92, s13
	v_lshrrev_b32_e32 v92, 23, v93
	s_mov_b32 s13, exec_lo
	s_delay_alu instid0(VALU_DEP_2) | instskip(NEXT) | instid1(VALU_DEP_2)
	v_add_nc_u32_e32 v90, v90, v93
	v_xor_b32_e32 v92, 1, v92
	s_delay_alu instid0(VALU_DEP_2) | instskip(NEXT) | instid1(VALU_DEP_1)
	v_and_b32_e32 v113, 0xfffff, v90
	v_add_nc_u32_e32 v90, v113, v93
                                        ; implicit-def: $vgpr113
	s_delay_alu instid0(VALU_DEP_3)
	v_cmpx_ne_u32_e64 v91, v92
	s_xor_b32 s13, exec_lo, s13
; %bb.2452:                             ;   in Loop: Header=BB6_2329 Depth=4
	s_delay_alu instid0(VALU_DEP_2) | instskip(SKIP_2) | instid1(VALU_DEP_2)
	v_cmp_lt_u32_e32 vcc_lo, 0xffffff, v90
	v_sub_nc_u32_e32 v113, v91, v92
	v_cndmask_b32_e64 v91, 0, 1, vcc_lo
	v_add_co_ci_u32_e32 v113, vcc_lo, 0, v113, vcc_lo
	s_delay_alu instid0(VALU_DEP_2)
	v_lshrrev_b32_e32 v90, v91, v90
; %bb.2453:                             ;   in Loop: Header=BB6_2329 Depth=4
	s_and_not1_saveexec_b32 s13, s13
; %bb.2454:                             ;   in Loop: Header=BB6_2329 Depth=4
	s_delay_alu instid0(VALU_DEP_1)
	v_bfe_u32 v113, v90, 23, 1
; %bb.2455:                             ;   in Loop: Header=BB6_2329 Depth=4
	s_or_b32 exec_lo, exec_lo, s13
	v_lshrrev_b32_e32 v90, 20, v90
	s_delay_alu instid0(VALU_DEP_2) | instskip(SKIP_2) | instid1(VALU_DEP_2)
	v_cmp_gt_i32_e32 vcc_lo, 16, v113
	v_lshrrev_b32_e32 v89, 24, v89
	v_min_i32_e32 v91, 15, v113
	v_dual_cndmask_b32 v90, 7, v90 :: v_dual_and_b32 v89, 0x80, v89
	s_delay_alu instid0(VALU_DEP_2) | instskip(NEXT) | instid1(VALU_DEP_2)
	v_lshlrev_b32_e32 v91, 3, v91
	v_or_b32_e32 v113, v113, v90
	s_delay_alu instid0(VALU_DEP_1) | instskip(SKIP_1) | instid1(VALU_DEP_1)
	v_cmp_ne_u32_e32 vcc_lo, 0, v113
	v_and_b32_e32 v92, 7, v90
	v_or3_b32 v89, v91, v89, v92
	s_delay_alu instid0(VALU_DEP_1)
	v_cndmask_b32_e32 v113, 0, v89, vcc_lo
.LBB6_2456:                             ;   in Loop: Header=BB6_2329 Depth=4
	s_or_b32 exec_lo, exec_lo, s35
.LBB6_2457:                             ;   in Loop: Header=BB6_2329 Depth=4
	s_delay_alu instid0(SALU_CYCLE_1) | instskip(SKIP_3) | instid1(VALU_DEP_1)
	s_or_b32 exec_lo, exec_lo, s34
	v_and_b32_e32 v90, 0xff, v88
	s_mov_b32 s13, 0
	s_mov_b32 s35, exec_lo
                                        ; implicit-def: $sgpr34
	v_cmpx_lt_i16_e32 0x7f, v90
	s_xor_b32 s35, exec_lo, s35
	s_cbranch_execnz .LBB6_2903
; %bb.2458:                             ;   in Loop: Header=BB6_2329 Depth=4
	s_or_saveexec_b32 s35, s35
	v_mov_b32_e32 v89, s34
	s_xor_b32 exec_lo, exec_lo, s35
	s_cbranch_execnz .LBB6_2906
.LBB6_2459:                             ;   in Loop: Header=BB6_2329 Depth=4
	s_or_b32 exec_lo, exec_lo, s35
	s_and_saveexec_b32 s34, s13
	s_cbranch_execz .LBB6_2461
.LBB6_2460:                             ;   in Loop: Header=BB6_2329 Depth=4
	v_lshrrev_b16 v92, 3, v88
	s_delay_alu instid0(VALU_DEP_1) | instskip(NEXT) | instid1(VALU_DEP_1)
	v_and_b32_e32 v92, 15, v92
	v_cmp_eq_u32_e32 vcc_lo, 0, v92
	v_and_b32_e32 v89, 7, v88
	s_delay_alu instid0(VALU_DEP_1) | instskip(NEXT) | instid1(VALU_DEP_1)
	v_clz_i32_u32_e32 v90, v89
	v_min_u32_e32 v90, 32, v90
	s_delay_alu instid0(VALU_DEP_1) | instskip(SKIP_1) | instid1(VALU_DEP_1)
	v_subrev_nc_u32_e32 v91, 28, v90
	v_sub_nc_u32_e32 v90, 29, v90
	v_dual_cndmask_b32 v90, v92, v90 :: v_dual_lshlrev_b32 v91, v91, v88
	v_lshlrev_b32_e32 v88, 24, v88
	s_delay_alu instid0(VALU_DEP_2) | instskip(NEXT) | instid1(VALU_DEP_3)
	v_and_b32_e32 v91, 7, v91
	v_lshl_add_u32 v90, v90, 23, 0x3b800000
	s_delay_alu instid0(VALU_DEP_2) | instskip(NEXT) | instid1(VALU_DEP_1)
	v_dual_cndmask_b32 v89, v89, v91 :: v_dual_and_b32 v88, 0x80000000, v88
	v_lshlrev_b32_e32 v89, 20, v89
	s_delay_alu instid0(VALU_DEP_1)
	v_or3_b32 v89, v88, v90, v89
.LBB6_2461:                             ;   in Loop: Header=BB6_2329 Depth=4
	s_or_b32 exec_lo, exec_lo, s34
	s_waitcnt vmcnt(23) lgkmcnt(23)
	v_and_b32_e32 v90, 0xff, v116
	s_mov_b32 s13, 0
	s_mov_b32 s35, exec_lo
                                        ; implicit-def: $sgpr34
	s_delay_alu instid0(VALU_DEP_1)
	v_cmpx_lt_i16_e32 0x7f, v90
	s_xor_b32 s35, exec_lo, s35
	s_cbranch_execnz .LBB6_2907
; %bb.2462:                             ;   in Loop: Header=BB6_2329 Depth=4
	s_or_saveexec_b32 s35, s35
	v_mov_b32_e32 v88, s34
	s_xor_b32 exec_lo, exec_lo, s35
	s_cbranch_execnz .LBB6_2910
.LBB6_2463:                             ;   in Loop: Header=BB6_2329 Depth=4
	s_or_b32 exec_lo, exec_lo, s35
	s_and_saveexec_b32 s34, s13
	s_cbranch_execz .LBB6_2465
.LBB6_2464:                             ;   in Loop: Header=BB6_2329 Depth=4
	v_and_b32_e32 v88, 7, v116
	v_lshrrev_b16 v92, 3, v116
	s_delay_alu instid0(VALU_DEP_2) | instskip(NEXT) | instid1(VALU_DEP_2)
	v_clz_i32_u32_e32 v90, v88
	v_and_b32_e32 v92, 15, v92
	s_delay_alu instid0(VALU_DEP_2) | instskip(NEXT) | instid1(VALU_DEP_2)
	v_min_u32_e32 v90, 32, v90
	v_cmp_eq_u32_e32 vcc_lo, 0, v92
	s_delay_alu instid0(VALU_DEP_2) | instskip(SKIP_1) | instid1(VALU_DEP_1)
	v_subrev_nc_u32_e32 v91, 28, v90
	v_sub_nc_u32_e32 v90, 29, v90
	v_dual_cndmask_b32 v90, v92, v90 :: v_dual_lshlrev_b32 v91, v91, v116
	v_lshlrev_b32_e32 v116, 24, v116
	s_delay_alu instid0(VALU_DEP_2) | instskip(NEXT) | instid1(VALU_DEP_3)
	v_and_b32_e32 v91, 7, v91
	v_lshl_add_u32 v90, v90, 23, 0x3b800000
	s_delay_alu instid0(VALU_DEP_3) | instskip(NEXT) | instid1(VALU_DEP_3)
	v_and_b32_e32 v116, 0x80000000, v116
	v_cndmask_b32_e32 v88, v88, v91, vcc_lo
	s_delay_alu instid0(VALU_DEP_1) | instskip(NEXT) | instid1(VALU_DEP_1)
	v_lshlrev_b32_e32 v88, 20, v88
	v_or3_b32 v88, v116, v90, v88
.LBB6_2465:                             ;   in Loop: Header=BB6_2329 Depth=4
	s_or_b32 exec_lo, exec_lo, s34
	s_delay_alu instid0(VALU_DEP_1) | instskip(NEXT) | instid1(VALU_DEP_1)
	v_add_f32_e32 v88, v89, v88
	v_and_b32_e32 v116, 0x7f800000, v88
	s_delay_alu instid0(VALU_DEP_1)
	v_cmp_ne_u32_e32 vcc_lo, 0x7f800000, v116
	v_mov_b32_e32 v116, 0x80
	s_and_saveexec_b32 s34, vcc_lo
	s_cbranch_execz .LBB6_2473
; %bb.2466:                             ;   in Loop: Header=BB6_2329 Depth=4
	v_mov_b32_e32 v116, 0
	s_mov_b32 s35, exec_lo
	v_cmpx_ne_u32_e32 0, v88
	s_cbranch_execz .LBB6_2472
; %bb.2467:                             ;   in Loop: Header=BB6_2329 Depth=4
	v_bfe_u32 v116, v88, 23, 8
	s_delay_alu instid0(VALU_DEP_1) | instskip(SKIP_1) | instid1(VALU_DEP_2)
	v_sub_nc_u32_e32 v90, 0x78, v116
	v_cmp_gt_u32_e32 vcc_lo, 0x79, v116
	v_dual_cndmask_b32 v90, 0, v90 :: v_dual_and_b32 v89, 0x7fffff, v88
	s_delay_alu instid0(VALU_DEP_1) | instskip(SKIP_2) | instid1(VALU_DEP_4)
	v_or_b32_e32 v91, 0x800000, v89
	v_cmp_eq_u32_e32 vcc_lo, 0, v116
	v_add_nc_u32_e32 v116, 0xffffff89, v116
	v_cndmask_b32_e64 v90, v90, 0x77, vcc_lo
	s_delay_alu instid0(VALU_DEP_4) | instskip(NEXT) | instid1(VALU_DEP_3)
	v_cndmask_b32_e32 v89, v91, v89, vcc_lo
	v_cndmask_b32_e64 v116, v116, 0xffffff8a, vcc_lo
	s_delay_alu instid0(VALU_DEP_3) | instskip(NEXT) | instid1(VALU_DEP_3)
	v_lshl_add_u32 v91, 0x100000, v90, -1
	v_lshrrev_b32_e32 v92, v90, v89
	v_lshlrev_b32_e64 v94, v90, 0x80000
	s_delay_alu instid0(VALU_DEP_4) | instskip(NEXT) | instid1(VALU_DEP_4)
	v_add_nc_u32_e32 v90, v90, v116
	v_and_b32_e32 v89, v91, v89
	s_delay_alu instid0(VALU_DEP_4) | instskip(NEXT) | instid1(VALU_DEP_2)
	v_bfe_u32 v93, v92, 20, 1
	v_cmp_eq_u32_e64 s13, v89, v94
	s_delay_alu instid0(VALU_DEP_2) | instskip(NEXT) | instid1(VALU_DEP_1)
	v_add_nc_u32_e32 v91, -1, v93
	v_cndmask_b32_e64 v89, 0, v91, s13
	v_lshrrev_b32_e32 v91, 23, v92
	s_mov_b32 s13, exec_lo
	s_delay_alu instid0(VALU_DEP_2) | instskip(NEXT) | instid1(VALU_DEP_2)
	v_add_nc_u32_e32 v89, v89, v92
	v_xor_b32_e32 v91, 1, v91
	s_delay_alu instid0(VALU_DEP_2) | instskip(NEXT) | instid1(VALU_DEP_1)
	v_and_b32_e32 v116, 0xfffff, v89
	v_add_nc_u32_e32 v89, v116, v92
                                        ; implicit-def: $vgpr116
	s_delay_alu instid0(VALU_DEP_3)
	v_cmpx_ne_u32_e64 v90, v91
	s_xor_b32 s13, exec_lo, s13
; %bb.2468:                             ;   in Loop: Header=BB6_2329 Depth=4
	s_delay_alu instid0(VALU_DEP_2) | instskip(SKIP_2) | instid1(VALU_DEP_2)
	v_cmp_lt_u32_e32 vcc_lo, 0xffffff, v89
	v_sub_nc_u32_e32 v116, v90, v91
	v_cndmask_b32_e64 v90, 0, 1, vcc_lo
	v_add_co_ci_u32_e32 v116, vcc_lo, 0, v116, vcc_lo
	s_delay_alu instid0(VALU_DEP_2)
	v_lshrrev_b32_e32 v89, v90, v89
; %bb.2469:                             ;   in Loop: Header=BB6_2329 Depth=4
	s_and_not1_saveexec_b32 s13, s13
; %bb.2470:                             ;   in Loop: Header=BB6_2329 Depth=4
	s_delay_alu instid0(VALU_DEP_1)
	v_bfe_u32 v116, v89, 23, 1
; %bb.2471:                             ;   in Loop: Header=BB6_2329 Depth=4
	s_or_b32 exec_lo, exec_lo, s13
	v_lshrrev_b32_e32 v89, 20, v89
	s_delay_alu instid0(VALU_DEP_2) | instskip(SKIP_2) | instid1(VALU_DEP_2)
	v_cmp_gt_i32_e32 vcc_lo, 16, v116
	v_lshrrev_b32_e32 v88, 24, v88
	v_min_i32_e32 v90, 15, v116
	v_dual_cndmask_b32 v89, 7, v89 :: v_dual_and_b32 v88, 0x80, v88
	s_delay_alu instid0(VALU_DEP_2) | instskip(NEXT) | instid1(VALU_DEP_2)
	v_lshlrev_b32_e32 v90, 3, v90
	v_or_b32_e32 v116, v116, v89
	s_delay_alu instid0(VALU_DEP_1) | instskip(SKIP_1) | instid1(VALU_DEP_1)
	v_cmp_ne_u32_e32 vcc_lo, 0, v116
	v_and_b32_e32 v91, 7, v89
	v_or3_b32 v88, v90, v88, v91
	s_delay_alu instid0(VALU_DEP_1)
	v_cndmask_b32_e32 v116, 0, v88, vcc_lo
.LBB6_2472:                             ;   in Loop: Header=BB6_2329 Depth=4
	s_or_b32 exec_lo, exec_lo, s35
.LBB6_2473:                             ;   in Loop: Header=BB6_2329 Depth=4
	s_delay_alu instid0(SALU_CYCLE_1) | instskip(SKIP_3) | instid1(VALU_DEP_1)
	s_or_b32 exec_lo, exec_lo, s34
	v_and_b32_e32 v89, 0xff, v79
	s_mov_b32 s13, 0
	s_mov_b32 s35, exec_lo
                                        ; implicit-def: $sgpr34
	v_cmpx_lt_i16_e32 0x7f, v89
	s_xor_b32 s35, exec_lo, s35
	s_cbranch_execnz .LBB6_2911
; %bb.2474:                             ;   in Loop: Header=BB6_2329 Depth=4
	s_or_saveexec_b32 s35, s35
	v_mov_b32_e32 v88, s34
	s_xor_b32 exec_lo, exec_lo, s35
	s_cbranch_execnz .LBB6_2914
.LBB6_2475:                             ;   in Loop: Header=BB6_2329 Depth=4
	s_or_b32 exec_lo, exec_lo, s35
	s_and_saveexec_b32 s34, s13
	s_cbranch_execz .LBB6_2477
.LBB6_2476:                             ;   in Loop: Header=BB6_2329 Depth=4
	v_lshrrev_b16 v91, 3, v79
	s_delay_alu instid0(VALU_DEP_1) | instskip(NEXT) | instid1(VALU_DEP_1)
	v_and_b32_e32 v91, 15, v91
	v_cmp_eq_u32_e32 vcc_lo, 0, v91
	v_and_b32_e32 v88, 7, v79
	s_delay_alu instid0(VALU_DEP_1) | instskip(NEXT) | instid1(VALU_DEP_1)
	v_clz_i32_u32_e32 v89, v88
	v_min_u32_e32 v89, 32, v89
	s_delay_alu instid0(VALU_DEP_1) | instskip(SKIP_1) | instid1(VALU_DEP_1)
	v_subrev_nc_u32_e32 v90, 28, v89
	v_sub_nc_u32_e32 v89, 29, v89
	v_dual_cndmask_b32 v89, v91, v89 :: v_dual_lshlrev_b32 v90, v90, v79
	v_lshlrev_b32_e32 v79, 24, v79
	s_delay_alu instid0(VALU_DEP_2) | instskip(NEXT) | instid1(VALU_DEP_3)
	v_and_b32_e32 v90, 7, v90
	v_lshl_add_u32 v89, v89, 23, 0x3b800000
	s_delay_alu instid0(VALU_DEP_2) | instskip(NEXT) | instid1(VALU_DEP_1)
	v_dual_cndmask_b32 v88, v88, v90 :: v_dual_and_b32 v79, 0x80000000, v79
	v_lshlrev_b32_e32 v88, 20, v88
	s_delay_alu instid0(VALU_DEP_1)
	v_or3_b32 v88, v79, v89, v88
.LBB6_2477:                             ;   in Loop: Header=BB6_2329 Depth=4
	s_or_b32 exec_lo, exec_lo, s34
	s_waitcnt vmcnt(22) lgkmcnt(22)
	v_and_b32_e32 v89, 0xff, v182
	s_mov_b32 s13, 0
	s_mov_b32 s35, exec_lo
                                        ; implicit-def: $sgpr34
	s_delay_alu instid0(VALU_DEP_1)
	v_cmpx_lt_i16_e32 0x7f, v89
	s_xor_b32 s35, exec_lo, s35
	s_cbranch_execnz .LBB6_2915
; %bb.2478:                             ;   in Loop: Header=BB6_2329 Depth=4
	s_or_saveexec_b32 s35, s35
	v_mov_b32_e32 v79, s34
	s_xor_b32 exec_lo, exec_lo, s35
	s_cbranch_execnz .LBB6_2918
.LBB6_2479:                             ;   in Loop: Header=BB6_2329 Depth=4
	s_or_b32 exec_lo, exec_lo, s35
	s_and_saveexec_b32 s34, s13
	s_cbranch_execz .LBB6_2481
.LBB6_2480:                             ;   in Loop: Header=BB6_2329 Depth=4
	v_and_b32_e32 v79, 7, v182
	v_lshrrev_b16 v91, 3, v182
	s_delay_alu instid0(VALU_DEP_2) | instskip(NEXT) | instid1(VALU_DEP_2)
	v_clz_i32_u32_e32 v89, v79
	v_and_b32_e32 v91, 15, v91
	s_delay_alu instid0(VALU_DEP_2) | instskip(NEXT) | instid1(VALU_DEP_2)
	v_min_u32_e32 v89, 32, v89
	v_cmp_eq_u32_e32 vcc_lo, 0, v91
	s_delay_alu instid0(VALU_DEP_2) | instskip(SKIP_1) | instid1(VALU_DEP_1)
	v_subrev_nc_u32_e32 v90, 28, v89
	v_sub_nc_u32_e32 v89, 29, v89
	v_dual_cndmask_b32 v89, v91, v89 :: v_dual_lshlrev_b32 v90, v90, v182
	v_lshlrev_b32_e32 v182, 24, v182
	s_delay_alu instid0(VALU_DEP_2) | instskip(NEXT) | instid1(VALU_DEP_3)
	v_and_b32_e32 v90, 7, v90
	v_lshl_add_u32 v89, v89, 23, 0x3b800000
	s_delay_alu instid0(VALU_DEP_3) | instskip(NEXT) | instid1(VALU_DEP_3)
	v_and_b32_e32 v182, 0x80000000, v182
	v_cndmask_b32_e32 v79, v79, v90, vcc_lo
	s_delay_alu instid0(VALU_DEP_1) | instskip(NEXT) | instid1(VALU_DEP_1)
	v_lshlrev_b32_e32 v79, 20, v79
	v_or3_b32 v79, v182, v89, v79
.LBB6_2481:                             ;   in Loop: Header=BB6_2329 Depth=4
	s_or_b32 exec_lo, exec_lo, s34
	s_delay_alu instid0(VALU_DEP_1) | instskip(NEXT) | instid1(VALU_DEP_1)
	v_add_f32_e32 v79, v88, v79
	v_and_b32_e32 v182, 0x7f800000, v79
	s_delay_alu instid0(VALU_DEP_1)
	v_cmp_ne_u32_e32 vcc_lo, 0x7f800000, v182
	v_mov_b32_e32 v182, 0x80
	s_and_saveexec_b32 s34, vcc_lo
	s_cbranch_execz .LBB6_2489
; %bb.2482:                             ;   in Loop: Header=BB6_2329 Depth=4
	v_mov_b32_e32 v182, 0
	s_mov_b32 s35, exec_lo
	v_cmpx_ne_u32_e32 0, v79
	s_cbranch_execz .LBB6_2488
; %bb.2483:                             ;   in Loop: Header=BB6_2329 Depth=4
	v_bfe_u32 v182, v79, 23, 8
	s_delay_alu instid0(VALU_DEP_1) | instskip(SKIP_1) | instid1(VALU_DEP_2)
	v_sub_nc_u32_e32 v89, 0x78, v182
	v_cmp_gt_u32_e32 vcc_lo, 0x79, v182
	v_dual_cndmask_b32 v89, 0, v89 :: v_dual_and_b32 v88, 0x7fffff, v79
	s_delay_alu instid0(VALU_DEP_1) | instskip(SKIP_2) | instid1(VALU_DEP_4)
	v_or_b32_e32 v90, 0x800000, v88
	v_cmp_eq_u32_e32 vcc_lo, 0, v182
	v_add_nc_u32_e32 v182, 0xffffff89, v182
	v_cndmask_b32_e64 v89, v89, 0x77, vcc_lo
	s_delay_alu instid0(VALU_DEP_2) | instskip(SKIP_1) | instid1(VALU_DEP_3)
	v_cndmask_b32_e64 v182, v182, 0xffffff8a, vcc_lo
	v_cndmask_b32_e32 v88, v90, v88, vcc_lo
	v_lshl_add_u32 v90, 0x100000, v89, -1
	v_lshlrev_b32_e64 v93, v89, 0x80000
	s_delay_alu instid0(VALU_DEP_3) | instskip(SKIP_1) | instid1(VALU_DEP_4)
	v_lshrrev_b32_e32 v91, v89, v88
	v_add_nc_u32_e32 v89, v89, v182
	v_and_b32_e32 v88, v90, v88
	s_delay_alu instid0(VALU_DEP_3) | instskip(NEXT) | instid1(VALU_DEP_2)
	v_bfe_u32 v92, v91, 20, 1
	v_cmp_eq_u32_e64 s13, v88, v93
	s_delay_alu instid0(VALU_DEP_2) | instskip(NEXT) | instid1(VALU_DEP_1)
	v_add_nc_u32_e32 v90, -1, v92
	v_cndmask_b32_e64 v88, 0, v90, s13
	v_lshrrev_b32_e32 v90, 23, v91
	s_mov_b32 s13, exec_lo
	s_delay_alu instid0(VALU_DEP_2) | instskip(NEXT) | instid1(VALU_DEP_2)
	v_add_nc_u32_e32 v88, v88, v91
	v_xor_b32_e32 v90, 1, v90
	s_delay_alu instid0(VALU_DEP_2) | instskip(NEXT) | instid1(VALU_DEP_1)
	v_and_b32_e32 v182, 0xfffff, v88
	v_add_nc_u32_e32 v88, v182, v91
                                        ; implicit-def: $vgpr182
	s_delay_alu instid0(VALU_DEP_3)
	v_cmpx_ne_u32_e64 v89, v90
	s_xor_b32 s13, exec_lo, s13
; %bb.2484:                             ;   in Loop: Header=BB6_2329 Depth=4
	s_delay_alu instid0(VALU_DEP_2) | instskip(SKIP_2) | instid1(VALU_DEP_2)
	v_cmp_lt_u32_e32 vcc_lo, 0xffffff, v88
	v_sub_nc_u32_e32 v182, v89, v90
	v_cndmask_b32_e64 v89, 0, 1, vcc_lo
	v_add_co_ci_u32_e32 v182, vcc_lo, 0, v182, vcc_lo
	s_delay_alu instid0(VALU_DEP_2)
	v_lshrrev_b32_e32 v88, v89, v88
; %bb.2485:                             ;   in Loop: Header=BB6_2329 Depth=4
	s_and_not1_saveexec_b32 s13, s13
; %bb.2486:                             ;   in Loop: Header=BB6_2329 Depth=4
	s_delay_alu instid0(VALU_DEP_1)
	v_bfe_u32 v182, v88, 23, 1
; %bb.2487:                             ;   in Loop: Header=BB6_2329 Depth=4
	s_or_b32 exec_lo, exec_lo, s13
	v_lshrrev_b32_e32 v88, 20, v88
	s_delay_alu instid0(VALU_DEP_2) | instskip(SKIP_2) | instid1(VALU_DEP_2)
	v_cmp_gt_i32_e32 vcc_lo, 16, v182
	v_lshrrev_b32_e32 v79, 24, v79
	v_min_i32_e32 v89, 15, v182
	v_dual_cndmask_b32 v88, 7, v88 :: v_dual_and_b32 v79, 0x80, v79
	s_delay_alu instid0(VALU_DEP_1) | instskip(SKIP_1) | instid1(VALU_DEP_2)
	v_or_b32_e32 v182, v182, v88
	v_and_b32_e32 v90, 7, v88
	v_cmp_ne_u32_e32 vcc_lo, 0, v182
	v_lshlrev_b32_e32 v89, 3, v89
	s_delay_alu instid0(VALU_DEP_1) | instskip(NEXT) | instid1(VALU_DEP_1)
	v_or3_b32 v79, v89, v79, v90
	v_cndmask_b32_e32 v182, 0, v79, vcc_lo
.LBB6_2488:                             ;   in Loop: Header=BB6_2329 Depth=4
	s_or_b32 exec_lo, exec_lo, s35
.LBB6_2489:                             ;   in Loop: Header=BB6_2329 Depth=4
	s_delay_alu instid0(SALU_CYCLE_1) | instskip(SKIP_3) | instid1(VALU_DEP_1)
	s_or_b32 exec_lo, exec_lo, s34
	v_and_b32_e32 v88, 0xff, v78
	s_mov_b32 s13, 0
	s_mov_b32 s35, exec_lo
                                        ; implicit-def: $sgpr34
	v_cmpx_lt_i16_e32 0x7f, v88
	s_xor_b32 s35, exec_lo, s35
	s_cbranch_execnz .LBB6_2919
; %bb.2490:                             ;   in Loop: Header=BB6_2329 Depth=4
	s_or_saveexec_b32 s35, s35
	v_mov_b32_e32 v79, s34
	s_xor_b32 exec_lo, exec_lo, s35
	s_cbranch_execnz .LBB6_2922
.LBB6_2491:                             ;   in Loop: Header=BB6_2329 Depth=4
	s_or_b32 exec_lo, exec_lo, s35
	s_and_saveexec_b32 s34, s13
	s_cbranch_execz .LBB6_2493
.LBB6_2492:                             ;   in Loop: Header=BB6_2329 Depth=4
	v_lshrrev_b16 v90, 3, v78
	s_delay_alu instid0(VALU_DEP_1) | instskip(NEXT) | instid1(VALU_DEP_1)
	v_and_b32_e32 v90, 15, v90
	v_cmp_eq_u32_e32 vcc_lo, 0, v90
	v_and_b32_e32 v79, 7, v78
	s_delay_alu instid0(VALU_DEP_1) | instskip(NEXT) | instid1(VALU_DEP_1)
	v_clz_i32_u32_e32 v88, v79
	v_min_u32_e32 v88, 32, v88
	s_delay_alu instid0(VALU_DEP_1) | instskip(SKIP_1) | instid1(VALU_DEP_1)
	v_subrev_nc_u32_e32 v89, 28, v88
	v_sub_nc_u32_e32 v88, 29, v88
	v_dual_cndmask_b32 v88, v90, v88 :: v_dual_lshlrev_b32 v89, v89, v78
	v_lshlrev_b32_e32 v78, 24, v78
	s_delay_alu instid0(VALU_DEP_2) | instskip(NEXT) | instid1(VALU_DEP_3)
	v_and_b32_e32 v89, 7, v89
	v_lshl_add_u32 v88, v88, 23, 0x3b800000
	s_delay_alu instid0(VALU_DEP_2) | instskip(NEXT) | instid1(VALU_DEP_1)
	v_dual_cndmask_b32 v79, v79, v89 :: v_dual_and_b32 v78, 0x80000000, v78
	v_lshlrev_b32_e32 v79, 20, v79
	s_delay_alu instid0(VALU_DEP_1)
	v_or3_b32 v79, v78, v88, v79
.LBB6_2493:                             ;   in Loop: Header=BB6_2329 Depth=4
	s_or_b32 exec_lo, exec_lo, s34
	s_waitcnt vmcnt(21) lgkmcnt(21)
	v_and_b32_e32 v88, 0xff, v41
	s_mov_b32 s13, 0
	s_mov_b32 s35, exec_lo
                                        ; implicit-def: $sgpr34
	s_delay_alu instid0(VALU_DEP_1)
	v_cmpx_lt_i16_e32 0x7f, v88
	s_xor_b32 s35, exec_lo, s35
	s_cbranch_execnz .LBB6_2923
; %bb.2494:                             ;   in Loop: Header=BB6_2329 Depth=4
	s_or_saveexec_b32 s35, s35
	v_mov_b32_e32 v78, s34
	s_xor_b32 exec_lo, exec_lo, s35
	s_cbranch_execnz .LBB6_2926
.LBB6_2495:                             ;   in Loop: Header=BB6_2329 Depth=4
	s_or_b32 exec_lo, exec_lo, s35
	s_and_saveexec_b32 s34, s13
	s_cbranch_execz .LBB6_2497
.LBB6_2496:                             ;   in Loop: Header=BB6_2329 Depth=4
	v_and_b32_e32 v78, 7, v41
	v_lshrrev_b16 v90, 3, v41
	s_delay_alu instid0(VALU_DEP_2) | instskip(NEXT) | instid1(VALU_DEP_2)
	v_clz_i32_u32_e32 v88, v78
	v_and_b32_e32 v90, 15, v90
	s_delay_alu instid0(VALU_DEP_2) | instskip(NEXT) | instid1(VALU_DEP_2)
	v_min_u32_e32 v88, 32, v88
	v_cmp_eq_u32_e32 vcc_lo, 0, v90
	s_delay_alu instid0(VALU_DEP_2) | instskip(SKIP_1) | instid1(VALU_DEP_1)
	v_subrev_nc_u32_e32 v89, 28, v88
	v_sub_nc_u32_e32 v88, 29, v88
	v_dual_cndmask_b32 v88, v90, v88 :: v_dual_lshlrev_b32 v89, v89, v41
	v_lshlrev_b32_e32 v41, 24, v41
	s_delay_alu instid0(VALU_DEP_2) | instskip(NEXT) | instid1(VALU_DEP_3)
	v_and_b32_e32 v89, 7, v89
	v_lshl_add_u32 v88, v88, 23, 0x3b800000
	s_delay_alu instid0(VALU_DEP_3) | instskip(NEXT) | instid1(VALU_DEP_3)
	v_and_b32_e32 v41, 0x80000000, v41
	v_cndmask_b32_e32 v78, v78, v89, vcc_lo
	s_delay_alu instid0(VALU_DEP_1) | instskip(NEXT) | instid1(VALU_DEP_1)
	v_lshlrev_b32_e32 v78, 20, v78
	v_or3_b32 v78, v41, v88, v78
.LBB6_2497:                             ;   in Loop: Header=BB6_2329 Depth=4
	s_or_b32 exec_lo, exec_lo, s34
	s_delay_alu instid0(VALU_DEP_1) | instskip(NEXT) | instid1(VALU_DEP_1)
	v_add_f32_e32 v78, v79, v78
	v_and_b32_e32 v41, 0x7f800000, v78
	s_delay_alu instid0(VALU_DEP_1)
	v_cmp_ne_u32_e32 vcc_lo, 0x7f800000, v41
	v_mov_b32_e32 v41, 0x80
	s_and_saveexec_b32 s34, vcc_lo
	s_cbranch_execz .LBB6_2505
; %bb.2498:                             ;   in Loop: Header=BB6_2329 Depth=4
	v_mov_b32_e32 v41, 0
	s_mov_b32 s35, exec_lo
	v_cmpx_ne_u32_e32 0, v78
	s_cbranch_execz .LBB6_2504
; %bb.2499:                             ;   in Loop: Header=BB6_2329 Depth=4
	v_bfe_u32 v41, v78, 23, 8
	s_delay_alu instid0(VALU_DEP_1) | instskip(SKIP_1) | instid1(VALU_DEP_2)
	v_sub_nc_u32_e32 v88, 0x78, v41
	v_cmp_gt_u32_e32 vcc_lo, 0x79, v41
	v_dual_cndmask_b32 v88, 0, v88 :: v_dual_and_b32 v79, 0x7fffff, v78
	s_delay_alu instid0(VALU_DEP_1) | instskip(SKIP_2) | instid1(VALU_DEP_4)
	v_or_b32_e32 v89, 0x800000, v79
	v_cmp_eq_u32_e32 vcc_lo, 0, v41
	v_add_nc_u32_e32 v41, 0xffffff89, v41
	v_cndmask_b32_e64 v88, v88, 0x77, vcc_lo
	s_delay_alu instid0(VALU_DEP_2) | instskip(SKIP_1) | instid1(VALU_DEP_3)
	v_cndmask_b32_e64 v41, v41, 0xffffff8a, vcc_lo
	v_cndmask_b32_e32 v79, v89, v79, vcc_lo
	v_lshl_add_u32 v89, 0x100000, v88, -1
	v_lshlrev_b32_e64 v92, v88, 0x80000
	s_delay_alu instid0(VALU_DEP_3) | instskip(SKIP_1) | instid1(VALU_DEP_4)
	v_lshrrev_b32_e32 v90, v88, v79
	v_add_nc_u32_e32 v88, v88, v41
	v_and_b32_e32 v79, v89, v79
	s_delay_alu instid0(VALU_DEP_3) | instskip(NEXT) | instid1(VALU_DEP_2)
	v_bfe_u32 v91, v90, 20, 1
	v_cmp_eq_u32_e64 s13, v79, v92
	s_delay_alu instid0(VALU_DEP_2) | instskip(NEXT) | instid1(VALU_DEP_1)
	v_add_nc_u32_e32 v89, -1, v91
	v_cndmask_b32_e64 v79, 0, v89, s13
	v_lshrrev_b32_e32 v89, 23, v90
	s_mov_b32 s13, exec_lo
	s_delay_alu instid0(VALU_DEP_2) | instskip(NEXT) | instid1(VALU_DEP_2)
	v_add_nc_u32_e32 v79, v79, v90
	v_xor_b32_e32 v89, 1, v89
	s_delay_alu instid0(VALU_DEP_2) | instskip(NEXT) | instid1(VALU_DEP_1)
	v_and_b32_e32 v41, 0xfffff, v79
	v_add_nc_u32_e32 v79, v41, v90
                                        ; implicit-def: $vgpr41
	s_delay_alu instid0(VALU_DEP_3)
	v_cmpx_ne_u32_e64 v88, v89
	s_xor_b32 s13, exec_lo, s13
; %bb.2500:                             ;   in Loop: Header=BB6_2329 Depth=4
	s_delay_alu instid0(VALU_DEP_2) | instskip(SKIP_2) | instid1(VALU_DEP_2)
	v_cmp_lt_u32_e32 vcc_lo, 0xffffff, v79
	v_sub_nc_u32_e32 v41, v88, v89
	v_cndmask_b32_e64 v88, 0, 1, vcc_lo
	v_add_co_ci_u32_e32 v41, vcc_lo, 0, v41, vcc_lo
	s_delay_alu instid0(VALU_DEP_2)
	v_lshrrev_b32_e32 v79, v88, v79
; %bb.2501:                             ;   in Loop: Header=BB6_2329 Depth=4
	s_and_not1_saveexec_b32 s13, s13
; %bb.2502:                             ;   in Loop: Header=BB6_2329 Depth=4
	s_delay_alu instid0(VALU_DEP_1)
	v_bfe_u32 v41, v79, 23, 1
; %bb.2503:                             ;   in Loop: Header=BB6_2329 Depth=4
	s_or_b32 exec_lo, exec_lo, s13
	v_lshrrev_b32_e32 v79, 20, v79
	s_delay_alu instid0(VALU_DEP_2) | instskip(SKIP_2) | instid1(VALU_DEP_2)
	v_cmp_gt_i32_e32 vcc_lo, 16, v41
	v_lshrrev_b32_e32 v78, 24, v78
	v_min_i32_e32 v88, 15, v41
	v_dual_cndmask_b32 v79, 7, v79 :: v_dual_and_b32 v78, 0x80, v78
	s_delay_alu instid0(VALU_DEP_1) | instskip(SKIP_1) | instid1(VALU_DEP_2)
	v_or_b32_e32 v41, v41, v79
	v_and_b32_e32 v89, 7, v79
	v_cmp_ne_u32_e32 vcc_lo, 0, v41
	v_lshlrev_b32_e32 v88, 3, v88
	s_delay_alu instid0(VALU_DEP_1) | instskip(NEXT) | instid1(VALU_DEP_1)
	v_or3_b32 v78, v88, v78, v89
	v_cndmask_b32_e32 v41, 0, v78, vcc_lo
.LBB6_2504:                             ;   in Loop: Header=BB6_2329 Depth=4
	s_or_b32 exec_lo, exec_lo, s35
.LBB6_2505:                             ;   in Loop: Header=BB6_2329 Depth=4
	s_delay_alu instid0(SALU_CYCLE_1) | instskip(SKIP_3) | instid1(VALU_DEP_1)
	s_or_b32 exec_lo, exec_lo, s34
	v_and_b32_e32 v79, 0xff, v77
	s_mov_b32 s13, 0
	s_mov_b32 s35, exec_lo
                                        ; implicit-def: $sgpr34
	v_cmpx_lt_i16_e32 0x7f, v79
	s_xor_b32 s35, exec_lo, s35
	s_cbranch_execnz .LBB6_2927
; %bb.2506:                             ;   in Loop: Header=BB6_2329 Depth=4
	s_or_saveexec_b32 s35, s35
	v_mov_b32_e32 v78, s34
	s_xor_b32 exec_lo, exec_lo, s35
	s_cbranch_execnz .LBB6_2930
.LBB6_2507:                             ;   in Loop: Header=BB6_2329 Depth=4
	s_or_b32 exec_lo, exec_lo, s35
	s_and_saveexec_b32 s34, s13
	s_cbranch_execz .LBB6_2509
.LBB6_2508:                             ;   in Loop: Header=BB6_2329 Depth=4
	v_lshrrev_b16 v89, 3, v77
	s_delay_alu instid0(VALU_DEP_1) | instskip(NEXT) | instid1(VALU_DEP_1)
	v_and_b32_e32 v89, 15, v89
	v_cmp_eq_u32_e32 vcc_lo, 0, v89
	v_and_b32_e32 v78, 7, v77
	s_delay_alu instid0(VALU_DEP_1) | instskip(NEXT) | instid1(VALU_DEP_1)
	v_clz_i32_u32_e32 v79, v78
	v_min_u32_e32 v79, 32, v79
	s_delay_alu instid0(VALU_DEP_1) | instskip(SKIP_1) | instid1(VALU_DEP_1)
	v_subrev_nc_u32_e32 v88, 28, v79
	v_sub_nc_u32_e32 v79, 29, v79
	v_dual_cndmask_b32 v79, v89, v79 :: v_dual_lshlrev_b32 v88, v88, v77
	v_lshlrev_b32_e32 v77, 24, v77
	s_delay_alu instid0(VALU_DEP_2) | instskip(NEXT) | instid1(VALU_DEP_3)
	v_and_b32_e32 v88, 7, v88
	v_lshl_add_u32 v79, v79, 23, 0x3b800000
	s_delay_alu instid0(VALU_DEP_2) | instskip(NEXT) | instid1(VALU_DEP_1)
	v_dual_cndmask_b32 v78, v78, v88 :: v_dual_and_b32 v77, 0x80000000, v77
	v_lshlrev_b32_e32 v78, 20, v78
	s_delay_alu instid0(VALU_DEP_1)
	v_or3_b32 v78, v77, v79, v78
.LBB6_2509:                             ;   in Loop: Header=BB6_2329 Depth=4
	s_or_b32 exec_lo, exec_lo, s34
	s_waitcnt vmcnt(20) lgkmcnt(20)
	v_and_b32_e32 v79, 0xff, v44
	s_mov_b32 s13, 0
	s_mov_b32 s35, exec_lo
                                        ; implicit-def: $sgpr34
	s_delay_alu instid0(VALU_DEP_1)
	v_cmpx_lt_i16_e32 0x7f, v79
	s_xor_b32 s35, exec_lo, s35
	s_cbranch_execnz .LBB6_2931
; %bb.2510:                             ;   in Loop: Header=BB6_2329 Depth=4
	s_or_saveexec_b32 s35, s35
	v_mov_b32_e32 v77, s34
	s_xor_b32 exec_lo, exec_lo, s35
	s_cbranch_execnz .LBB6_2934
.LBB6_2511:                             ;   in Loop: Header=BB6_2329 Depth=4
	s_or_b32 exec_lo, exec_lo, s35
	s_and_saveexec_b32 s34, s13
	s_cbranch_execz .LBB6_2513
.LBB6_2512:                             ;   in Loop: Header=BB6_2329 Depth=4
	v_and_b32_e32 v77, 7, v44
	v_lshrrev_b16 v89, 3, v44
	s_delay_alu instid0(VALU_DEP_2) | instskip(NEXT) | instid1(VALU_DEP_2)
	v_clz_i32_u32_e32 v79, v77
	v_and_b32_e32 v89, 15, v89
	s_delay_alu instid0(VALU_DEP_2) | instskip(NEXT) | instid1(VALU_DEP_2)
	v_min_u32_e32 v79, 32, v79
	v_cmp_eq_u32_e32 vcc_lo, 0, v89
	s_delay_alu instid0(VALU_DEP_2) | instskip(SKIP_1) | instid1(VALU_DEP_1)
	v_subrev_nc_u32_e32 v88, 28, v79
	v_sub_nc_u32_e32 v79, 29, v79
	v_dual_cndmask_b32 v79, v89, v79 :: v_dual_lshlrev_b32 v88, v88, v44
	v_lshlrev_b32_e32 v44, 24, v44
	s_delay_alu instid0(VALU_DEP_2) | instskip(NEXT) | instid1(VALU_DEP_3)
	v_and_b32_e32 v88, 7, v88
	v_lshl_add_u32 v79, v79, 23, 0x3b800000
	s_delay_alu instid0(VALU_DEP_3) | instskip(NEXT) | instid1(VALU_DEP_3)
	v_and_b32_e32 v44, 0x80000000, v44
	v_cndmask_b32_e32 v77, v77, v88, vcc_lo
	s_delay_alu instid0(VALU_DEP_1) | instskip(NEXT) | instid1(VALU_DEP_1)
	v_lshlrev_b32_e32 v77, 20, v77
	v_or3_b32 v77, v44, v79, v77
.LBB6_2513:                             ;   in Loop: Header=BB6_2329 Depth=4
	s_or_b32 exec_lo, exec_lo, s34
	s_delay_alu instid0(VALU_DEP_1) | instskip(NEXT) | instid1(VALU_DEP_1)
	v_add_f32_e32 v77, v78, v77
	v_and_b32_e32 v44, 0x7f800000, v77
	s_delay_alu instid0(VALU_DEP_1)
	v_cmp_ne_u32_e32 vcc_lo, 0x7f800000, v44
	v_mov_b32_e32 v44, 0x80
	s_and_saveexec_b32 s34, vcc_lo
	s_cbranch_execz .LBB6_2521
; %bb.2514:                             ;   in Loop: Header=BB6_2329 Depth=4
	v_mov_b32_e32 v44, 0
	s_mov_b32 s35, exec_lo
	v_cmpx_ne_u32_e32 0, v77
	s_cbranch_execz .LBB6_2520
; %bb.2515:                             ;   in Loop: Header=BB6_2329 Depth=4
	v_bfe_u32 v44, v77, 23, 8
	s_delay_alu instid0(VALU_DEP_1) | instskip(SKIP_1) | instid1(VALU_DEP_2)
	v_sub_nc_u32_e32 v79, 0x78, v44
	v_cmp_gt_u32_e32 vcc_lo, 0x79, v44
	v_dual_cndmask_b32 v79, 0, v79 :: v_dual_and_b32 v78, 0x7fffff, v77
	s_delay_alu instid0(VALU_DEP_1) | instskip(SKIP_2) | instid1(VALU_DEP_4)
	v_or_b32_e32 v88, 0x800000, v78
	v_cmp_eq_u32_e32 vcc_lo, 0, v44
	v_add_nc_u32_e32 v44, 0xffffff89, v44
	v_cndmask_b32_e64 v79, v79, 0x77, vcc_lo
	s_delay_alu instid0(VALU_DEP_2) | instskip(SKIP_1) | instid1(VALU_DEP_3)
	v_cndmask_b32_e64 v44, v44, 0xffffff8a, vcc_lo
	v_cndmask_b32_e32 v78, v88, v78, vcc_lo
	v_lshl_add_u32 v88, 0x100000, v79, -1
	v_lshlrev_b32_e64 v91, v79, 0x80000
	s_delay_alu instid0(VALU_DEP_3) | instskip(SKIP_1) | instid1(VALU_DEP_4)
	v_lshrrev_b32_e32 v89, v79, v78
	v_add_nc_u32_e32 v79, v79, v44
	v_and_b32_e32 v78, v88, v78
	s_delay_alu instid0(VALU_DEP_3) | instskip(NEXT) | instid1(VALU_DEP_2)
	v_bfe_u32 v90, v89, 20, 1
	v_cmp_eq_u32_e64 s13, v78, v91
	s_delay_alu instid0(VALU_DEP_2) | instskip(NEXT) | instid1(VALU_DEP_1)
	v_add_nc_u32_e32 v88, -1, v90
	v_cndmask_b32_e64 v78, 0, v88, s13
	v_lshrrev_b32_e32 v88, 23, v89
	s_mov_b32 s13, exec_lo
	s_delay_alu instid0(VALU_DEP_2) | instskip(NEXT) | instid1(VALU_DEP_2)
	v_add_nc_u32_e32 v78, v78, v89
	v_xor_b32_e32 v88, 1, v88
	s_delay_alu instid0(VALU_DEP_2) | instskip(NEXT) | instid1(VALU_DEP_1)
	v_and_b32_e32 v44, 0xfffff, v78
	v_add_nc_u32_e32 v78, v44, v89
                                        ; implicit-def: $vgpr44
	s_delay_alu instid0(VALU_DEP_3)
	v_cmpx_ne_u32_e64 v79, v88
	s_xor_b32 s13, exec_lo, s13
; %bb.2516:                             ;   in Loop: Header=BB6_2329 Depth=4
	s_delay_alu instid0(VALU_DEP_2) | instskip(SKIP_2) | instid1(VALU_DEP_2)
	v_cmp_lt_u32_e32 vcc_lo, 0xffffff, v78
	v_sub_nc_u32_e32 v44, v79, v88
	v_cndmask_b32_e64 v79, 0, 1, vcc_lo
	v_add_co_ci_u32_e32 v44, vcc_lo, 0, v44, vcc_lo
	s_delay_alu instid0(VALU_DEP_2)
	v_lshrrev_b32_e32 v78, v79, v78
; %bb.2517:                             ;   in Loop: Header=BB6_2329 Depth=4
	s_and_not1_saveexec_b32 s13, s13
; %bb.2518:                             ;   in Loop: Header=BB6_2329 Depth=4
	s_delay_alu instid0(VALU_DEP_1)
	v_bfe_u32 v44, v78, 23, 1
; %bb.2519:                             ;   in Loop: Header=BB6_2329 Depth=4
	s_or_b32 exec_lo, exec_lo, s13
	v_lshrrev_b32_e32 v78, 20, v78
	s_delay_alu instid0(VALU_DEP_2) | instskip(SKIP_2) | instid1(VALU_DEP_2)
	v_cmp_gt_i32_e32 vcc_lo, 16, v44
	v_lshrrev_b32_e32 v77, 24, v77
	v_min_i32_e32 v79, 15, v44
	v_dual_cndmask_b32 v78, 7, v78 :: v_dual_and_b32 v77, 0x80, v77
	s_delay_alu instid0(VALU_DEP_1) | instskip(SKIP_1) | instid1(VALU_DEP_2)
	v_or_b32_e32 v44, v44, v78
	v_and_b32_e32 v88, 7, v78
	v_cmp_ne_u32_e32 vcc_lo, 0, v44
	v_lshlrev_b32_e32 v79, 3, v79
	s_delay_alu instid0(VALU_DEP_1) | instskip(NEXT) | instid1(VALU_DEP_1)
	v_or3_b32 v77, v79, v77, v88
	v_cndmask_b32_e32 v44, 0, v77, vcc_lo
.LBB6_2520:                             ;   in Loop: Header=BB6_2329 Depth=4
	s_or_b32 exec_lo, exec_lo, s35
.LBB6_2521:                             ;   in Loop: Header=BB6_2329 Depth=4
	s_delay_alu instid0(SALU_CYCLE_1) | instskip(SKIP_3) | instid1(VALU_DEP_1)
	s_or_b32 exec_lo, exec_lo, s34
	v_and_b32_e32 v78, 0xff, v76
	s_mov_b32 s13, 0
	s_mov_b32 s35, exec_lo
                                        ; implicit-def: $sgpr34
	v_cmpx_lt_i16_e32 0x7f, v78
	s_xor_b32 s35, exec_lo, s35
	s_cbranch_execnz .LBB6_2935
; %bb.2522:                             ;   in Loop: Header=BB6_2329 Depth=4
	s_or_saveexec_b32 s35, s35
	v_mov_b32_e32 v77, s34
	s_xor_b32 exec_lo, exec_lo, s35
	s_cbranch_execnz .LBB6_2938
.LBB6_2523:                             ;   in Loop: Header=BB6_2329 Depth=4
	s_or_b32 exec_lo, exec_lo, s35
	s_and_saveexec_b32 s34, s13
	s_cbranch_execz .LBB6_2525
.LBB6_2524:                             ;   in Loop: Header=BB6_2329 Depth=4
	v_lshrrev_b16 v88, 3, v76
	s_delay_alu instid0(VALU_DEP_1) | instskip(NEXT) | instid1(VALU_DEP_1)
	v_and_b32_e32 v88, 15, v88
	v_cmp_eq_u32_e32 vcc_lo, 0, v88
	v_and_b32_e32 v77, 7, v76
	s_delay_alu instid0(VALU_DEP_1) | instskip(NEXT) | instid1(VALU_DEP_1)
	v_clz_i32_u32_e32 v78, v77
	v_min_u32_e32 v78, 32, v78
	s_delay_alu instid0(VALU_DEP_1) | instskip(SKIP_1) | instid1(VALU_DEP_1)
	v_subrev_nc_u32_e32 v79, 28, v78
	v_sub_nc_u32_e32 v78, 29, v78
	v_dual_cndmask_b32 v78, v88, v78 :: v_dual_lshlrev_b32 v79, v79, v76
	v_lshlrev_b32_e32 v76, 24, v76
	s_delay_alu instid0(VALU_DEP_2) | instskip(NEXT) | instid1(VALU_DEP_3)
	v_and_b32_e32 v79, 7, v79
	v_lshl_add_u32 v78, v78, 23, 0x3b800000
	s_delay_alu instid0(VALU_DEP_2) | instskip(NEXT) | instid1(VALU_DEP_1)
	v_dual_cndmask_b32 v77, v77, v79 :: v_dual_and_b32 v76, 0x80000000, v76
	v_lshlrev_b32_e32 v77, 20, v77
	s_delay_alu instid0(VALU_DEP_1)
	v_or3_b32 v77, v76, v78, v77
.LBB6_2525:                             ;   in Loop: Header=BB6_2329 Depth=4
	s_or_b32 exec_lo, exec_lo, s34
	s_waitcnt vmcnt(19) lgkmcnt(19)
	v_and_b32_e32 v78, 0xff, v47
	s_mov_b32 s13, 0
	s_mov_b32 s35, exec_lo
                                        ; implicit-def: $sgpr34
	s_delay_alu instid0(VALU_DEP_1)
	v_cmpx_lt_i16_e32 0x7f, v78
	s_xor_b32 s35, exec_lo, s35
	s_cbranch_execnz .LBB6_2939
; %bb.2526:                             ;   in Loop: Header=BB6_2329 Depth=4
	s_or_saveexec_b32 s35, s35
	v_mov_b32_e32 v76, s34
	s_xor_b32 exec_lo, exec_lo, s35
	s_cbranch_execnz .LBB6_2942
.LBB6_2527:                             ;   in Loop: Header=BB6_2329 Depth=4
	s_or_b32 exec_lo, exec_lo, s35
	s_and_saveexec_b32 s34, s13
	s_cbranch_execz .LBB6_2529
.LBB6_2528:                             ;   in Loop: Header=BB6_2329 Depth=4
	v_and_b32_e32 v76, 7, v47
	v_lshrrev_b16 v88, 3, v47
	s_delay_alu instid0(VALU_DEP_2) | instskip(NEXT) | instid1(VALU_DEP_2)
	v_clz_i32_u32_e32 v78, v76
	v_and_b32_e32 v88, 15, v88
	s_delay_alu instid0(VALU_DEP_2) | instskip(NEXT) | instid1(VALU_DEP_2)
	v_min_u32_e32 v78, 32, v78
	v_cmp_eq_u32_e32 vcc_lo, 0, v88
	s_delay_alu instid0(VALU_DEP_2) | instskip(SKIP_1) | instid1(VALU_DEP_1)
	v_subrev_nc_u32_e32 v79, 28, v78
	v_sub_nc_u32_e32 v78, 29, v78
	v_dual_cndmask_b32 v78, v88, v78 :: v_dual_lshlrev_b32 v79, v79, v47
	v_lshlrev_b32_e32 v47, 24, v47
	s_delay_alu instid0(VALU_DEP_2) | instskip(NEXT) | instid1(VALU_DEP_3)
	v_and_b32_e32 v79, 7, v79
	v_lshl_add_u32 v78, v78, 23, 0x3b800000
	s_delay_alu instid0(VALU_DEP_3) | instskip(NEXT) | instid1(VALU_DEP_3)
	v_and_b32_e32 v47, 0x80000000, v47
	v_cndmask_b32_e32 v76, v76, v79, vcc_lo
	s_delay_alu instid0(VALU_DEP_1) | instskip(NEXT) | instid1(VALU_DEP_1)
	v_lshlrev_b32_e32 v76, 20, v76
	v_or3_b32 v76, v47, v78, v76
.LBB6_2529:                             ;   in Loop: Header=BB6_2329 Depth=4
	s_or_b32 exec_lo, exec_lo, s34
	s_delay_alu instid0(VALU_DEP_1) | instskip(NEXT) | instid1(VALU_DEP_1)
	v_add_f32_e32 v76, v77, v76
	v_and_b32_e32 v47, 0x7f800000, v76
	s_delay_alu instid0(VALU_DEP_1)
	v_cmp_ne_u32_e32 vcc_lo, 0x7f800000, v47
	v_mov_b32_e32 v47, 0x80
	s_and_saveexec_b32 s34, vcc_lo
	s_cbranch_execz .LBB6_2537
; %bb.2530:                             ;   in Loop: Header=BB6_2329 Depth=4
	v_mov_b32_e32 v47, 0
	s_mov_b32 s35, exec_lo
	v_cmpx_ne_u32_e32 0, v76
	s_cbranch_execz .LBB6_2536
; %bb.2531:                             ;   in Loop: Header=BB6_2329 Depth=4
	v_bfe_u32 v47, v76, 23, 8
	s_delay_alu instid0(VALU_DEP_1) | instskip(SKIP_1) | instid1(VALU_DEP_2)
	v_sub_nc_u32_e32 v78, 0x78, v47
	v_cmp_gt_u32_e32 vcc_lo, 0x79, v47
	v_dual_cndmask_b32 v78, 0, v78 :: v_dual_and_b32 v77, 0x7fffff, v76
	s_delay_alu instid0(VALU_DEP_1) | instskip(SKIP_2) | instid1(VALU_DEP_4)
	v_or_b32_e32 v79, 0x800000, v77
	v_cmp_eq_u32_e32 vcc_lo, 0, v47
	v_add_nc_u32_e32 v47, 0xffffff89, v47
	v_cndmask_b32_e64 v78, v78, 0x77, vcc_lo
	s_delay_alu instid0(VALU_DEP_2) | instskip(SKIP_1) | instid1(VALU_DEP_3)
	v_cndmask_b32_e64 v47, v47, 0xffffff8a, vcc_lo
	v_cndmask_b32_e32 v77, v79, v77, vcc_lo
	v_lshl_add_u32 v79, 0x100000, v78, -1
	v_lshlrev_b32_e64 v90, v78, 0x80000
	s_delay_alu instid0(VALU_DEP_3) | instskip(SKIP_1) | instid1(VALU_DEP_4)
	v_lshrrev_b32_e32 v88, v78, v77
	v_add_nc_u32_e32 v78, v78, v47
	v_and_b32_e32 v77, v79, v77
	s_delay_alu instid0(VALU_DEP_3) | instskip(NEXT) | instid1(VALU_DEP_2)
	v_bfe_u32 v89, v88, 20, 1
	v_cmp_eq_u32_e64 s13, v77, v90
	s_delay_alu instid0(VALU_DEP_2) | instskip(NEXT) | instid1(VALU_DEP_1)
	v_add_nc_u32_e32 v79, -1, v89
	v_cndmask_b32_e64 v77, 0, v79, s13
	v_lshrrev_b32_e32 v79, 23, v88
	s_mov_b32 s13, exec_lo
	s_delay_alu instid0(VALU_DEP_2) | instskip(NEXT) | instid1(VALU_DEP_2)
	v_add_nc_u32_e32 v77, v77, v88
	v_xor_b32_e32 v79, 1, v79
	s_delay_alu instid0(VALU_DEP_2) | instskip(NEXT) | instid1(VALU_DEP_1)
	v_and_b32_e32 v47, 0xfffff, v77
	v_add_nc_u32_e32 v77, v47, v88
                                        ; implicit-def: $vgpr47
	s_delay_alu instid0(VALU_DEP_3)
	v_cmpx_ne_u32_e64 v78, v79
	s_xor_b32 s13, exec_lo, s13
; %bb.2532:                             ;   in Loop: Header=BB6_2329 Depth=4
	s_delay_alu instid0(VALU_DEP_2) | instskip(SKIP_2) | instid1(VALU_DEP_2)
	v_cmp_lt_u32_e32 vcc_lo, 0xffffff, v77
	v_sub_nc_u32_e32 v47, v78, v79
	v_cndmask_b32_e64 v78, 0, 1, vcc_lo
	v_add_co_ci_u32_e32 v47, vcc_lo, 0, v47, vcc_lo
	s_delay_alu instid0(VALU_DEP_2)
	v_lshrrev_b32_e32 v77, v78, v77
; %bb.2533:                             ;   in Loop: Header=BB6_2329 Depth=4
	s_and_not1_saveexec_b32 s13, s13
; %bb.2534:                             ;   in Loop: Header=BB6_2329 Depth=4
	s_delay_alu instid0(VALU_DEP_1)
	v_bfe_u32 v47, v77, 23, 1
; %bb.2535:                             ;   in Loop: Header=BB6_2329 Depth=4
	s_or_b32 exec_lo, exec_lo, s13
	v_lshrrev_b32_e32 v77, 20, v77
	s_delay_alu instid0(VALU_DEP_2) | instskip(SKIP_2) | instid1(VALU_DEP_2)
	v_cmp_gt_i32_e32 vcc_lo, 16, v47
	v_lshrrev_b32_e32 v76, 24, v76
	v_min_i32_e32 v78, 15, v47
	v_dual_cndmask_b32 v77, 7, v77 :: v_dual_and_b32 v76, 0x80, v76
	s_delay_alu instid0(VALU_DEP_1) | instskip(SKIP_1) | instid1(VALU_DEP_2)
	v_or_b32_e32 v47, v47, v77
	v_and_b32_e32 v79, 7, v77
	v_cmp_ne_u32_e32 vcc_lo, 0, v47
	v_lshlrev_b32_e32 v78, 3, v78
	s_delay_alu instid0(VALU_DEP_1) | instskip(NEXT) | instid1(VALU_DEP_1)
	v_or3_b32 v76, v78, v76, v79
	v_cndmask_b32_e32 v47, 0, v76, vcc_lo
.LBB6_2536:                             ;   in Loop: Header=BB6_2329 Depth=4
	s_or_b32 exec_lo, exec_lo, s35
.LBB6_2537:                             ;   in Loop: Header=BB6_2329 Depth=4
	s_delay_alu instid0(SALU_CYCLE_1) | instskip(SKIP_3) | instid1(VALU_DEP_1)
	s_or_b32 exec_lo, exec_lo, s34
	v_and_b32_e32 v77, 0xff, v75
	s_mov_b32 s13, 0
	s_mov_b32 s35, exec_lo
                                        ; implicit-def: $sgpr34
	v_cmpx_lt_i16_e32 0x7f, v77
	s_xor_b32 s35, exec_lo, s35
	s_cbranch_execnz .LBB6_2943
; %bb.2538:                             ;   in Loop: Header=BB6_2329 Depth=4
	s_or_saveexec_b32 s35, s35
	v_mov_b32_e32 v76, s34
	s_xor_b32 exec_lo, exec_lo, s35
	s_cbranch_execnz .LBB6_2946
.LBB6_2539:                             ;   in Loop: Header=BB6_2329 Depth=4
	s_or_b32 exec_lo, exec_lo, s35
	s_and_saveexec_b32 s34, s13
	s_cbranch_execz .LBB6_2541
.LBB6_2540:                             ;   in Loop: Header=BB6_2329 Depth=4
	v_lshrrev_b16 v79, 3, v75
	s_delay_alu instid0(VALU_DEP_1) | instskip(NEXT) | instid1(VALU_DEP_1)
	v_and_b32_e32 v79, 15, v79
	v_cmp_eq_u32_e32 vcc_lo, 0, v79
	v_and_b32_e32 v76, 7, v75
	s_delay_alu instid0(VALU_DEP_1) | instskip(NEXT) | instid1(VALU_DEP_1)
	v_clz_i32_u32_e32 v77, v76
	v_min_u32_e32 v77, 32, v77
	s_delay_alu instid0(VALU_DEP_1) | instskip(SKIP_1) | instid1(VALU_DEP_1)
	v_subrev_nc_u32_e32 v78, 28, v77
	v_sub_nc_u32_e32 v77, 29, v77
	v_dual_cndmask_b32 v77, v79, v77 :: v_dual_lshlrev_b32 v78, v78, v75
	v_lshlrev_b32_e32 v75, 24, v75
	s_delay_alu instid0(VALU_DEP_2) | instskip(NEXT) | instid1(VALU_DEP_3)
	v_and_b32_e32 v78, 7, v78
	v_lshl_add_u32 v77, v77, 23, 0x3b800000
	s_delay_alu instid0(VALU_DEP_2) | instskip(NEXT) | instid1(VALU_DEP_1)
	v_dual_cndmask_b32 v76, v76, v78 :: v_dual_and_b32 v75, 0x80000000, v75
	v_lshlrev_b32_e32 v76, 20, v76
	s_delay_alu instid0(VALU_DEP_1)
	v_or3_b32 v76, v75, v77, v76
.LBB6_2541:                             ;   in Loop: Header=BB6_2329 Depth=4
	s_or_b32 exec_lo, exec_lo, s34
	s_waitcnt vmcnt(18) lgkmcnt(18)
	v_and_b32_e32 v77, 0xff, v58
	s_mov_b32 s13, 0
	s_mov_b32 s35, exec_lo
                                        ; implicit-def: $sgpr34
	s_delay_alu instid0(VALU_DEP_1)
	v_cmpx_lt_i16_e32 0x7f, v77
	s_xor_b32 s35, exec_lo, s35
	s_cbranch_execnz .LBB6_2947
; %bb.2542:                             ;   in Loop: Header=BB6_2329 Depth=4
	s_or_saveexec_b32 s35, s35
	v_mov_b32_e32 v75, s34
	s_xor_b32 exec_lo, exec_lo, s35
	s_cbranch_execnz .LBB6_2950
.LBB6_2543:                             ;   in Loop: Header=BB6_2329 Depth=4
	s_or_b32 exec_lo, exec_lo, s35
	s_and_saveexec_b32 s34, s13
	s_cbranch_execz .LBB6_2545
.LBB6_2544:                             ;   in Loop: Header=BB6_2329 Depth=4
	v_and_b32_e32 v75, 7, v58
	v_lshrrev_b16 v79, 3, v58
	s_delay_alu instid0(VALU_DEP_2) | instskip(NEXT) | instid1(VALU_DEP_2)
	v_clz_i32_u32_e32 v77, v75
	v_and_b32_e32 v79, 15, v79
	s_delay_alu instid0(VALU_DEP_2) | instskip(NEXT) | instid1(VALU_DEP_2)
	v_min_u32_e32 v77, 32, v77
	v_cmp_eq_u32_e32 vcc_lo, 0, v79
	s_delay_alu instid0(VALU_DEP_2) | instskip(SKIP_1) | instid1(VALU_DEP_1)
	v_subrev_nc_u32_e32 v78, 28, v77
	v_sub_nc_u32_e32 v77, 29, v77
	v_dual_cndmask_b32 v77, v79, v77 :: v_dual_lshlrev_b32 v78, v78, v58
	v_lshlrev_b32_e32 v58, 24, v58
	s_delay_alu instid0(VALU_DEP_2) | instskip(NEXT) | instid1(VALU_DEP_3)
	v_and_b32_e32 v78, 7, v78
	v_lshl_add_u32 v77, v77, 23, 0x3b800000
	s_delay_alu instid0(VALU_DEP_3) | instskip(NEXT) | instid1(VALU_DEP_3)
	v_and_b32_e32 v58, 0x80000000, v58
	v_cndmask_b32_e32 v75, v75, v78, vcc_lo
	s_delay_alu instid0(VALU_DEP_1) | instskip(NEXT) | instid1(VALU_DEP_1)
	v_lshlrev_b32_e32 v75, 20, v75
	v_or3_b32 v75, v58, v77, v75
.LBB6_2545:                             ;   in Loop: Header=BB6_2329 Depth=4
	s_or_b32 exec_lo, exec_lo, s34
	s_delay_alu instid0(VALU_DEP_1) | instskip(NEXT) | instid1(VALU_DEP_1)
	v_add_f32_e32 v75, v76, v75
	v_and_b32_e32 v58, 0x7f800000, v75
	s_delay_alu instid0(VALU_DEP_1)
	v_cmp_ne_u32_e32 vcc_lo, 0x7f800000, v58
	v_mov_b32_e32 v58, 0x80
	s_and_saveexec_b32 s34, vcc_lo
	s_cbranch_execz .LBB6_2553
; %bb.2546:                             ;   in Loop: Header=BB6_2329 Depth=4
	v_mov_b32_e32 v58, 0
	s_mov_b32 s35, exec_lo
	v_cmpx_ne_u32_e32 0, v75
	s_cbranch_execz .LBB6_2552
; %bb.2547:                             ;   in Loop: Header=BB6_2329 Depth=4
	v_bfe_u32 v58, v75, 23, 8
	s_delay_alu instid0(VALU_DEP_1) | instskip(SKIP_1) | instid1(VALU_DEP_2)
	v_sub_nc_u32_e32 v77, 0x78, v58
	v_cmp_gt_u32_e32 vcc_lo, 0x79, v58
	v_dual_cndmask_b32 v77, 0, v77 :: v_dual_and_b32 v76, 0x7fffff, v75
	s_delay_alu instid0(VALU_DEP_1) | instskip(SKIP_2) | instid1(VALU_DEP_4)
	v_or_b32_e32 v78, 0x800000, v76
	v_cmp_eq_u32_e32 vcc_lo, 0, v58
	v_add_nc_u32_e32 v58, 0xffffff89, v58
	v_cndmask_b32_e64 v77, v77, 0x77, vcc_lo
	s_delay_alu instid0(VALU_DEP_2) | instskip(SKIP_1) | instid1(VALU_DEP_3)
	v_cndmask_b32_e64 v58, v58, 0xffffff8a, vcc_lo
	v_cndmask_b32_e32 v76, v78, v76, vcc_lo
	v_lshl_add_u32 v78, 0x100000, v77, -1
	v_lshlrev_b32_e64 v89, v77, 0x80000
	s_delay_alu instid0(VALU_DEP_3) | instskip(SKIP_1) | instid1(VALU_DEP_4)
	v_lshrrev_b32_e32 v79, v77, v76
	v_add_nc_u32_e32 v77, v77, v58
	v_and_b32_e32 v76, v78, v76
	s_delay_alu instid0(VALU_DEP_3) | instskip(NEXT) | instid1(VALU_DEP_2)
	v_bfe_u32 v88, v79, 20, 1
	v_cmp_eq_u32_e64 s13, v76, v89
	s_delay_alu instid0(VALU_DEP_2) | instskip(NEXT) | instid1(VALU_DEP_1)
	v_add_nc_u32_e32 v78, -1, v88
	v_cndmask_b32_e64 v76, 0, v78, s13
	v_lshrrev_b32_e32 v78, 23, v79
	s_mov_b32 s13, exec_lo
	s_delay_alu instid0(VALU_DEP_2) | instskip(NEXT) | instid1(VALU_DEP_2)
	v_add_nc_u32_e32 v76, v76, v79
	v_xor_b32_e32 v78, 1, v78
	s_delay_alu instid0(VALU_DEP_2) | instskip(NEXT) | instid1(VALU_DEP_1)
	v_and_b32_e32 v58, 0xfffff, v76
	v_add_nc_u32_e32 v76, v58, v79
                                        ; implicit-def: $vgpr58
	s_delay_alu instid0(VALU_DEP_3)
	v_cmpx_ne_u32_e64 v77, v78
	s_xor_b32 s13, exec_lo, s13
; %bb.2548:                             ;   in Loop: Header=BB6_2329 Depth=4
	s_delay_alu instid0(VALU_DEP_2) | instskip(SKIP_2) | instid1(VALU_DEP_2)
	v_cmp_lt_u32_e32 vcc_lo, 0xffffff, v76
	v_sub_nc_u32_e32 v58, v77, v78
	v_cndmask_b32_e64 v77, 0, 1, vcc_lo
	v_add_co_ci_u32_e32 v58, vcc_lo, 0, v58, vcc_lo
	s_delay_alu instid0(VALU_DEP_2)
	v_lshrrev_b32_e32 v76, v77, v76
; %bb.2549:                             ;   in Loop: Header=BB6_2329 Depth=4
	s_and_not1_saveexec_b32 s13, s13
; %bb.2550:                             ;   in Loop: Header=BB6_2329 Depth=4
	s_delay_alu instid0(VALU_DEP_1)
	v_bfe_u32 v58, v76, 23, 1
; %bb.2551:                             ;   in Loop: Header=BB6_2329 Depth=4
	s_or_b32 exec_lo, exec_lo, s13
	v_lshrrev_b32_e32 v76, 20, v76
	s_delay_alu instid0(VALU_DEP_2) | instskip(SKIP_2) | instid1(VALU_DEP_2)
	v_cmp_gt_i32_e32 vcc_lo, 16, v58
	v_lshrrev_b32_e32 v75, 24, v75
	v_min_i32_e32 v77, 15, v58
	v_dual_cndmask_b32 v76, 7, v76 :: v_dual_and_b32 v75, 0x80, v75
	s_delay_alu instid0(VALU_DEP_1) | instskip(SKIP_1) | instid1(VALU_DEP_2)
	v_or_b32_e32 v58, v58, v76
	v_and_b32_e32 v78, 7, v76
	v_cmp_ne_u32_e32 vcc_lo, 0, v58
	v_lshlrev_b32_e32 v77, 3, v77
	s_delay_alu instid0(VALU_DEP_1) | instskip(NEXT) | instid1(VALU_DEP_1)
	v_or3_b32 v75, v77, v75, v78
	v_cndmask_b32_e32 v58, 0, v75, vcc_lo
.LBB6_2552:                             ;   in Loop: Header=BB6_2329 Depth=4
	s_or_b32 exec_lo, exec_lo, s35
.LBB6_2553:                             ;   in Loop: Header=BB6_2329 Depth=4
	s_delay_alu instid0(SALU_CYCLE_1) | instskip(SKIP_3) | instid1(VALU_DEP_1)
	s_or_b32 exec_lo, exec_lo, s34
	v_and_b32_e32 v76, 0xff, v74
	s_mov_b32 s13, 0
	s_mov_b32 s35, exec_lo
                                        ; implicit-def: $sgpr34
	v_cmpx_lt_i16_e32 0x7f, v76
	s_xor_b32 s35, exec_lo, s35
	s_cbranch_execnz .LBB6_2951
; %bb.2554:                             ;   in Loop: Header=BB6_2329 Depth=4
	s_or_saveexec_b32 s35, s35
	v_mov_b32_e32 v75, s34
	s_xor_b32 exec_lo, exec_lo, s35
	s_cbranch_execnz .LBB6_2954
.LBB6_2555:                             ;   in Loop: Header=BB6_2329 Depth=4
	s_or_b32 exec_lo, exec_lo, s35
	s_and_saveexec_b32 s34, s13
	s_cbranch_execz .LBB6_2557
.LBB6_2556:                             ;   in Loop: Header=BB6_2329 Depth=4
	v_lshrrev_b16 v78, 3, v74
	s_delay_alu instid0(VALU_DEP_1) | instskip(NEXT) | instid1(VALU_DEP_1)
	v_and_b32_e32 v78, 15, v78
	v_cmp_eq_u32_e32 vcc_lo, 0, v78
	v_and_b32_e32 v75, 7, v74
	s_delay_alu instid0(VALU_DEP_1) | instskip(NEXT) | instid1(VALU_DEP_1)
	v_clz_i32_u32_e32 v76, v75
	v_min_u32_e32 v76, 32, v76
	s_delay_alu instid0(VALU_DEP_1) | instskip(SKIP_1) | instid1(VALU_DEP_1)
	v_subrev_nc_u32_e32 v77, 28, v76
	v_sub_nc_u32_e32 v76, 29, v76
	v_dual_cndmask_b32 v76, v78, v76 :: v_dual_lshlrev_b32 v77, v77, v74
	v_lshlrev_b32_e32 v74, 24, v74
	s_delay_alu instid0(VALU_DEP_2) | instskip(NEXT) | instid1(VALU_DEP_3)
	v_and_b32_e32 v77, 7, v77
	v_lshl_add_u32 v76, v76, 23, 0x3b800000
	s_delay_alu instid0(VALU_DEP_2) | instskip(NEXT) | instid1(VALU_DEP_1)
	v_dual_cndmask_b32 v75, v75, v77 :: v_dual_and_b32 v74, 0x80000000, v74
	v_lshlrev_b32_e32 v75, 20, v75
	s_delay_alu instid0(VALU_DEP_1)
	v_or3_b32 v75, v74, v76, v75
.LBB6_2557:                             ;   in Loop: Header=BB6_2329 Depth=4
	s_or_b32 exec_lo, exec_lo, s34
	s_waitcnt vmcnt(17) lgkmcnt(17)
	v_and_b32_e32 v76, 0xff, v61
	s_mov_b32 s13, 0
	s_mov_b32 s35, exec_lo
                                        ; implicit-def: $sgpr34
	s_delay_alu instid0(VALU_DEP_1)
	v_cmpx_lt_i16_e32 0x7f, v76
	s_xor_b32 s35, exec_lo, s35
	s_cbranch_execnz .LBB6_2955
; %bb.2558:                             ;   in Loop: Header=BB6_2329 Depth=4
	s_or_saveexec_b32 s35, s35
	v_mov_b32_e32 v74, s34
	s_xor_b32 exec_lo, exec_lo, s35
	s_cbranch_execnz .LBB6_2958
.LBB6_2559:                             ;   in Loop: Header=BB6_2329 Depth=4
	s_or_b32 exec_lo, exec_lo, s35
	s_and_saveexec_b32 s34, s13
	s_cbranch_execz .LBB6_2561
.LBB6_2560:                             ;   in Loop: Header=BB6_2329 Depth=4
	v_and_b32_e32 v74, 7, v61
	v_lshrrev_b16 v78, 3, v61
	s_delay_alu instid0(VALU_DEP_2) | instskip(NEXT) | instid1(VALU_DEP_2)
	v_clz_i32_u32_e32 v76, v74
	v_and_b32_e32 v78, 15, v78
	s_delay_alu instid0(VALU_DEP_2) | instskip(NEXT) | instid1(VALU_DEP_2)
	v_min_u32_e32 v76, 32, v76
	v_cmp_eq_u32_e32 vcc_lo, 0, v78
	s_delay_alu instid0(VALU_DEP_2) | instskip(SKIP_1) | instid1(VALU_DEP_1)
	v_subrev_nc_u32_e32 v77, 28, v76
	v_sub_nc_u32_e32 v76, 29, v76
	v_dual_cndmask_b32 v76, v78, v76 :: v_dual_lshlrev_b32 v77, v77, v61
	v_lshlrev_b32_e32 v61, 24, v61
	s_delay_alu instid0(VALU_DEP_2) | instskip(NEXT) | instid1(VALU_DEP_3)
	v_and_b32_e32 v77, 7, v77
	v_lshl_add_u32 v76, v76, 23, 0x3b800000
	s_delay_alu instid0(VALU_DEP_3) | instskip(NEXT) | instid1(VALU_DEP_3)
	v_and_b32_e32 v61, 0x80000000, v61
	v_cndmask_b32_e32 v74, v74, v77, vcc_lo
	s_delay_alu instid0(VALU_DEP_1) | instskip(NEXT) | instid1(VALU_DEP_1)
	v_lshlrev_b32_e32 v74, 20, v74
	v_or3_b32 v74, v61, v76, v74
.LBB6_2561:                             ;   in Loop: Header=BB6_2329 Depth=4
	s_or_b32 exec_lo, exec_lo, s34
	s_delay_alu instid0(VALU_DEP_1) | instskip(NEXT) | instid1(VALU_DEP_1)
	v_add_f32_e32 v74, v75, v74
	v_and_b32_e32 v61, 0x7f800000, v74
	s_delay_alu instid0(VALU_DEP_1)
	v_cmp_ne_u32_e32 vcc_lo, 0x7f800000, v61
	v_mov_b32_e32 v61, 0x80
	s_and_saveexec_b32 s34, vcc_lo
	s_cbranch_execz .LBB6_2569
; %bb.2562:                             ;   in Loop: Header=BB6_2329 Depth=4
	v_mov_b32_e32 v61, 0
	s_mov_b32 s35, exec_lo
	v_cmpx_ne_u32_e32 0, v74
	s_cbranch_execz .LBB6_2568
; %bb.2563:                             ;   in Loop: Header=BB6_2329 Depth=4
	v_bfe_u32 v61, v74, 23, 8
	s_delay_alu instid0(VALU_DEP_1) | instskip(SKIP_1) | instid1(VALU_DEP_2)
	v_sub_nc_u32_e32 v76, 0x78, v61
	v_cmp_gt_u32_e32 vcc_lo, 0x79, v61
	v_dual_cndmask_b32 v76, 0, v76 :: v_dual_and_b32 v75, 0x7fffff, v74
	s_delay_alu instid0(VALU_DEP_1) | instskip(SKIP_2) | instid1(VALU_DEP_4)
	v_or_b32_e32 v77, 0x800000, v75
	v_cmp_eq_u32_e32 vcc_lo, 0, v61
	v_add_nc_u32_e32 v61, 0xffffff89, v61
	v_cndmask_b32_e64 v76, v76, 0x77, vcc_lo
	s_delay_alu instid0(VALU_DEP_2) | instskip(SKIP_1) | instid1(VALU_DEP_3)
	v_cndmask_b32_e64 v61, v61, 0xffffff8a, vcc_lo
	v_cndmask_b32_e32 v75, v77, v75, vcc_lo
	v_lshl_add_u32 v77, 0x100000, v76, -1
	v_lshlrev_b32_e64 v88, v76, 0x80000
	s_delay_alu instid0(VALU_DEP_3) | instskip(SKIP_1) | instid1(VALU_DEP_4)
	v_lshrrev_b32_e32 v78, v76, v75
	v_add_nc_u32_e32 v76, v76, v61
	v_and_b32_e32 v75, v77, v75
	s_delay_alu instid0(VALU_DEP_3) | instskip(NEXT) | instid1(VALU_DEP_2)
	v_bfe_u32 v79, v78, 20, 1
	v_cmp_eq_u32_e64 s13, v75, v88
	s_delay_alu instid0(VALU_DEP_2) | instskip(NEXT) | instid1(VALU_DEP_1)
	v_add_nc_u32_e32 v77, -1, v79
	v_cndmask_b32_e64 v75, 0, v77, s13
	v_lshrrev_b32_e32 v77, 23, v78
	s_mov_b32 s13, exec_lo
	s_delay_alu instid0(VALU_DEP_2) | instskip(NEXT) | instid1(VALU_DEP_2)
	v_add_nc_u32_e32 v75, v75, v78
	v_xor_b32_e32 v77, 1, v77
	s_delay_alu instid0(VALU_DEP_2) | instskip(NEXT) | instid1(VALU_DEP_1)
	v_and_b32_e32 v61, 0xfffff, v75
	v_add_nc_u32_e32 v75, v61, v78
                                        ; implicit-def: $vgpr61
	s_delay_alu instid0(VALU_DEP_3)
	v_cmpx_ne_u32_e64 v76, v77
	s_xor_b32 s13, exec_lo, s13
; %bb.2564:                             ;   in Loop: Header=BB6_2329 Depth=4
	s_delay_alu instid0(VALU_DEP_2) | instskip(SKIP_2) | instid1(VALU_DEP_2)
	v_cmp_lt_u32_e32 vcc_lo, 0xffffff, v75
	v_sub_nc_u32_e32 v61, v76, v77
	v_cndmask_b32_e64 v76, 0, 1, vcc_lo
	v_add_co_ci_u32_e32 v61, vcc_lo, 0, v61, vcc_lo
	s_delay_alu instid0(VALU_DEP_2)
	v_lshrrev_b32_e32 v75, v76, v75
; %bb.2565:                             ;   in Loop: Header=BB6_2329 Depth=4
	s_and_not1_saveexec_b32 s13, s13
; %bb.2566:                             ;   in Loop: Header=BB6_2329 Depth=4
	s_delay_alu instid0(VALU_DEP_1)
	v_bfe_u32 v61, v75, 23, 1
; %bb.2567:                             ;   in Loop: Header=BB6_2329 Depth=4
	s_or_b32 exec_lo, exec_lo, s13
	v_lshrrev_b32_e32 v75, 20, v75
	s_delay_alu instid0(VALU_DEP_2) | instskip(SKIP_2) | instid1(VALU_DEP_2)
	v_cmp_gt_i32_e32 vcc_lo, 16, v61
	v_lshrrev_b32_e32 v74, 24, v74
	v_min_i32_e32 v76, 15, v61
	v_dual_cndmask_b32 v75, 7, v75 :: v_dual_and_b32 v74, 0x80, v74
	s_delay_alu instid0(VALU_DEP_1) | instskip(SKIP_1) | instid1(VALU_DEP_2)
	v_or_b32_e32 v61, v61, v75
	v_and_b32_e32 v77, 7, v75
	v_cmp_ne_u32_e32 vcc_lo, 0, v61
	v_lshlrev_b32_e32 v76, 3, v76
	s_delay_alu instid0(VALU_DEP_1) | instskip(NEXT) | instid1(VALU_DEP_1)
	v_or3_b32 v74, v76, v74, v77
	v_cndmask_b32_e32 v61, 0, v74, vcc_lo
.LBB6_2568:                             ;   in Loop: Header=BB6_2329 Depth=4
	s_or_b32 exec_lo, exec_lo, s35
.LBB6_2569:                             ;   in Loop: Header=BB6_2329 Depth=4
	s_delay_alu instid0(SALU_CYCLE_1) | instskip(SKIP_3) | instid1(VALU_DEP_1)
	s_or_b32 exec_lo, exec_lo, s34
	v_and_b32_e32 v75, 0xff, v73
	s_mov_b32 s13, 0
	s_mov_b32 s35, exec_lo
                                        ; implicit-def: $sgpr34
	v_cmpx_lt_i16_e32 0x7f, v75
	s_xor_b32 s35, exec_lo, s35
	s_cbranch_execnz .LBB6_2959
; %bb.2570:                             ;   in Loop: Header=BB6_2329 Depth=4
	s_or_saveexec_b32 s35, s35
	v_mov_b32_e32 v74, s34
	s_xor_b32 exec_lo, exec_lo, s35
	s_cbranch_execnz .LBB6_2962
.LBB6_2571:                             ;   in Loop: Header=BB6_2329 Depth=4
	s_or_b32 exec_lo, exec_lo, s35
	s_and_saveexec_b32 s34, s13
	s_cbranch_execz .LBB6_2573
.LBB6_2572:                             ;   in Loop: Header=BB6_2329 Depth=4
	v_lshrrev_b16 v77, 3, v73
	s_delay_alu instid0(VALU_DEP_1) | instskip(NEXT) | instid1(VALU_DEP_1)
	v_and_b32_e32 v77, 15, v77
	v_cmp_eq_u32_e32 vcc_lo, 0, v77
	v_and_b32_e32 v74, 7, v73
	s_delay_alu instid0(VALU_DEP_1) | instskip(NEXT) | instid1(VALU_DEP_1)
	v_clz_i32_u32_e32 v75, v74
	v_min_u32_e32 v75, 32, v75
	s_delay_alu instid0(VALU_DEP_1) | instskip(SKIP_1) | instid1(VALU_DEP_1)
	v_subrev_nc_u32_e32 v76, 28, v75
	v_sub_nc_u32_e32 v75, 29, v75
	v_dual_cndmask_b32 v75, v77, v75 :: v_dual_lshlrev_b32 v76, v76, v73
	v_lshlrev_b32_e32 v73, 24, v73
	s_delay_alu instid0(VALU_DEP_2) | instskip(NEXT) | instid1(VALU_DEP_3)
	v_and_b32_e32 v76, 7, v76
	v_lshl_add_u32 v75, v75, 23, 0x3b800000
	s_delay_alu instid0(VALU_DEP_2) | instskip(NEXT) | instid1(VALU_DEP_1)
	v_dual_cndmask_b32 v74, v74, v76 :: v_dual_and_b32 v73, 0x80000000, v73
	v_lshlrev_b32_e32 v74, 20, v74
	s_delay_alu instid0(VALU_DEP_1)
	v_or3_b32 v74, v73, v75, v74
.LBB6_2573:                             ;   in Loop: Header=BB6_2329 Depth=4
	s_or_b32 exec_lo, exec_lo, s34
	s_waitcnt vmcnt(16) lgkmcnt(16)
	v_and_b32_e32 v75, 0xff, v72
	s_mov_b32 s13, 0
	s_mov_b32 s35, exec_lo
                                        ; implicit-def: $sgpr34
	s_delay_alu instid0(VALU_DEP_1)
	v_cmpx_lt_i16_e32 0x7f, v75
	s_xor_b32 s35, exec_lo, s35
	s_cbranch_execnz .LBB6_2963
; %bb.2574:                             ;   in Loop: Header=BB6_2329 Depth=4
	s_or_saveexec_b32 s35, s35
	v_mov_b32_e32 v73, s34
	s_xor_b32 exec_lo, exec_lo, s35
	s_cbranch_execnz .LBB6_2966
.LBB6_2575:                             ;   in Loop: Header=BB6_2329 Depth=4
	s_or_b32 exec_lo, exec_lo, s35
	s_and_saveexec_b32 s34, s13
	s_cbranch_execz .LBB6_2577
.LBB6_2576:                             ;   in Loop: Header=BB6_2329 Depth=4
	v_and_b32_e32 v73, 7, v72
	v_lshrrev_b16 v77, 3, v72
	s_delay_alu instid0(VALU_DEP_2) | instskip(NEXT) | instid1(VALU_DEP_2)
	v_clz_i32_u32_e32 v75, v73
	v_and_b32_e32 v77, 15, v77
	s_delay_alu instid0(VALU_DEP_2) | instskip(NEXT) | instid1(VALU_DEP_2)
	v_min_u32_e32 v75, 32, v75
	v_cmp_eq_u32_e32 vcc_lo, 0, v77
	s_delay_alu instid0(VALU_DEP_2) | instskip(SKIP_1) | instid1(VALU_DEP_1)
	v_subrev_nc_u32_e32 v76, 28, v75
	v_sub_nc_u32_e32 v75, 29, v75
	v_dual_cndmask_b32 v75, v77, v75 :: v_dual_lshlrev_b32 v76, v76, v72
	v_lshlrev_b32_e32 v72, 24, v72
	s_delay_alu instid0(VALU_DEP_2) | instskip(NEXT) | instid1(VALU_DEP_3)
	v_and_b32_e32 v76, 7, v76
	v_lshl_add_u32 v75, v75, 23, 0x3b800000
	s_delay_alu instid0(VALU_DEP_3) | instskip(NEXT) | instid1(VALU_DEP_3)
	v_and_b32_e32 v72, 0x80000000, v72
	v_cndmask_b32_e32 v73, v73, v76, vcc_lo
	s_delay_alu instid0(VALU_DEP_1) | instskip(NEXT) | instid1(VALU_DEP_1)
	v_lshlrev_b32_e32 v73, 20, v73
	v_or3_b32 v73, v72, v75, v73
.LBB6_2577:                             ;   in Loop: Header=BB6_2329 Depth=4
	s_or_b32 exec_lo, exec_lo, s34
	s_delay_alu instid0(VALU_DEP_1) | instskip(NEXT) | instid1(VALU_DEP_1)
	v_add_f32_e32 v73, v74, v73
	v_and_b32_e32 v72, 0x7f800000, v73
	s_delay_alu instid0(VALU_DEP_1)
	v_cmp_ne_u32_e32 vcc_lo, 0x7f800000, v72
	v_mov_b32_e32 v72, 0x80
	s_and_saveexec_b32 s34, vcc_lo
	s_cbranch_execz .LBB6_2585
; %bb.2578:                             ;   in Loop: Header=BB6_2329 Depth=4
	v_mov_b32_e32 v72, 0
	s_mov_b32 s35, exec_lo
	v_cmpx_ne_u32_e32 0, v73
	s_cbranch_execz .LBB6_2584
; %bb.2579:                             ;   in Loop: Header=BB6_2329 Depth=4
	v_bfe_u32 v72, v73, 23, 8
	s_delay_alu instid0(VALU_DEP_1) | instskip(SKIP_1) | instid1(VALU_DEP_2)
	v_sub_nc_u32_e32 v75, 0x78, v72
	v_cmp_gt_u32_e32 vcc_lo, 0x79, v72
	v_dual_cndmask_b32 v75, 0, v75 :: v_dual_and_b32 v74, 0x7fffff, v73
	s_delay_alu instid0(VALU_DEP_1) | instskip(SKIP_2) | instid1(VALU_DEP_4)
	v_or_b32_e32 v76, 0x800000, v74
	v_cmp_eq_u32_e32 vcc_lo, 0, v72
	v_add_nc_u32_e32 v72, 0xffffff89, v72
	v_cndmask_b32_e64 v75, v75, 0x77, vcc_lo
	s_delay_alu instid0(VALU_DEP_2) | instskip(SKIP_1) | instid1(VALU_DEP_3)
	v_cndmask_b32_e64 v72, v72, 0xffffff8a, vcc_lo
	v_cndmask_b32_e32 v74, v76, v74, vcc_lo
	v_lshl_add_u32 v76, 0x100000, v75, -1
	v_lshlrev_b32_e64 v79, v75, 0x80000
	s_delay_alu instid0(VALU_DEP_3) | instskip(SKIP_1) | instid1(VALU_DEP_4)
	v_lshrrev_b32_e32 v77, v75, v74
	v_add_nc_u32_e32 v75, v75, v72
	v_and_b32_e32 v74, v76, v74
	s_delay_alu instid0(VALU_DEP_3) | instskip(NEXT) | instid1(VALU_DEP_2)
	v_bfe_u32 v78, v77, 20, 1
	v_cmp_eq_u32_e64 s13, v74, v79
	s_delay_alu instid0(VALU_DEP_2) | instskip(NEXT) | instid1(VALU_DEP_1)
	v_add_nc_u32_e32 v76, -1, v78
	v_cndmask_b32_e64 v74, 0, v76, s13
	v_lshrrev_b32_e32 v76, 23, v77
	s_mov_b32 s13, exec_lo
	s_delay_alu instid0(VALU_DEP_2) | instskip(NEXT) | instid1(VALU_DEP_2)
	v_add_nc_u32_e32 v74, v74, v77
	v_xor_b32_e32 v76, 1, v76
	s_delay_alu instid0(VALU_DEP_2) | instskip(NEXT) | instid1(VALU_DEP_1)
	v_and_b32_e32 v72, 0xfffff, v74
	v_add_nc_u32_e32 v74, v72, v77
                                        ; implicit-def: $vgpr72
	s_delay_alu instid0(VALU_DEP_3)
	v_cmpx_ne_u32_e64 v75, v76
	s_xor_b32 s13, exec_lo, s13
; %bb.2580:                             ;   in Loop: Header=BB6_2329 Depth=4
	s_delay_alu instid0(VALU_DEP_2) | instskip(SKIP_2) | instid1(VALU_DEP_2)
	v_cmp_lt_u32_e32 vcc_lo, 0xffffff, v74
	v_sub_nc_u32_e32 v72, v75, v76
	v_cndmask_b32_e64 v75, 0, 1, vcc_lo
	v_add_co_ci_u32_e32 v72, vcc_lo, 0, v72, vcc_lo
	s_delay_alu instid0(VALU_DEP_2)
	v_lshrrev_b32_e32 v74, v75, v74
; %bb.2581:                             ;   in Loop: Header=BB6_2329 Depth=4
	s_and_not1_saveexec_b32 s13, s13
; %bb.2582:                             ;   in Loop: Header=BB6_2329 Depth=4
	s_delay_alu instid0(VALU_DEP_1)
	v_bfe_u32 v72, v74, 23, 1
; %bb.2583:                             ;   in Loop: Header=BB6_2329 Depth=4
	s_or_b32 exec_lo, exec_lo, s13
	v_lshrrev_b32_e32 v74, 20, v74
	s_delay_alu instid0(VALU_DEP_2) | instskip(SKIP_2) | instid1(VALU_DEP_2)
	v_cmp_gt_i32_e32 vcc_lo, 16, v72
	v_lshrrev_b32_e32 v73, 24, v73
	v_min_i32_e32 v75, 15, v72
	v_dual_cndmask_b32 v74, 7, v74 :: v_dual_and_b32 v73, 0x80, v73
	s_delay_alu instid0(VALU_DEP_1) | instskip(SKIP_1) | instid1(VALU_DEP_2)
	v_or_b32_e32 v72, v72, v74
	v_and_b32_e32 v76, 7, v74
	v_cmp_ne_u32_e32 vcc_lo, 0, v72
	v_lshlrev_b32_e32 v75, 3, v75
	s_delay_alu instid0(VALU_DEP_1) | instskip(NEXT) | instid1(VALU_DEP_1)
	v_or3_b32 v73, v75, v73, v76
	v_cndmask_b32_e32 v72, 0, v73, vcc_lo
.LBB6_2584:                             ;   in Loop: Header=BB6_2329 Depth=4
	s_or_b32 exec_lo, exec_lo, s35
.LBB6_2585:                             ;   in Loop: Header=BB6_2329 Depth=4
	s_delay_alu instid0(SALU_CYCLE_1) | instskip(SKIP_3) | instid1(VALU_DEP_1)
	s_or_b32 exec_lo, exec_lo, s34
	v_and_b32_e32 v74, 0xff, v63
	s_mov_b32 s13, 0
	s_mov_b32 s35, exec_lo
                                        ; implicit-def: $sgpr34
	v_cmpx_lt_i16_e32 0x7f, v74
	s_xor_b32 s35, exec_lo, s35
	s_cbranch_execnz .LBB6_2967
; %bb.2586:                             ;   in Loop: Header=BB6_2329 Depth=4
	s_or_saveexec_b32 s35, s35
	v_mov_b32_e32 v73, s34
	s_xor_b32 exec_lo, exec_lo, s35
	s_cbranch_execnz .LBB6_2970
.LBB6_2587:                             ;   in Loop: Header=BB6_2329 Depth=4
	s_or_b32 exec_lo, exec_lo, s35
	s_and_saveexec_b32 s34, s13
	s_cbranch_execz .LBB6_2589
.LBB6_2588:                             ;   in Loop: Header=BB6_2329 Depth=4
	v_lshrrev_b16 v76, 3, v63
	s_delay_alu instid0(VALU_DEP_1) | instskip(NEXT) | instid1(VALU_DEP_1)
	v_and_b32_e32 v76, 15, v76
	v_cmp_eq_u32_e32 vcc_lo, 0, v76
	v_and_b32_e32 v73, 7, v63
	s_delay_alu instid0(VALU_DEP_1) | instskip(NEXT) | instid1(VALU_DEP_1)
	v_clz_i32_u32_e32 v74, v73
	v_min_u32_e32 v74, 32, v74
	s_delay_alu instid0(VALU_DEP_1) | instskip(SKIP_1) | instid1(VALU_DEP_1)
	v_subrev_nc_u32_e32 v75, 28, v74
	v_sub_nc_u32_e32 v74, 29, v74
	v_dual_cndmask_b32 v74, v76, v74 :: v_dual_lshlrev_b32 v75, v75, v63
	v_lshlrev_b32_e32 v63, 24, v63
	s_delay_alu instid0(VALU_DEP_2) | instskip(NEXT) | instid1(VALU_DEP_3)
	v_and_b32_e32 v75, 7, v75
	v_lshl_add_u32 v74, v74, 23, 0x3b800000
	s_delay_alu instid0(VALU_DEP_3) | instskip(NEXT) | instid1(VALU_DEP_3)
	v_and_b32_e32 v63, 0x80000000, v63
	v_cndmask_b32_e32 v73, v73, v75, vcc_lo
	s_delay_alu instid0(VALU_DEP_1) | instskip(NEXT) | instid1(VALU_DEP_1)
	v_lshlrev_b32_e32 v73, 20, v73
	v_or3_b32 v73, v63, v74, v73
.LBB6_2589:                             ;   in Loop: Header=BB6_2329 Depth=4
	s_or_b32 exec_lo, exec_lo, s34
	s_waitcnt vmcnt(15) lgkmcnt(15)
	v_and_b32_e32 v74, 0xff, v62
	s_mov_b32 s13, 0
	s_mov_b32 s35, exec_lo
                                        ; implicit-def: $sgpr34
	s_delay_alu instid0(VALU_DEP_1)
	v_cmpx_lt_i16_e32 0x7f, v74
	s_xor_b32 s35, exec_lo, s35
	s_cbranch_execnz .LBB6_2971
; %bb.2590:                             ;   in Loop: Header=BB6_2329 Depth=4
	s_or_saveexec_b32 s35, s35
	v_mov_b32_e32 v63, s34
	s_xor_b32 exec_lo, exec_lo, s35
	s_cbranch_execnz .LBB6_2974
.LBB6_2591:                             ;   in Loop: Header=BB6_2329 Depth=4
	s_or_b32 exec_lo, exec_lo, s35
	s_and_saveexec_b32 s34, s13
	s_cbranch_execz .LBB6_2593
.LBB6_2592:                             ;   in Loop: Header=BB6_2329 Depth=4
	v_and_b32_e32 v63, 7, v62
	v_lshrrev_b16 v76, 3, v62
	s_delay_alu instid0(VALU_DEP_2) | instskip(NEXT) | instid1(VALU_DEP_1)
	v_clz_i32_u32_e32 v74, v63
	v_min_u32_e32 v74, 32, v74
	s_delay_alu instid0(VALU_DEP_1) | instskip(SKIP_1) | instid1(VALU_DEP_2)
	v_subrev_nc_u32_e32 v75, 28, v74
	v_sub_nc_u32_e32 v74, 29, v74
	v_lshlrev_b32_e32 v75, v75, v62
	v_lshlrev_b32_e32 v62, 24, v62
	s_delay_alu instid0(VALU_DEP_2) | instskip(SKIP_1) | instid1(VALU_DEP_3)
	v_and_b32_e32 v75, 7, v75
	v_and_b32_e32 v76, 15, v76
	;; [unrolled: 1-line block ×3, first 2 shown]
	s_delay_alu instid0(VALU_DEP_2) | instskip(NEXT) | instid1(VALU_DEP_4)
	v_cmp_eq_u32_e32 vcc_lo, 0, v76
	v_dual_cndmask_b32 v63, v63, v75 :: v_dual_cndmask_b32 v74, v76, v74
	s_delay_alu instid0(VALU_DEP_1) | instskip(NEXT) | instid1(VALU_DEP_2)
	v_lshlrev_b32_e32 v63, 20, v63
	v_lshl_add_u32 v74, v74, 23, 0x3b800000
	s_delay_alu instid0(VALU_DEP_1)
	v_or3_b32 v63, v62, v74, v63
.LBB6_2593:                             ;   in Loop: Header=BB6_2329 Depth=4
	s_or_b32 exec_lo, exec_lo, s34
	s_delay_alu instid0(VALU_DEP_1) | instskip(NEXT) | instid1(VALU_DEP_1)
	v_add_f32_e32 v63, v73, v63
	v_and_b32_e32 v62, 0x7f800000, v63
	s_delay_alu instid0(VALU_DEP_1)
	v_cmp_ne_u32_e32 vcc_lo, 0x7f800000, v62
	v_mov_b32_e32 v62, 0x80
	s_and_saveexec_b32 s34, vcc_lo
	s_cbranch_execz .LBB6_2601
; %bb.2594:                             ;   in Loop: Header=BB6_2329 Depth=4
	v_mov_b32_e32 v62, 0
	s_mov_b32 s35, exec_lo
	v_cmpx_ne_u32_e32 0, v63
	s_cbranch_execz .LBB6_2600
; %bb.2595:                             ;   in Loop: Header=BB6_2329 Depth=4
	v_bfe_u32 v62, v63, 23, 8
	s_delay_alu instid0(VALU_DEP_1) | instskip(SKIP_1) | instid1(VALU_DEP_2)
	v_sub_nc_u32_e32 v74, 0x78, v62
	v_cmp_gt_u32_e32 vcc_lo, 0x79, v62
	v_dual_cndmask_b32 v74, 0, v74 :: v_dual_and_b32 v73, 0x7fffff, v63
	s_delay_alu instid0(VALU_DEP_1) | instskip(SKIP_2) | instid1(VALU_DEP_4)
	v_or_b32_e32 v75, 0x800000, v73
	v_cmp_eq_u32_e32 vcc_lo, 0, v62
	v_add_nc_u32_e32 v62, 0xffffff89, v62
	v_cndmask_b32_e64 v74, v74, 0x77, vcc_lo
	s_delay_alu instid0(VALU_DEP_4) | instskip(NEXT) | instid1(VALU_DEP_3)
	v_cndmask_b32_e32 v73, v75, v73, vcc_lo
	v_cndmask_b32_e64 v62, v62, 0xffffff8a, vcc_lo
	s_delay_alu instid0(VALU_DEP_3) | instskip(NEXT) | instid1(VALU_DEP_3)
	v_lshl_add_u32 v75, 0x100000, v74, -1
	v_lshrrev_b32_e32 v76, v74, v73
	v_lshlrev_b32_e64 v78, v74, 0x80000
	s_delay_alu instid0(VALU_DEP_4) | instskip(NEXT) | instid1(VALU_DEP_4)
	v_add_nc_u32_e32 v74, v74, v62
	v_and_b32_e32 v73, v75, v73
	s_delay_alu instid0(VALU_DEP_4) | instskip(NEXT) | instid1(VALU_DEP_2)
	v_bfe_u32 v77, v76, 20, 1
	v_cmp_eq_u32_e64 s13, v73, v78
	s_delay_alu instid0(VALU_DEP_2) | instskip(NEXT) | instid1(VALU_DEP_1)
	v_add_nc_u32_e32 v75, -1, v77
	v_cndmask_b32_e64 v73, 0, v75, s13
	v_lshrrev_b32_e32 v75, 23, v76
	s_mov_b32 s13, exec_lo
	s_delay_alu instid0(VALU_DEP_2) | instskip(NEXT) | instid1(VALU_DEP_2)
	v_add_nc_u32_e32 v73, v73, v76
	v_xor_b32_e32 v75, 1, v75
	s_delay_alu instid0(VALU_DEP_2) | instskip(NEXT) | instid1(VALU_DEP_1)
	v_and_b32_e32 v62, 0xfffff, v73
	v_add_nc_u32_e32 v73, v62, v76
                                        ; implicit-def: $vgpr62
	s_delay_alu instid0(VALU_DEP_3)
	v_cmpx_ne_u32_e64 v74, v75
	s_xor_b32 s13, exec_lo, s13
; %bb.2596:                             ;   in Loop: Header=BB6_2329 Depth=4
	s_delay_alu instid0(VALU_DEP_2) | instskip(SKIP_2) | instid1(VALU_DEP_2)
	v_cmp_lt_u32_e32 vcc_lo, 0xffffff, v73
	v_sub_nc_u32_e32 v62, v74, v75
	v_cndmask_b32_e64 v74, 0, 1, vcc_lo
	v_add_co_ci_u32_e32 v62, vcc_lo, 0, v62, vcc_lo
	s_delay_alu instid0(VALU_DEP_2)
	v_lshrrev_b32_e32 v73, v74, v73
; %bb.2597:                             ;   in Loop: Header=BB6_2329 Depth=4
	s_and_not1_saveexec_b32 s13, s13
; %bb.2598:                             ;   in Loop: Header=BB6_2329 Depth=4
	s_delay_alu instid0(VALU_DEP_1)
	v_bfe_u32 v62, v73, 23, 1
; %bb.2599:                             ;   in Loop: Header=BB6_2329 Depth=4
	s_or_b32 exec_lo, exec_lo, s13
	v_lshrrev_b32_e32 v73, 20, v73
	s_delay_alu instid0(VALU_DEP_2) | instskip(SKIP_2) | instid1(VALU_DEP_2)
	v_cmp_gt_i32_e32 vcc_lo, 16, v62
	v_min_i32_e32 v74, 15, v62
	v_lshrrev_b32_e32 v63, 24, v63
	v_dual_cndmask_b32 v73, 7, v73 :: v_dual_lshlrev_b32 v74, 3, v74
	s_delay_alu instid0(VALU_DEP_2) | instskip(NEXT) | instid1(VALU_DEP_2)
	v_and_b32_e32 v63, 0x80, v63
	v_or_b32_e32 v62, v62, v73
	s_delay_alu instid0(VALU_DEP_1) | instskip(SKIP_1) | instid1(VALU_DEP_1)
	v_cmp_ne_u32_e32 vcc_lo, 0, v62
	v_and_b32_e32 v75, 7, v73
	v_or3_b32 v63, v74, v63, v75
	s_delay_alu instid0(VALU_DEP_1)
	v_cndmask_b32_e32 v62, 0, v63, vcc_lo
.LBB6_2600:                             ;   in Loop: Header=BB6_2329 Depth=4
	s_or_b32 exec_lo, exec_lo, s35
.LBB6_2601:                             ;   in Loop: Header=BB6_2329 Depth=4
	s_delay_alu instid0(SALU_CYCLE_1) | instskip(SKIP_3) | instid1(VALU_DEP_1)
	s_or_b32 exec_lo, exec_lo, s34
	v_and_b32_e32 v73, 0xff, v60
	s_mov_b32 s13, 0
	s_mov_b32 s35, exec_lo
                                        ; implicit-def: $sgpr34
	v_cmpx_lt_i16_e32 0x7f, v73
	s_xor_b32 s35, exec_lo, s35
	s_cbranch_execnz .LBB6_2975
; %bb.2602:                             ;   in Loop: Header=BB6_2329 Depth=4
	s_or_saveexec_b32 s35, s35
	v_mov_b32_e32 v63, s34
	s_xor_b32 exec_lo, exec_lo, s35
	s_cbranch_execnz .LBB6_2978
.LBB6_2603:                             ;   in Loop: Header=BB6_2329 Depth=4
	s_or_b32 exec_lo, exec_lo, s35
	s_and_saveexec_b32 s34, s13
	s_cbranch_execz .LBB6_2605
.LBB6_2604:                             ;   in Loop: Header=BB6_2329 Depth=4
	v_and_b32_e32 v63, 7, v60
	v_lshrrev_b16 v75, 3, v60
	s_delay_alu instid0(VALU_DEP_2) | instskip(NEXT) | instid1(VALU_DEP_2)
	v_clz_i32_u32_e32 v73, v63
	v_and_b32_e32 v75, 15, v75
	s_delay_alu instid0(VALU_DEP_2) | instskip(NEXT) | instid1(VALU_DEP_2)
	v_min_u32_e32 v73, 32, v73
	v_cmp_eq_u32_e32 vcc_lo, 0, v75
	s_delay_alu instid0(VALU_DEP_2) | instskip(SKIP_1) | instid1(VALU_DEP_1)
	v_subrev_nc_u32_e32 v74, 28, v73
	v_sub_nc_u32_e32 v73, 29, v73
	v_dual_cndmask_b32 v73, v75, v73 :: v_dual_lshlrev_b32 v74, v74, v60
	s_delay_alu instid0(VALU_DEP_1) | instskip(SKIP_1) | instid1(VALU_DEP_3)
	v_and_b32_e32 v74, 7, v74
	v_lshlrev_b32_e32 v60, 24, v60
	v_lshl_add_u32 v73, v73, 23, 0x3b800000
	s_delay_alu instid0(VALU_DEP_2) | instskip(NEXT) | instid1(VALU_DEP_1)
	v_dual_cndmask_b32 v63, v63, v74 :: v_dual_and_b32 v60, 0x80000000, v60
	v_lshlrev_b32_e32 v63, 20, v63
	s_delay_alu instid0(VALU_DEP_1)
	v_or3_b32 v63, v60, v73, v63
.LBB6_2605:                             ;   in Loop: Header=BB6_2329 Depth=4
	s_or_b32 exec_lo, exec_lo, s34
	s_waitcnt vmcnt(14) lgkmcnt(14)
	v_and_b32_e32 v73, 0xff, v59
	s_mov_b32 s13, 0
	s_mov_b32 s35, exec_lo
                                        ; implicit-def: $sgpr34
	s_delay_alu instid0(VALU_DEP_1)
	v_cmpx_lt_i16_e32 0x7f, v73
	s_xor_b32 s35, exec_lo, s35
	s_cbranch_execnz .LBB6_2979
; %bb.2606:                             ;   in Loop: Header=BB6_2329 Depth=4
	s_or_saveexec_b32 s35, s35
	v_mov_b32_e32 v60, s34
	s_xor_b32 exec_lo, exec_lo, s35
	s_cbranch_execnz .LBB6_2982
.LBB6_2607:                             ;   in Loop: Header=BB6_2329 Depth=4
	s_or_b32 exec_lo, exec_lo, s35
	s_and_saveexec_b32 s34, s13
	s_cbranch_execz .LBB6_2609
.LBB6_2608:                             ;   in Loop: Header=BB6_2329 Depth=4
	v_lshrrev_b16 v75, 3, v59
	s_delay_alu instid0(VALU_DEP_1) | instskip(NEXT) | instid1(VALU_DEP_1)
	v_and_b32_e32 v75, 15, v75
	v_cmp_eq_u32_e32 vcc_lo, 0, v75
	v_and_b32_e32 v60, 7, v59
	s_delay_alu instid0(VALU_DEP_1) | instskip(NEXT) | instid1(VALU_DEP_1)
	v_clz_i32_u32_e32 v73, v60
	v_min_u32_e32 v73, 32, v73
	s_delay_alu instid0(VALU_DEP_1) | instskip(SKIP_1) | instid1(VALU_DEP_1)
	v_subrev_nc_u32_e32 v74, 28, v73
	v_sub_nc_u32_e32 v73, 29, v73
	v_dual_cndmask_b32 v73, v75, v73 :: v_dual_lshlrev_b32 v74, v74, v59
	v_lshlrev_b32_e32 v59, 24, v59
	s_delay_alu instid0(VALU_DEP_2) | instskip(NEXT) | instid1(VALU_DEP_3)
	v_and_b32_e32 v74, 7, v74
	v_lshl_add_u32 v73, v73, 23, 0x3b800000
	s_delay_alu instid0(VALU_DEP_2) | instskip(NEXT) | instid1(VALU_DEP_1)
	v_dual_cndmask_b32 v60, v60, v74 :: v_dual_and_b32 v59, 0x80000000, v59
	v_lshlrev_b32_e32 v60, 20, v60
	s_delay_alu instid0(VALU_DEP_1)
	v_or3_b32 v60, v59, v73, v60
.LBB6_2609:                             ;   in Loop: Header=BB6_2329 Depth=4
	s_or_b32 exec_lo, exec_lo, s34
	s_delay_alu instid0(VALU_DEP_1) | instskip(NEXT) | instid1(VALU_DEP_1)
	v_add_f32_e32 v60, v63, v60
	v_and_b32_e32 v59, 0x7f800000, v60
	s_delay_alu instid0(VALU_DEP_1)
	v_cmp_ne_u32_e32 vcc_lo, 0x7f800000, v59
	v_mov_b32_e32 v59, 0x80
	s_and_saveexec_b32 s34, vcc_lo
	s_cbranch_execz .LBB6_2617
; %bb.2610:                             ;   in Loop: Header=BB6_2329 Depth=4
	v_mov_b32_e32 v59, 0
	s_mov_b32 s35, exec_lo
	v_cmpx_ne_u32_e32 0, v60
	s_cbranch_execz .LBB6_2616
; %bb.2611:                             ;   in Loop: Header=BB6_2329 Depth=4
	v_bfe_u32 v59, v60, 23, 8
	v_and_b32_e32 v63, 0x7fffff, v60
	s_delay_alu instid0(VALU_DEP_2) | instskip(SKIP_1) | instid1(VALU_DEP_3)
	v_sub_nc_u32_e32 v73, 0x78, v59
	v_cmp_gt_u32_e32 vcc_lo, 0x79, v59
	v_or_b32_e32 v74, 0x800000, v63
	s_delay_alu instid0(VALU_DEP_3) | instskip(SKIP_2) | instid1(VALU_DEP_3)
	v_cndmask_b32_e32 v73, 0, v73, vcc_lo
	v_cmp_eq_u32_e32 vcc_lo, 0, v59
	v_add_nc_u32_e32 v59, 0xffffff89, v59
	v_cndmask_b32_e64 v73, v73, 0x77, vcc_lo
	v_cndmask_b32_e32 v63, v74, v63, vcc_lo
	s_delay_alu instid0(VALU_DEP_3) | instskip(NEXT) | instid1(VALU_DEP_3)
	v_cndmask_b32_e64 v59, v59, 0xffffff8a, vcc_lo
	v_lshl_add_u32 v74, 0x100000, v73, -1
	s_delay_alu instid0(VALU_DEP_3) | instskip(SKIP_1) | instid1(VALU_DEP_4)
	v_lshrrev_b32_e32 v75, v73, v63
	v_lshlrev_b32_e64 v77, v73, 0x80000
	v_add_nc_u32_e32 v73, v73, v59
	s_delay_alu instid0(VALU_DEP_4) | instskip(NEXT) | instid1(VALU_DEP_4)
	v_and_b32_e32 v63, v74, v63
	v_bfe_u32 v76, v75, 20, 1
	s_delay_alu instid0(VALU_DEP_2) | instskip(NEXT) | instid1(VALU_DEP_2)
	v_cmp_eq_u32_e64 s13, v63, v77
	v_add_nc_u32_e32 v74, -1, v76
	s_delay_alu instid0(VALU_DEP_1) | instskip(SKIP_2) | instid1(VALU_DEP_2)
	v_cndmask_b32_e64 v63, 0, v74, s13
	v_lshrrev_b32_e32 v74, 23, v75
	s_mov_b32 s13, exec_lo
	v_add_nc_u32_e32 v63, v63, v75
	s_delay_alu instid0(VALU_DEP_2) | instskip(NEXT) | instid1(VALU_DEP_2)
	v_xor_b32_e32 v74, 1, v74
	v_and_b32_e32 v59, 0xfffff, v63
	s_delay_alu instid0(VALU_DEP_1) | instskip(NEXT) | instid1(VALU_DEP_3)
	v_add_nc_u32_e32 v63, v59, v75
                                        ; implicit-def: $vgpr59
	v_cmpx_ne_u32_e64 v73, v74
	s_xor_b32 s13, exec_lo, s13
; %bb.2612:                             ;   in Loop: Header=BB6_2329 Depth=4
	s_delay_alu instid0(VALU_DEP_2) | instskip(SKIP_2) | instid1(VALU_DEP_2)
	v_cmp_lt_u32_e32 vcc_lo, 0xffffff, v63
	v_sub_nc_u32_e32 v59, v73, v74
	v_cndmask_b32_e64 v73, 0, 1, vcc_lo
	v_add_co_ci_u32_e32 v59, vcc_lo, 0, v59, vcc_lo
	s_delay_alu instid0(VALU_DEP_2)
	v_lshrrev_b32_e32 v63, v73, v63
; %bb.2613:                             ;   in Loop: Header=BB6_2329 Depth=4
	s_and_not1_saveexec_b32 s13, s13
; %bb.2614:                             ;   in Loop: Header=BB6_2329 Depth=4
	s_delay_alu instid0(VALU_DEP_1)
	v_bfe_u32 v59, v63, 23, 1
; %bb.2615:                             ;   in Loop: Header=BB6_2329 Depth=4
	s_or_b32 exec_lo, exec_lo, s13
	v_lshrrev_b32_e32 v63, 20, v63
	s_delay_alu instid0(VALU_DEP_2) | instskip(SKIP_2) | instid1(VALU_DEP_2)
	v_cmp_gt_i32_e32 vcc_lo, 16, v59
	v_lshrrev_b32_e32 v60, 24, v60
	v_min_i32_e32 v73, 15, v59
	v_dual_cndmask_b32 v63, 7, v63 :: v_dual_and_b32 v60, 0x80, v60
	s_delay_alu instid0(VALU_DEP_2) | instskip(NEXT) | instid1(VALU_DEP_2)
	v_lshlrev_b32_e32 v73, 3, v73
	v_or_b32_e32 v59, v59, v63
	s_delay_alu instid0(VALU_DEP_1) | instskip(SKIP_1) | instid1(VALU_DEP_1)
	v_cmp_ne_u32_e32 vcc_lo, 0, v59
	v_and_b32_e32 v74, 7, v63
	v_or3_b32 v60, v73, v60, v74
	s_delay_alu instid0(VALU_DEP_1)
	v_cndmask_b32_e32 v59, 0, v60, vcc_lo
.LBB6_2616:                             ;   in Loop: Header=BB6_2329 Depth=4
	s_or_b32 exec_lo, exec_lo, s35
.LBB6_2617:                             ;   in Loop: Header=BB6_2329 Depth=4
	s_delay_alu instid0(SALU_CYCLE_1) | instskip(SKIP_3) | instid1(VALU_DEP_1)
	s_or_b32 exec_lo, exec_lo, s34
	v_and_b32_e32 v63, 0xff, v57
	s_mov_b32 s13, 0
	s_mov_b32 s35, exec_lo
                                        ; implicit-def: $sgpr34
	v_cmpx_lt_i16_e32 0x7f, v63
	s_xor_b32 s35, exec_lo, s35
	s_cbranch_execnz .LBB6_2983
; %bb.2618:                             ;   in Loop: Header=BB6_2329 Depth=4
	s_or_saveexec_b32 s35, s35
	v_mov_b32_e32 v60, s34
	s_xor_b32 exec_lo, exec_lo, s35
	s_cbranch_execnz .LBB6_2986
.LBB6_2619:                             ;   in Loop: Header=BB6_2329 Depth=4
	s_or_b32 exec_lo, exec_lo, s35
	s_and_saveexec_b32 s34, s13
	s_cbranch_execz .LBB6_2621
.LBB6_2620:                             ;   in Loop: Header=BB6_2329 Depth=4
	v_lshrrev_b16 v74, 3, v57
	s_delay_alu instid0(VALU_DEP_1) | instskip(NEXT) | instid1(VALU_DEP_1)
	v_and_b32_e32 v74, 15, v74
	v_cmp_eq_u32_e32 vcc_lo, 0, v74
	v_and_b32_e32 v60, 7, v57
	s_delay_alu instid0(VALU_DEP_1) | instskip(NEXT) | instid1(VALU_DEP_1)
	v_clz_i32_u32_e32 v63, v60
	v_min_u32_e32 v63, 32, v63
	s_delay_alu instid0(VALU_DEP_1) | instskip(SKIP_1) | instid1(VALU_DEP_2)
	v_subrev_nc_u32_e32 v73, 28, v63
	v_sub_nc_u32_e32 v63, 29, v63
	v_lshlrev_b32_e32 v73, v73, v57
	s_delay_alu instid0(VALU_DEP_2) | instskip(SKIP_1) | instid1(VALU_DEP_3)
	v_cndmask_b32_e32 v63, v74, v63, vcc_lo
	v_lshlrev_b32_e32 v57, 24, v57
	v_and_b32_e32 v73, 7, v73
	s_delay_alu instid0(VALU_DEP_3) | instskip(NEXT) | instid1(VALU_DEP_3)
	v_lshl_add_u32 v63, v63, 23, 0x3b800000
	v_and_b32_e32 v57, 0x80000000, v57
	s_delay_alu instid0(VALU_DEP_3) | instskip(NEXT) | instid1(VALU_DEP_1)
	v_cndmask_b32_e32 v60, v60, v73, vcc_lo
	v_lshlrev_b32_e32 v60, 20, v60
	s_delay_alu instid0(VALU_DEP_1)
	v_or3_b32 v60, v57, v63, v60
.LBB6_2621:                             ;   in Loop: Header=BB6_2329 Depth=4
	s_or_b32 exec_lo, exec_lo, s34
	s_waitcnt vmcnt(13) lgkmcnt(13)
	v_and_b32_e32 v63, 0xff, v56
	s_mov_b32 s13, 0
	s_mov_b32 s35, exec_lo
                                        ; implicit-def: $sgpr34
	s_delay_alu instid0(VALU_DEP_1)
	v_cmpx_lt_i16_e32 0x7f, v63
	s_xor_b32 s35, exec_lo, s35
	s_cbranch_execnz .LBB6_2987
; %bb.2622:                             ;   in Loop: Header=BB6_2329 Depth=4
	s_or_saveexec_b32 s35, s35
	v_mov_b32_e32 v57, s34
	s_xor_b32 exec_lo, exec_lo, s35
	s_cbranch_execnz .LBB6_2990
.LBB6_2623:                             ;   in Loop: Header=BB6_2329 Depth=4
	s_or_b32 exec_lo, exec_lo, s35
	s_and_saveexec_b32 s34, s13
	s_cbranch_execz .LBB6_2625
.LBB6_2624:                             ;   in Loop: Header=BB6_2329 Depth=4
	v_and_b32_e32 v57, 7, v56
	v_lshrrev_b16 v74, 3, v56
	s_delay_alu instid0(VALU_DEP_2) | instskip(NEXT) | instid1(VALU_DEP_1)
	v_clz_i32_u32_e32 v63, v57
	v_min_u32_e32 v63, 32, v63
	s_delay_alu instid0(VALU_DEP_1) | instskip(SKIP_1) | instid1(VALU_DEP_2)
	v_subrev_nc_u32_e32 v73, 28, v63
	v_sub_nc_u32_e32 v63, 29, v63
	v_lshlrev_b32_e32 v73, v73, v56
	s_delay_alu instid0(VALU_DEP_1) | instskip(SKIP_1) | instid1(VALU_DEP_1)
	v_and_b32_e32 v73, 7, v73
	v_and_b32_e32 v74, 15, v74
	v_cmp_eq_u32_e32 vcc_lo, 0, v74
	s_delay_alu instid0(VALU_DEP_3) | instskip(SKIP_1) | instid1(VALU_DEP_2)
	v_dual_cndmask_b32 v57, v57, v73 :: v_dual_lshlrev_b32 v56, 24, v56
	v_cndmask_b32_e32 v63, v74, v63, vcc_lo
	v_lshlrev_b32_e32 v57, 20, v57
	s_delay_alu instid0(VALU_DEP_3) | instskip(NEXT) | instid1(VALU_DEP_3)
	v_and_b32_e32 v56, 0x80000000, v56
	v_lshl_add_u32 v63, v63, 23, 0x3b800000
	s_delay_alu instid0(VALU_DEP_1)
	v_or3_b32 v57, v56, v63, v57
.LBB6_2625:                             ;   in Loop: Header=BB6_2329 Depth=4
	s_or_b32 exec_lo, exec_lo, s34
	s_delay_alu instid0(VALU_DEP_1) | instskip(NEXT) | instid1(VALU_DEP_1)
	v_add_f32_e32 v57, v60, v57
	v_and_b32_e32 v56, 0x7f800000, v57
	s_delay_alu instid0(VALU_DEP_1)
	v_cmp_ne_u32_e32 vcc_lo, 0x7f800000, v56
	v_mov_b32_e32 v56, 0x80
	s_and_saveexec_b32 s34, vcc_lo
	s_cbranch_execz .LBB6_2633
; %bb.2626:                             ;   in Loop: Header=BB6_2329 Depth=4
	v_mov_b32_e32 v56, 0
	s_mov_b32 s35, exec_lo
	v_cmpx_ne_u32_e32 0, v57
	s_cbranch_execz .LBB6_2632
; %bb.2627:                             ;   in Loop: Header=BB6_2329 Depth=4
	v_bfe_u32 v56, v57, 23, 8
	s_delay_alu instid0(VALU_DEP_1) | instskip(SKIP_1) | instid1(VALU_DEP_2)
	v_sub_nc_u32_e32 v63, 0x78, v56
	v_cmp_gt_u32_e32 vcc_lo, 0x79, v56
	v_dual_cndmask_b32 v63, 0, v63 :: v_dual_and_b32 v60, 0x7fffff, v57
	s_delay_alu instid0(VALU_DEP_1) | instskip(SKIP_2) | instid1(VALU_DEP_4)
	v_or_b32_e32 v73, 0x800000, v60
	v_cmp_eq_u32_e32 vcc_lo, 0, v56
	v_add_nc_u32_e32 v56, 0xffffff89, v56
	v_cndmask_b32_e64 v63, v63, 0x77, vcc_lo
	s_delay_alu instid0(VALU_DEP_4) | instskip(NEXT) | instid1(VALU_DEP_3)
	v_cndmask_b32_e32 v60, v73, v60, vcc_lo
	v_cndmask_b32_e64 v56, v56, 0xffffff8a, vcc_lo
	s_delay_alu instid0(VALU_DEP_3) | instskip(NEXT) | instid1(VALU_DEP_3)
	v_lshl_add_u32 v73, 0x100000, v63, -1
	v_lshrrev_b32_e32 v74, v63, v60
	v_lshlrev_b32_e64 v76, v63, 0x80000
	s_delay_alu instid0(VALU_DEP_4) | instskip(NEXT) | instid1(VALU_DEP_4)
	v_add_nc_u32_e32 v63, v63, v56
	v_and_b32_e32 v60, v73, v60
	s_delay_alu instid0(VALU_DEP_4) | instskip(NEXT) | instid1(VALU_DEP_2)
	v_bfe_u32 v75, v74, 20, 1
	v_cmp_eq_u32_e64 s13, v60, v76
	s_delay_alu instid0(VALU_DEP_2) | instskip(NEXT) | instid1(VALU_DEP_1)
	v_add_nc_u32_e32 v73, -1, v75
	v_cndmask_b32_e64 v60, 0, v73, s13
	v_lshrrev_b32_e32 v73, 23, v74
	s_mov_b32 s13, exec_lo
	s_delay_alu instid0(VALU_DEP_2) | instskip(NEXT) | instid1(VALU_DEP_2)
	v_add_nc_u32_e32 v60, v60, v74
	v_xor_b32_e32 v73, 1, v73
	s_delay_alu instid0(VALU_DEP_2) | instskip(NEXT) | instid1(VALU_DEP_1)
	v_and_b32_e32 v56, 0xfffff, v60
	v_add_nc_u32_e32 v60, v56, v74
                                        ; implicit-def: $vgpr56
	s_delay_alu instid0(VALU_DEP_3)
	v_cmpx_ne_u32_e64 v63, v73
	s_xor_b32 s13, exec_lo, s13
; %bb.2628:                             ;   in Loop: Header=BB6_2329 Depth=4
	s_delay_alu instid0(VALU_DEP_2) | instskip(SKIP_2) | instid1(VALU_DEP_2)
	v_cmp_lt_u32_e32 vcc_lo, 0xffffff, v60
	v_sub_nc_u32_e32 v56, v63, v73
	v_cndmask_b32_e64 v63, 0, 1, vcc_lo
	v_add_co_ci_u32_e32 v56, vcc_lo, 0, v56, vcc_lo
	s_delay_alu instid0(VALU_DEP_2)
	v_lshrrev_b32_e32 v60, v63, v60
; %bb.2629:                             ;   in Loop: Header=BB6_2329 Depth=4
	s_and_not1_saveexec_b32 s13, s13
; %bb.2630:                             ;   in Loop: Header=BB6_2329 Depth=4
	s_delay_alu instid0(VALU_DEP_1)
	v_bfe_u32 v56, v60, 23, 1
; %bb.2631:                             ;   in Loop: Header=BB6_2329 Depth=4
	s_or_b32 exec_lo, exec_lo, s13
	v_lshrrev_b32_e32 v60, 20, v60
	s_delay_alu instid0(VALU_DEP_2) | instskip(SKIP_2) | instid1(VALU_DEP_2)
	v_cmp_gt_i32_e32 vcc_lo, 16, v56
	v_lshrrev_b32_e32 v57, 24, v57
	v_min_i32_e32 v63, 15, v56
	v_dual_cndmask_b32 v60, 7, v60 :: v_dual_and_b32 v57, 0x80, v57
	s_delay_alu instid0(VALU_DEP_2) | instskip(NEXT) | instid1(VALU_DEP_2)
	v_lshlrev_b32_e32 v63, 3, v63
	v_or_b32_e32 v56, v56, v60
	s_delay_alu instid0(VALU_DEP_1) | instskip(SKIP_1) | instid1(VALU_DEP_1)
	v_cmp_ne_u32_e32 vcc_lo, 0, v56
	v_and_b32_e32 v73, 7, v60
	v_or3_b32 v57, v63, v57, v73
	s_delay_alu instid0(VALU_DEP_1)
	v_cndmask_b32_e32 v56, 0, v57, vcc_lo
.LBB6_2632:                             ;   in Loop: Header=BB6_2329 Depth=4
	s_or_b32 exec_lo, exec_lo, s35
.LBB6_2633:                             ;   in Loop: Header=BB6_2329 Depth=4
	s_delay_alu instid0(SALU_CYCLE_1) | instskip(SKIP_3) | instid1(VALU_DEP_1)
	s_or_b32 exec_lo, exec_lo, s34
	v_and_b32_e32 v60, 0xff, v46
	s_mov_b32 s13, 0
	s_mov_b32 s35, exec_lo
                                        ; implicit-def: $sgpr34
	v_cmpx_lt_i16_e32 0x7f, v60
	s_xor_b32 s35, exec_lo, s35
	s_cbranch_execnz .LBB6_2991
; %bb.2634:                             ;   in Loop: Header=BB6_2329 Depth=4
	s_or_saveexec_b32 s35, s35
	v_mov_b32_e32 v57, s34
	s_xor_b32 exec_lo, exec_lo, s35
	s_cbranch_execnz .LBB6_2994
.LBB6_2635:                             ;   in Loop: Header=BB6_2329 Depth=4
	s_or_b32 exec_lo, exec_lo, s35
	s_and_saveexec_b32 s34, s13
	s_cbranch_execz .LBB6_2637
.LBB6_2636:                             ;   in Loop: Header=BB6_2329 Depth=4
	v_lshrrev_b16 v73, 3, v46
	s_delay_alu instid0(VALU_DEP_1) | instskip(NEXT) | instid1(VALU_DEP_1)
	v_and_b32_e32 v73, 15, v73
	v_cmp_eq_u32_e32 vcc_lo, 0, v73
	v_and_b32_e32 v57, 7, v46
	s_delay_alu instid0(VALU_DEP_1) | instskip(NEXT) | instid1(VALU_DEP_1)
	v_clz_i32_u32_e32 v60, v57
	v_min_u32_e32 v60, 32, v60
	s_delay_alu instid0(VALU_DEP_1) | instskip(SKIP_1) | instid1(VALU_DEP_1)
	v_subrev_nc_u32_e32 v63, 28, v60
	v_sub_nc_u32_e32 v60, 29, v60
	v_dual_cndmask_b32 v60, v73, v60 :: v_dual_lshlrev_b32 v63, v63, v46
	s_delay_alu instid0(VALU_DEP_1) | instskip(SKIP_1) | instid1(VALU_DEP_3)
	v_and_b32_e32 v63, 7, v63
	v_lshlrev_b32_e32 v46, 24, v46
	v_lshl_add_u32 v60, v60, 23, 0x3b800000
	s_delay_alu instid0(VALU_DEP_2) | instskip(NEXT) | instid1(VALU_DEP_1)
	v_dual_cndmask_b32 v57, v57, v63 :: v_dual_and_b32 v46, 0x80000000, v46
	v_lshlrev_b32_e32 v57, 20, v57
	s_delay_alu instid0(VALU_DEP_1)
	v_or3_b32 v57, v46, v60, v57
.LBB6_2637:                             ;   in Loop: Header=BB6_2329 Depth=4
	s_or_b32 exec_lo, exec_lo, s34
	s_waitcnt vmcnt(12) lgkmcnt(12)
	v_and_b32_e32 v60, 0xff, v45
	s_mov_b32 s13, 0
	s_mov_b32 s35, exec_lo
                                        ; implicit-def: $sgpr34
	s_delay_alu instid0(VALU_DEP_1)
	v_cmpx_lt_i16_e32 0x7f, v60
	s_xor_b32 s35, exec_lo, s35
	s_cbranch_execnz .LBB6_2995
; %bb.2638:                             ;   in Loop: Header=BB6_2329 Depth=4
	s_or_saveexec_b32 s35, s35
	v_mov_b32_e32 v46, s34
	s_xor_b32 exec_lo, exec_lo, s35
	s_cbranch_execnz .LBB6_2998
.LBB6_2639:                             ;   in Loop: Header=BB6_2329 Depth=4
	s_or_b32 exec_lo, exec_lo, s35
	s_and_saveexec_b32 s34, s13
	s_cbranch_execz .LBB6_2641
.LBB6_2640:                             ;   in Loop: Header=BB6_2329 Depth=4
	v_and_b32_e32 v46, 7, v45
	v_lshrrev_b16 v73, 3, v45
	s_delay_alu instid0(VALU_DEP_2) | instskip(NEXT) | instid1(VALU_DEP_2)
	v_clz_i32_u32_e32 v60, v46
	v_and_b32_e32 v73, 15, v73
	s_delay_alu instid0(VALU_DEP_2) | instskip(NEXT) | instid1(VALU_DEP_2)
	v_min_u32_e32 v60, 32, v60
	v_cmp_eq_u32_e32 vcc_lo, 0, v73
	s_delay_alu instid0(VALU_DEP_2) | instskip(SKIP_1) | instid1(VALU_DEP_1)
	v_subrev_nc_u32_e32 v63, 28, v60
	v_sub_nc_u32_e32 v60, 29, v60
	v_dual_cndmask_b32 v60, v73, v60 :: v_dual_lshlrev_b32 v63, v63, v45
	v_lshlrev_b32_e32 v45, 24, v45
	s_delay_alu instid0(VALU_DEP_2) | instskip(NEXT) | instid1(VALU_DEP_3)
	v_and_b32_e32 v63, 7, v63
	v_lshl_add_u32 v60, v60, 23, 0x3b800000
	s_delay_alu instid0(VALU_DEP_2) | instskip(NEXT) | instid1(VALU_DEP_1)
	v_dual_cndmask_b32 v46, v46, v63 :: v_dual_and_b32 v45, 0x80000000, v45
	v_lshlrev_b32_e32 v46, 20, v46
	s_delay_alu instid0(VALU_DEP_1)
	v_or3_b32 v46, v45, v60, v46
.LBB6_2641:                             ;   in Loop: Header=BB6_2329 Depth=4
	s_or_b32 exec_lo, exec_lo, s34
	s_delay_alu instid0(VALU_DEP_1) | instskip(NEXT) | instid1(VALU_DEP_1)
	v_add_f32_e32 v46, v57, v46
	v_and_b32_e32 v45, 0x7f800000, v46
	s_delay_alu instid0(VALU_DEP_1)
	v_cmp_ne_u32_e32 vcc_lo, 0x7f800000, v45
	v_mov_b32_e32 v45, 0x80
	s_and_saveexec_b32 s34, vcc_lo
	s_cbranch_execz .LBB6_2649
; %bb.2642:                             ;   in Loop: Header=BB6_2329 Depth=4
	v_mov_b32_e32 v45, 0
	s_mov_b32 s35, exec_lo
	v_cmpx_ne_u32_e32 0, v46
	s_cbranch_execz .LBB6_2648
; %bb.2643:                             ;   in Loop: Header=BB6_2329 Depth=4
	v_bfe_u32 v45, v46, 23, 8
	s_delay_alu instid0(VALU_DEP_1) | instskip(SKIP_1) | instid1(VALU_DEP_2)
	v_sub_nc_u32_e32 v60, 0x78, v45
	v_cmp_gt_u32_e32 vcc_lo, 0x79, v45
	v_dual_cndmask_b32 v60, 0, v60 :: v_dual_and_b32 v57, 0x7fffff, v46
	s_delay_alu instid0(VALU_DEP_1) | instskip(SKIP_2) | instid1(VALU_DEP_4)
	v_or_b32_e32 v63, 0x800000, v57
	v_cmp_eq_u32_e32 vcc_lo, 0, v45
	v_add_nc_u32_e32 v45, 0xffffff89, v45
	v_cndmask_b32_e64 v60, v60, 0x77, vcc_lo
	s_delay_alu instid0(VALU_DEP_4) | instskip(NEXT) | instid1(VALU_DEP_3)
	v_cndmask_b32_e32 v57, v63, v57, vcc_lo
	v_cndmask_b32_e64 v45, v45, 0xffffff8a, vcc_lo
	s_delay_alu instid0(VALU_DEP_3) | instskip(NEXT) | instid1(VALU_DEP_3)
	v_lshl_add_u32 v63, 0x100000, v60, -1
	v_lshrrev_b32_e32 v73, v60, v57
	v_lshlrev_b32_e64 v75, v60, 0x80000
	s_delay_alu instid0(VALU_DEP_4) | instskip(NEXT) | instid1(VALU_DEP_4)
	v_add_nc_u32_e32 v60, v60, v45
	v_and_b32_e32 v57, v63, v57
	s_delay_alu instid0(VALU_DEP_4) | instskip(NEXT) | instid1(VALU_DEP_2)
	v_bfe_u32 v74, v73, 20, 1
	v_cmp_eq_u32_e64 s13, v57, v75
	s_delay_alu instid0(VALU_DEP_2) | instskip(NEXT) | instid1(VALU_DEP_1)
	v_add_nc_u32_e32 v63, -1, v74
	v_cndmask_b32_e64 v57, 0, v63, s13
	v_lshrrev_b32_e32 v63, 23, v73
	s_mov_b32 s13, exec_lo
	s_delay_alu instid0(VALU_DEP_2) | instskip(NEXT) | instid1(VALU_DEP_2)
	v_add_nc_u32_e32 v57, v57, v73
	v_xor_b32_e32 v63, 1, v63
	s_delay_alu instid0(VALU_DEP_2) | instskip(NEXT) | instid1(VALU_DEP_1)
	v_and_b32_e32 v45, 0xfffff, v57
	v_add_nc_u32_e32 v57, v45, v73
                                        ; implicit-def: $vgpr45
	s_delay_alu instid0(VALU_DEP_3)
	v_cmpx_ne_u32_e64 v60, v63
	s_xor_b32 s13, exec_lo, s13
; %bb.2644:                             ;   in Loop: Header=BB6_2329 Depth=4
	s_delay_alu instid0(VALU_DEP_2) | instskip(SKIP_2) | instid1(VALU_DEP_2)
	v_cmp_lt_u32_e32 vcc_lo, 0xffffff, v57
	v_sub_nc_u32_e32 v45, v60, v63
	v_cndmask_b32_e64 v60, 0, 1, vcc_lo
	v_add_co_ci_u32_e32 v45, vcc_lo, 0, v45, vcc_lo
	s_delay_alu instid0(VALU_DEP_2)
	v_lshrrev_b32_e32 v57, v60, v57
; %bb.2645:                             ;   in Loop: Header=BB6_2329 Depth=4
	s_and_not1_saveexec_b32 s13, s13
; %bb.2646:                             ;   in Loop: Header=BB6_2329 Depth=4
	s_delay_alu instid0(VALU_DEP_1)
	v_bfe_u32 v45, v57, 23, 1
; %bb.2647:                             ;   in Loop: Header=BB6_2329 Depth=4
	s_or_b32 exec_lo, exec_lo, s13
	v_lshrrev_b32_e32 v57, 20, v57
	s_delay_alu instid0(VALU_DEP_2) | instskip(SKIP_2) | instid1(VALU_DEP_2)
	v_cmp_gt_i32_e32 vcc_lo, 16, v45
	v_lshrrev_b32_e32 v46, 24, v46
	v_min_i32_e32 v60, 15, v45
	v_dual_cndmask_b32 v57, 7, v57 :: v_dual_and_b32 v46, 0x80, v46
	s_delay_alu instid0(VALU_DEP_1) | instskip(SKIP_1) | instid1(VALU_DEP_2)
	v_or_b32_e32 v45, v45, v57
	v_and_b32_e32 v63, 7, v57
	v_cmp_ne_u32_e32 vcc_lo, 0, v45
	v_lshlrev_b32_e32 v60, 3, v60
	s_delay_alu instid0(VALU_DEP_1) | instskip(NEXT) | instid1(VALU_DEP_1)
	v_or3_b32 v46, v60, v46, v63
	v_cndmask_b32_e32 v45, 0, v46, vcc_lo
.LBB6_2648:                             ;   in Loop: Header=BB6_2329 Depth=4
	s_or_b32 exec_lo, exec_lo, s35
.LBB6_2649:                             ;   in Loop: Header=BB6_2329 Depth=4
	s_delay_alu instid0(SALU_CYCLE_1) | instskip(SKIP_3) | instid1(VALU_DEP_1)
	s_or_b32 exec_lo, exec_lo, s34
	v_and_b32_e32 v57, 0xff, v43
	s_mov_b32 s13, 0
	s_mov_b32 s35, exec_lo
                                        ; implicit-def: $sgpr34
	v_cmpx_lt_i16_e32 0x7f, v57
	s_xor_b32 s35, exec_lo, s35
	s_cbranch_execnz .LBB6_2999
; %bb.2650:                             ;   in Loop: Header=BB6_2329 Depth=4
	s_or_saveexec_b32 s35, s35
	v_mov_b32_e32 v46, s34
	s_xor_b32 exec_lo, exec_lo, s35
	s_cbranch_execnz .LBB6_3002
.LBB6_2651:                             ;   in Loop: Header=BB6_2329 Depth=4
	s_or_b32 exec_lo, exec_lo, s35
	s_and_saveexec_b32 s34, s13
	s_cbranch_execz .LBB6_2653
.LBB6_2652:                             ;   in Loop: Header=BB6_2329 Depth=4
	v_lshrrev_b16 v63, 3, v43
	s_delay_alu instid0(VALU_DEP_1) | instskip(NEXT) | instid1(VALU_DEP_1)
	v_and_b32_e32 v63, 15, v63
	v_cmp_eq_u32_e32 vcc_lo, 0, v63
	v_and_b32_e32 v46, 7, v43
	s_delay_alu instid0(VALU_DEP_1) | instskip(NEXT) | instid1(VALU_DEP_1)
	v_clz_i32_u32_e32 v57, v46
	v_min_u32_e32 v57, 32, v57
	s_delay_alu instid0(VALU_DEP_1) | instskip(SKIP_1) | instid1(VALU_DEP_1)
	v_subrev_nc_u32_e32 v60, 28, v57
	v_sub_nc_u32_e32 v57, 29, v57
	v_dual_cndmask_b32 v57, v63, v57 :: v_dual_lshlrev_b32 v60, v60, v43
	v_lshlrev_b32_e32 v43, 24, v43
	s_delay_alu instid0(VALU_DEP_2) | instskip(NEXT) | instid1(VALU_DEP_3)
	v_and_b32_e32 v60, 7, v60
	v_lshl_add_u32 v57, v57, 23, 0x3b800000
	s_delay_alu instid0(VALU_DEP_2) | instskip(NEXT) | instid1(VALU_DEP_1)
	v_dual_cndmask_b32 v46, v46, v60 :: v_dual_and_b32 v43, 0x80000000, v43
	v_lshlrev_b32_e32 v46, 20, v46
	s_delay_alu instid0(VALU_DEP_1)
	v_or3_b32 v46, v43, v57, v46
.LBB6_2653:                             ;   in Loop: Header=BB6_2329 Depth=4
	s_or_b32 exec_lo, exec_lo, s34
	s_waitcnt vmcnt(11) lgkmcnt(11)
	v_and_b32_e32 v57, 0xff, v42
	s_mov_b32 s13, 0
	s_mov_b32 s35, exec_lo
                                        ; implicit-def: $sgpr34
	s_delay_alu instid0(VALU_DEP_1)
	v_cmpx_lt_i16_e32 0x7f, v57
	s_xor_b32 s35, exec_lo, s35
	s_cbranch_execnz .LBB6_3003
; %bb.2654:                             ;   in Loop: Header=BB6_2329 Depth=4
	s_or_saveexec_b32 s35, s35
	v_mov_b32_e32 v43, s34
	s_xor_b32 exec_lo, exec_lo, s35
	s_cbranch_execnz .LBB6_3006
.LBB6_2655:                             ;   in Loop: Header=BB6_2329 Depth=4
	s_or_b32 exec_lo, exec_lo, s35
	s_and_saveexec_b32 s34, s13
	s_cbranch_execz .LBB6_2657
.LBB6_2656:                             ;   in Loop: Header=BB6_2329 Depth=4
	v_and_b32_e32 v43, 7, v42
	v_lshrrev_b16 v63, 3, v42
	s_delay_alu instid0(VALU_DEP_2) | instskip(NEXT) | instid1(VALU_DEP_2)
	v_clz_i32_u32_e32 v57, v43
	v_and_b32_e32 v63, 15, v63
	s_delay_alu instid0(VALU_DEP_2) | instskip(NEXT) | instid1(VALU_DEP_2)
	v_min_u32_e32 v57, 32, v57
	v_cmp_eq_u32_e32 vcc_lo, 0, v63
	s_delay_alu instid0(VALU_DEP_2) | instskip(SKIP_1) | instid1(VALU_DEP_1)
	v_subrev_nc_u32_e32 v60, 28, v57
	v_sub_nc_u32_e32 v57, 29, v57
	v_dual_cndmask_b32 v57, v63, v57 :: v_dual_lshlrev_b32 v60, v60, v42
	s_delay_alu instid0(VALU_DEP_1) | instskip(SKIP_1) | instid1(VALU_DEP_3)
	v_and_b32_e32 v60, 7, v60
	v_lshlrev_b32_e32 v42, 24, v42
	v_lshl_add_u32 v57, v57, 23, 0x3b800000
	s_delay_alu instid0(VALU_DEP_2) | instskip(NEXT) | instid1(VALU_DEP_1)
	v_dual_cndmask_b32 v43, v43, v60 :: v_dual_and_b32 v42, 0x80000000, v42
	v_lshlrev_b32_e32 v43, 20, v43
	s_delay_alu instid0(VALU_DEP_1)
	v_or3_b32 v43, v42, v57, v43
.LBB6_2657:                             ;   in Loop: Header=BB6_2329 Depth=4
	s_or_b32 exec_lo, exec_lo, s34
	s_delay_alu instid0(VALU_DEP_1) | instskip(NEXT) | instid1(VALU_DEP_1)
	v_add_f32_e32 v43, v46, v43
	v_and_b32_e32 v42, 0x7f800000, v43
	s_delay_alu instid0(VALU_DEP_1)
	v_cmp_ne_u32_e32 vcc_lo, 0x7f800000, v42
	v_mov_b32_e32 v42, 0x80
	s_and_saveexec_b32 s34, vcc_lo
	s_cbranch_execz .LBB6_2665
; %bb.2658:                             ;   in Loop: Header=BB6_2329 Depth=4
	v_mov_b32_e32 v42, 0
	s_mov_b32 s35, exec_lo
	v_cmpx_ne_u32_e32 0, v43
	s_cbranch_execz .LBB6_2664
; %bb.2659:                             ;   in Loop: Header=BB6_2329 Depth=4
	v_bfe_u32 v42, v43, 23, 8
	s_delay_alu instid0(VALU_DEP_1) | instskip(SKIP_1) | instid1(VALU_DEP_2)
	v_sub_nc_u32_e32 v57, 0x78, v42
	v_cmp_gt_u32_e32 vcc_lo, 0x79, v42
	v_dual_cndmask_b32 v57, 0, v57 :: v_dual_and_b32 v46, 0x7fffff, v43
	s_delay_alu instid0(VALU_DEP_1) | instskip(SKIP_2) | instid1(VALU_DEP_4)
	v_or_b32_e32 v60, 0x800000, v46
	v_cmp_eq_u32_e32 vcc_lo, 0, v42
	v_add_nc_u32_e32 v42, 0xffffff89, v42
	v_cndmask_b32_e64 v57, v57, 0x77, vcc_lo
	s_delay_alu instid0(VALU_DEP_4) | instskip(NEXT) | instid1(VALU_DEP_3)
	v_cndmask_b32_e32 v46, v60, v46, vcc_lo
	v_cndmask_b32_e64 v42, v42, 0xffffff8a, vcc_lo
	s_delay_alu instid0(VALU_DEP_3) | instskip(NEXT) | instid1(VALU_DEP_3)
	v_lshl_add_u32 v60, 0x100000, v57, -1
	v_lshrrev_b32_e32 v63, v57, v46
	v_lshlrev_b32_e64 v74, v57, 0x80000
	s_delay_alu instid0(VALU_DEP_4) | instskip(NEXT) | instid1(VALU_DEP_4)
	v_add_nc_u32_e32 v57, v57, v42
	v_and_b32_e32 v46, v60, v46
	s_delay_alu instid0(VALU_DEP_4) | instskip(NEXT) | instid1(VALU_DEP_2)
	v_bfe_u32 v73, v63, 20, 1
	v_cmp_eq_u32_e64 s13, v46, v74
	s_delay_alu instid0(VALU_DEP_2) | instskip(NEXT) | instid1(VALU_DEP_1)
	v_add_nc_u32_e32 v60, -1, v73
	v_cndmask_b32_e64 v46, 0, v60, s13
	v_lshrrev_b32_e32 v60, 23, v63
	s_mov_b32 s13, exec_lo
	s_delay_alu instid0(VALU_DEP_2) | instskip(NEXT) | instid1(VALU_DEP_2)
	v_add_nc_u32_e32 v46, v46, v63
	v_xor_b32_e32 v60, 1, v60
	s_delay_alu instid0(VALU_DEP_2) | instskip(NEXT) | instid1(VALU_DEP_1)
	v_and_b32_e32 v42, 0xfffff, v46
	v_add_nc_u32_e32 v46, v42, v63
                                        ; implicit-def: $vgpr42
	s_delay_alu instid0(VALU_DEP_3)
	v_cmpx_ne_u32_e64 v57, v60
	s_xor_b32 s13, exec_lo, s13
; %bb.2660:                             ;   in Loop: Header=BB6_2329 Depth=4
	s_delay_alu instid0(VALU_DEP_2) | instskip(SKIP_2) | instid1(VALU_DEP_2)
	v_cmp_lt_u32_e32 vcc_lo, 0xffffff, v46
	v_sub_nc_u32_e32 v42, v57, v60
	v_cndmask_b32_e64 v57, 0, 1, vcc_lo
	v_add_co_ci_u32_e32 v42, vcc_lo, 0, v42, vcc_lo
	s_delay_alu instid0(VALU_DEP_2)
	v_lshrrev_b32_e32 v46, v57, v46
; %bb.2661:                             ;   in Loop: Header=BB6_2329 Depth=4
	s_and_not1_saveexec_b32 s13, s13
; %bb.2662:                             ;   in Loop: Header=BB6_2329 Depth=4
	s_delay_alu instid0(VALU_DEP_1)
	v_bfe_u32 v42, v46, 23, 1
; %bb.2663:                             ;   in Loop: Header=BB6_2329 Depth=4
	s_or_b32 exec_lo, exec_lo, s13
	v_lshrrev_b32_e32 v46, 20, v46
	s_delay_alu instid0(VALU_DEP_2) | instskip(SKIP_2) | instid1(VALU_DEP_2)
	v_cmp_gt_i32_e32 vcc_lo, 16, v42
	v_lshrrev_b32_e32 v43, 24, v43
	v_min_i32_e32 v57, 15, v42
	v_dual_cndmask_b32 v46, 7, v46 :: v_dual_and_b32 v43, 0x80, v43
	s_delay_alu instid0(VALU_DEP_1) | instskip(SKIP_1) | instid1(VALU_DEP_2)
	v_or_b32_e32 v42, v42, v46
	v_and_b32_e32 v60, 7, v46
	v_cmp_ne_u32_e32 vcc_lo, 0, v42
	v_lshlrev_b32_e32 v57, 3, v57
	s_delay_alu instid0(VALU_DEP_1) | instskip(NEXT) | instid1(VALU_DEP_1)
	v_or3_b32 v43, v57, v43, v60
	v_cndmask_b32_e32 v42, 0, v43, vcc_lo
.LBB6_2664:                             ;   in Loop: Header=BB6_2329 Depth=4
	s_or_b32 exec_lo, exec_lo, s35
.LBB6_2665:                             ;   in Loop: Header=BB6_2329 Depth=4
	s_delay_alu instid0(SALU_CYCLE_1) | instskip(SKIP_3) | instid1(VALU_DEP_1)
	s_or_b32 exec_lo, exec_lo, s34
	v_and_b32_e32 v46, 0xff, v40
	s_mov_b32 s13, 0
	s_mov_b32 s35, exec_lo
                                        ; implicit-def: $sgpr34
	v_cmpx_lt_i16_e32 0x7f, v46
	s_xor_b32 s35, exec_lo, s35
	s_cbranch_execnz .LBB6_3007
; %bb.2666:                             ;   in Loop: Header=BB6_2329 Depth=4
	s_or_saveexec_b32 s35, s35
	v_mov_b32_e32 v43, s34
	s_xor_b32 exec_lo, exec_lo, s35
	s_cbranch_execnz .LBB6_3010
.LBB6_2667:                             ;   in Loop: Header=BB6_2329 Depth=4
	s_or_b32 exec_lo, exec_lo, s35
	s_and_saveexec_b32 s34, s13
	s_cbranch_execz .LBB6_2669
.LBB6_2668:                             ;   in Loop: Header=BB6_2329 Depth=4
	v_lshrrev_b16 v60, 3, v40
	s_delay_alu instid0(VALU_DEP_1) | instskip(NEXT) | instid1(VALU_DEP_1)
	v_and_b32_e32 v60, 15, v60
	v_cmp_eq_u32_e32 vcc_lo, 0, v60
	v_and_b32_e32 v43, 7, v40
	s_delay_alu instid0(VALU_DEP_1) | instskip(NEXT) | instid1(VALU_DEP_1)
	v_clz_i32_u32_e32 v46, v43
	v_min_u32_e32 v46, 32, v46
	s_delay_alu instid0(VALU_DEP_1) | instskip(SKIP_1) | instid1(VALU_DEP_1)
	v_subrev_nc_u32_e32 v57, 28, v46
	v_sub_nc_u32_e32 v46, 29, v46
	v_dual_cndmask_b32 v46, v60, v46 :: v_dual_lshlrev_b32 v57, v57, v40
	v_lshlrev_b32_e32 v40, 24, v40
	s_delay_alu instid0(VALU_DEP_2) | instskip(NEXT) | instid1(VALU_DEP_3)
	v_and_b32_e32 v57, 7, v57
	v_lshl_add_u32 v46, v46, 23, 0x3b800000
	s_delay_alu instid0(VALU_DEP_2) | instskip(NEXT) | instid1(VALU_DEP_1)
	v_dual_cndmask_b32 v43, v43, v57 :: v_dual_and_b32 v40, 0x80000000, v40
	v_lshlrev_b32_e32 v43, 20, v43
	s_delay_alu instid0(VALU_DEP_1)
	v_or3_b32 v43, v40, v46, v43
.LBB6_2669:                             ;   in Loop: Header=BB6_2329 Depth=4
	s_or_b32 exec_lo, exec_lo, s34
	s_waitcnt vmcnt(10) lgkmcnt(10)
	v_and_b32_e32 v46, 0xff, v183
	s_mov_b32 s13, 0
	s_mov_b32 s35, exec_lo
                                        ; implicit-def: $sgpr34
	s_delay_alu instid0(VALU_DEP_1)
	v_cmpx_lt_i16_e32 0x7f, v46
	s_xor_b32 s35, exec_lo, s35
	s_cbranch_execnz .LBB6_3011
; %bb.2670:                             ;   in Loop: Header=BB6_2329 Depth=4
	s_or_saveexec_b32 s35, s35
	v_mov_b32_e32 v40, s34
	s_xor_b32 exec_lo, exec_lo, s35
	s_cbranch_execnz .LBB6_3014
.LBB6_2671:                             ;   in Loop: Header=BB6_2329 Depth=4
	s_or_b32 exec_lo, exec_lo, s35
	s_and_saveexec_b32 s34, s13
	s_cbranch_execz .LBB6_2673
.LBB6_2672:                             ;   in Loop: Header=BB6_2329 Depth=4
	v_and_b32_e32 v40, 7, v183
	v_lshrrev_b16 v60, 3, v183
	s_delay_alu instid0(VALU_DEP_2) | instskip(NEXT) | instid1(VALU_DEP_2)
	v_clz_i32_u32_e32 v46, v40
	v_and_b32_e32 v60, 15, v60
	s_delay_alu instid0(VALU_DEP_2) | instskip(NEXT) | instid1(VALU_DEP_2)
	v_min_u32_e32 v46, 32, v46
	v_cmp_eq_u32_e32 vcc_lo, 0, v60
	s_delay_alu instid0(VALU_DEP_2) | instskip(SKIP_1) | instid1(VALU_DEP_1)
	v_subrev_nc_u32_e32 v57, 28, v46
	v_sub_nc_u32_e32 v46, 29, v46
	v_dual_cndmask_b32 v46, v60, v46 :: v_dual_lshlrev_b32 v57, v57, v183
	s_delay_alu instid0(VALU_DEP_1) | instskip(SKIP_1) | instid1(VALU_DEP_3)
	v_and_b32_e32 v57, 7, v57
	v_lshlrev_b32_e32 v183, 24, v183
	v_lshl_add_u32 v46, v46, 23, 0x3b800000
	s_delay_alu instid0(VALU_DEP_2) | instskip(NEXT) | instid1(VALU_DEP_1)
	v_dual_cndmask_b32 v40, v40, v57 :: v_dual_and_b32 v183, 0x80000000, v183
	v_lshlrev_b32_e32 v40, 20, v40
	s_delay_alu instid0(VALU_DEP_1)
	v_or3_b32 v40, v183, v46, v40
.LBB6_2673:                             ;   in Loop: Header=BB6_2329 Depth=4
	s_or_b32 exec_lo, exec_lo, s34
	s_delay_alu instid0(VALU_DEP_1) | instskip(NEXT) | instid1(VALU_DEP_1)
	v_add_f32_e32 v40, v43, v40
	v_and_b32_e32 v183, 0x7f800000, v40
	s_delay_alu instid0(VALU_DEP_1)
	v_cmp_ne_u32_e32 vcc_lo, 0x7f800000, v183
	v_mov_b32_e32 v183, 0x80
	s_and_saveexec_b32 s34, vcc_lo
	s_cbranch_execz .LBB6_2681
; %bb.2674:                             ;   in Loop: Header=BB6_2329 Depth=4
	v_mov_b32_e32 v183, 0
	s_mov_b32 s35, exec_lo
	v_cmpx_ne_u32_e32 0, v40
	s_cbranch_execz .LBB6_2680
; %bb.2675:                             ;   in Loop: Header=BB6_2329 Depth=4
	v_bfe_u32 v183, v40, 23, 8
	s_delay_alu instid0(VALU_DEP_1) | instskip(SKIP_1) | instid1(VALU_DEP_2)
	v_sub_nc_u32_e32 v46, 0x78, v183
	v_cmp_gt_u32_e32 vcc_lo, 0x79, v183
	v_dual_cndmask_b32 v46, 0, v46 :: v_dual_and_b32 v43, 0x7fffff, v40
	s_delay_alu instid0(VALU_DEP_1) | instskip(SKIP_2) | instid1(VALU_DEP_4)
	v_or_b32_e32 v57, 0x800000, v43
	v_cmp_eq_u32_e32 vcc_lo, 0, v183
	v_add_nc_u32_e32 v183, 0xffffff89, v183
	v_cndmask_b32_e64 v46, v46, 0x77, vcc_lo
	s_delay_alu instid0(VALU_DEP_4) | instskip(NEXT) | instid1(VALU_DEP_3)
	v_cndmask_b32_e32 v43, v57, v43, vcc_lo
	v_cndmask_b32_e64 v183, v183, 0xffffff8a, vcc_lo
	s_delay_alu instid0(VALU_DEP_3) | instskip(NEXT) | instid1(VALU_DEP_3)
	v_lshl_add_u32 v57, 0x100000, v46, -1
	v_lshrrev_b32_e32 v60, v46, v43
	v_lshlrev_b32_e64 v73, v46, 0x80000
	s_delay_alu instid0(VALU_DEP_4) | instskip(NEXT) | instid1(VALU_DEP_4)
	v_add_nc_u32_e32 v46, v46, v183
	v_and_b32_e32 v43, v57, v43
	s_delay_alu instid0(VALU_DEP_4) | instskip(NEXT) | instid1(VALU_DEP_2)
	v_bfe_u32 v63, v60, 20, 1
	v_cmp_eq_u32_e64 s13, v43, v73
	s_delay_alu instid0(VALU_DEP_2) | instskip(NEXT) | instid1(VALU_DEP_1)
	v_add_nc_u32_e32 v57, -1, v63
	v_cndmask_b32_e64 v43, 0, v57, s13
	v_lshrrev_b32_e32 v57, 23, v60
	s_mov_b32 s13, exec_lo
	s_delay_alu instid0(VALU_DEP_2) | instskip(NEXT) | instid1(VALU_DEP_2)
	v_add_nc_u32_e32 v43, v43, v60
	v_xor_b32_e32 v57, 1, v57
	s_delay_alu instid0(VALU_DEP_2) | instskip(NEXT) | instid1(VALU_DEP_1)
	v_and_b32_e32 v183, 0xfffff, v43
	v_add_nc_u32_e32 v43, v183, v60
                                        ; implicit-def: $vgpr183
	s_delay_alu instid0(VALU_DEP_3)
	v_cmpx_ne_u32_e64 v46, v57
	s_xor_b32 s13, exec_lo, s13
; %bb.2676:                             ;   in Loop: Header=BB6_2329 Depth=4
	s_delay_alu instid0(VALU_DEP_2) | instskip(SKIP_2) | instid1(VALU_DEP_2)
	v_cmp_lt_u32_e32 vcc_lo, 0xffffff, v43
	v_sub_nc_u32_e32 v183, v46, v57
	v_cndmask_b32_e64 v46, 0, 1, vcc_lo
	v_add_co_ci_u32_e32 v183, vcc_lo, 0, v183, vcc_lo
	s_delay_alu instid0(VALU_DEP_2)
	v_lshrrev_b32_e32 v43, v46, v43
; %bb.2677:                             ;   in Loop: Header=BB6_2329 Depth=4
	s_and_not1_saveexec_b32 s13, s13
; %bb.2678:                             ;   in Loop: Header=BB6_2329 Depth=4
	s_delay_alu instid0(VALU_DEP_1)
	v_bfe_u32 v183, v43, 23, 1
; %bb.2679:                             ;   in Loop: Header=BB6_2329 Depth=4
	s_or_b32 exec_lo, exec_lo, s13
	v_lshrrev_b32_e32 v43, 20, v43
	s_delay_alu instid0(VALU_DEP_2) | instskip(SKIP_2) | instid1(VALU_DEP_2)
	v_cmp_gt_i32_e32 vcc_lo, 16, v183
	v_lshrrev_b32_e32 v40, 24, v40
	v_min_i32_e32 v46, 15, v183
	v_dual_cndmask_b32 v43, 7, v43 :: v_dual_and_b32 v40, 0x80, v40
	s_delay_alu instid0(VALU_DEP_1) | instskip(SKIP_1) | instid1(VALU_DEP_2)
	v_or_b32_e32 v183, v183, v43
	v_and_b32_e32 v57, 7, v43
	v_cmp_ne_u32_e32 vcc_lo, 0, v183
	v_lshlrev_b32_e32 v46, 3, v46
	s_delay_alu instid0(VALU_DEP_1) | instskip(NEXT) | instid1(VALU_DEP_1)
	v_or3_b32 v40, v46, v40, v57
	v_cndmask_b32_e32 v183, 0, v40, vcc_lo
.LBB6_2680:                             ;   in Loop: Header=BB6_2329 Depth=4
	s_or_b32 exec_lo, exec_lo, s35
.LBB6_2681:                             ;   in Loop: Header=BB6_2329 Depth=4
	s_delay_alu instid0(SALU_CYCLE_1) | instskip(SKIP_3) | instid1(VALU_DEP_1)
	s_or_b32 exec_lo, exec_lo, s34
	v_and_b32_e32 v43, 0xff, v181
	s_mov_b32 s13, 0
	s_mov_b32 s35, exec_lo
                                        ; implicit-def: $sgpr34
	v_cmpx_lt_i16_e32 0x7f, v43
	s_xor_b32 s35, exec_lo, s35
	s_cbranch_execnz .LBB6_3015
; %bb.2682:                             ;   in Loop: Header=BB6_2329 Depth=4
	s_or_saveexec_b32 s35, s35
	v_mov_b32_e32 v40, s34
	s_xor_b32 exec_lo, exec_lo, s35
	s_cbranch_execnz .LBB6_3018
.LBB6_2683:                             ;   in Loop: Header=BB6_2329 Depth=4
	s_or_b32 exec_lo, exec_lo, s35
	s_and_saveexec_b32 s34, s13
	s_cbranch_execz .LBB6_2685
.LBB6_2684:                             ;   in Loop: Header=BB6_2329 Depth=4
	v_lshrrev_b16 v57, 3, v181
	s_delay_alu instid0(VALU_DEP_1) | instskip(NEXT) | instid1(VALU_DEP_1)
	v_and_b32_e32 v57, 15, v57
	v_cmp_eq_u32_e32 vcc_lo, 0, v57
	v_and_b32_e32 v40, 7, v181
	s_delay_alu instid0(VALU_DEP_1) | instskip(NEXT) | instid1(VALU_DEP_1)
	v_clz_i32_u32_e32 v43, v40
	v_min_u32_e32 v43, 32, v43
	s_delay_alu instid0(VALU_DEP_1) | instskip(SKIP_1) | instid1(VALU_DEP_1)
	v_subrev_nc_u32_e32 v46, 28, v43
	v_sub_nc_u32_e32 v43, 29, v43
	v_dual_cndmask_b32 v43, v57, v43 :: v_dual_lshlrev_b32 v46, v46, v181
	v_lshlrev_b32_e32 v181, 24, v181
	s_delay_alu instid0(VALU_DEP_2) | instskip(NEXT) | instid1(VALU_DEP_3)
	v_and_b32_e32 v46, 7, v46
	v_lshl_add_u32 v43, v43, 23, 0x3b800000
	s_delay_alu instid0(VALU_DEP_2) | instskip(NEXT) | instid1(VALU_DEP_1)
	v_dual_cndmask_b32 v40, v40, v46 :: v_dual_and_b32 v181, 0x80000000, v181
	v_lshlrev_b32_e32 v40, 20, v40
	s_delay_alu instid0(VALU_DEP_1)
	v_or3_b32 v40, v181, v43, v40
.LBB6_2685:                             ;   in Loop: Header=BB6_2329 Depth=4
	s_or_b32 exec_lo, exec_lo, s34
	s_waitcnt vmcnt(9) lgkmcnt(9)
	v_and_b32_e32 v43, 0xff, v117
	s_mov_b32 s13, 0
	s_mov_b32 s35, exec_lo
                                        ; implicit-def: $sgpr34
	s_delay_alu instid0(VALU_DEP_1)
	v_cmpx_lt_i16_e32 0x7f, v43
	s_xor_b32 s35, exec_lo, s35
	s_cbranch_execnz .LBB6_3019
; %bb.2686:                             ;   in Loop: Header=BB6_2329 Depth=4
	s_or_saveexec_b32 s35, s35
	v_mov_b32_e32 v181, s34
	s_xor_b32 exec_lo, exec_lo, s35
	s_cbranch_execnz .LBB6_3022
.LBB6_2687:                             ;   in Loop: Header=BB6_2329 Depth=4
	s_or_b32 exec_lo, exec_lo, s35
	s_and_saveexec_b32 s34, s13
	s_cbranch_execz .LBB6_2689
.LBB6_2688:                             ;   in Loop: Header=BB6_2329 Depth=4
	v_and_b32_e32 v181, 7, v117
	v_lshrrev_b16 v57, 3, v117
	s_delay_alu instid0(VALU_DEP_2) | instskip(NEXT) | instid1(VALU_DEP_2)
	v_clz_i32_u32_e32 v43, v181
	v_and_b32_e32 v57, 15, v57
	s_delay_alu instid0(VALU_DEP_2) | instskip(NEXT) | instid1(VALU_DEP_2)
	v_min_u32_e32 v43, 32, v43
	v_cmp_eq_u32_e32 vcc_lo, 0, v57
	s_delay_alu instid0(VALU_DEP_2) | instskip(SKIP_1) | instid1(VALU_DEP_1)
	v_subrev_nc_u32_e32 v46, 28, v43
	v_sub_nc_u32_e32 v43, 29, v43
	v_dual_cndmask_b32 v43, v57, v43 :: v_dual_lshlrev_b32 v46, v46, v117
	v_lshlrev_b32_e32 v117, 24, v117
	s_delay_alu instid0(VALU_DEP_2) | instskip(NEXT) | instid1(VALU_DEP_3)
	v_and_b32_e32 v46, 7, v46
	v_lshl_add_u32 v43, v43, 23, 0x3b800000
	s_delay_alu instid0(VALU_DEP_3) | instskip(NEXT) | instid1(VALU_DEP_3)
	v_and_b32_e32 v117, 0x80000000, v117
	v_cndmask_b32_e32 v181, v181, v46, vcc_lo
	s_delay_alu instid0(VALU_DEP_1) | instskip(NEXT) | instid1(VALU_DEP_1)
	v_lshlrev_b32_e32 v181, 20, v181
	v_or3_b32 v181, v117, v43, v181
.LBB6_2689:                             ;   in Loop: Header=BB6_2329 Depth=4
	s_or_b32 exec_lo, exec_lo, s34
	s_delay_alu instid0(VALU_DEP_1) | instskip(NEXT) | instid1(VALU_DEP_1)
	v_add_f32_e32 v181, v40, v181
	v_and_b32_e32 v117, 0x7f800000, v181
	s_delay_alu instid0(VALU_DEP_1)
	v_cmp_ne_u32_e32 vcc_lo, 0x7f800000, v117
	v_mov_b32_e32 v117, 0x80
	s_and_saveexec_b32 s34, vcc_lo
	s_cbranch_execz .LBB6_2697
; %bb.2690:                             ;   in Loop: Header=BB6_2329 Depth=4
	v_mov_b32_e32 v117, 0
	s_mov_b32 s35, exec_lo
	v_cmpx_ne_u32_e32 0, v181
	s_cbranch_execz .LBB6_2696
; %bb.2691:                             ;   in Loop: Header=BB6_2329 Depth=4
	v_bfe_u32 v117, v181, 23, 8
	s_delay_alu instid0(VALU_DEP_1) | instskip(SKIP_1) | instid1(VALU_DEP_2)
	v_sub_nc_u32_e32 v43, 0x78, v117
	v_cmp_gt_u32_e32 vcc_lo, 0x79, v117
	v_dual_cndmask_b32 v43, 0, v43 :: v_dual_and_b32 v40, 0x7fffff, v181
	s_delay_alu instid0(VALU_DEP_1) | instskip(SKIP_2) | instid1(VALU_DEP_4)
	v_or_b32_e32 v46, 0x800000, v40
	v_cmp_eq_u32_e32 vcc_lo, 0, v117
	v_add_nc_u32_e32 v117, 0xffffff89, v117
	v_cndmask_b32_e64 v43, v43, 0x77, vcc_lo
	s_delay_alu instid0(VALU_DEP_4) | instskip(NEXT) | instid1(VALU_DEP_3)
	v_cndmask_b32_e32 v40, v46, v40, vcc_lo
	v_cndmask_b32_e64 v117, v117, 0xffffff8a, vcc_lo
	s_delay_alu instid0(VALU_DEP_3) | instskip(NEXT) | instid1(VALU_DEP_3)
	v_lshl_add_u32 v46, 0x100000, v43, -1
	v_lshrrev_b32_e32 v57, v43, v40
	v_lshlrev_b32_e64 v63, v43, 0x80000
	s_delay_alu instid0(VALU_DEP_4) | instskip(NEXT) | instid1(VALU_DEP_4)
	v_add_nc_u32_e32 v43, v43, v117
	v_and_b32_e32 v40, v46, v40
	s_delay_alu instid0(VALU_DEP_4) | instskip(NEXT) | instid1(VALU_DEP_2)
	v_bfe_u32 v60, v57, 20, 1
	v_cmp_eq_u32_e64 s13, v40, v63
	s_delay_alu instid0(VALU_DEP_2) | instskip(NEXT) | instid1(VALU_DEP_1)
	v_add_nc_u32_e32 v46, -1, v60
	v_cndmask_b32_e64 v40, 0, v46, s13
	v_lshrrev_b32_e32 v46, 23, v57
	s_mov_b32 s13, exec_lo
	s_delay_alu instid0(VALU_DEP_2) | instskip(NEXT) | instid1(VALU_DEP_2)
	v_add_nc_u32_e32 v40, v40, v57
	v_xor_b32_e32 v46, 1, v46
	s_delay_alu instid0(VALU_DEP_2) | instskip(NEXT) | instid1(VALU_DEP_1)
	v_and_b32_e32 v117, 0xfffff, v40
	v_add_nc_u32_e32 v40, v117, v57
                                        ; implicit-def: $vgpr117
	s_delay_alu instid0(VALU_DEP_3)
	v_cmpx_ne_u32_e64 v43, v46
	s_xor_b32 s13, exec_lo, s13
; %bb.2692:                             ;   in Loop: Header=BB6_2329 Depth=4
	s_delay_alu instid0(VALU_DEP_2) | instskip(SKIP_2) | instid1(VALU_DEP_2)
	v_cmp_lt_u32_e32 vcc_lo, 0xffffff, v40
	v_sub_nc_u32_e32 v117, v43, v46
	v_cndmask_b32_e64 v43, 0, 1, vcc_lo
	v_add_co_ci_u32_e32 v117, vcc_lo, 0, v117, vcc_lo
	s_delay_alu instid0(VALU_DEP_2)
	v_lshrrev_b32_e32 v40, v43, v40
; %bb.2693:                             ;   in Loop: Header=BB6_2329 Depth=4
	s_and_not1_saveexec_b32 s13, s13
; %bb.2694:                             ;   in Loop: Header=BB6_2329 Depth=4
	s_delay_alu instid0(VALU_DEP_1)
	v_bfe_u32 v117, v40, 23, 1
; %bb.2695:                             ;   in Loop: Header=BB6_2329 Depth=4
	s_or_b32 exec_lo, exec_lo, s13
	v_lshrrev_b32_e32 v40, 20, v40
	s_delay_alu instid0(VALU_DEP_2) | instskip(SKIP_2) | instid1(VALU_DEP_2)
	v_cmp_gt_i32_e32 vcc_lo, 16, v117
	v_lshrrev_b32_e32 v181, 24, v181
	v_min_i32_e32 v43, 15, v117
	v_dual_cndmask_b32 v40, 7, v40 :: v_dual_and_b32 v181, 0x80, v181
	s_delay_alu instid0(VALU_DEP_2) | instskip(NEXT) | instid1(VALU_DEP_2)
	v_lshlrev_b32_e32 v43, 3, v43
	v_or_b32_e32 v117, v117, v40
	s_delay_alu instid0(VALU_DEP_1) | instskip(SKIP_1) | instid1(VALU_DEP_1)
	v_cmp_ne_u32_e32 vcc_lo, 0, v117
	v_and_b32_e32 v46, 7, v40
	v_or3_b32 v181, v43, v181, v46
	s_delay_alu instid0(VALU_DEP_1)
	v_cndmask_b32_e32 v117, 0, v181, vcc_lo
.LBB6_2696:                             ;   in Loop: Header=BB6_2329 Depth=4
	s_or_b32 exec_lo, exec_lo, s35
.LBB6_2697:                             ;   in Loop: Header=BB6_2329 Depth=4
	s_delay_alu instid0(SALU_CYCLE_1) | instskip(SKIP_3) | instid1(VALU_DEP_1)
	s_or_b32 exec_lo, exec_lo, s34
	v_and_b32_e32 v40, 0xff, v115
	s_mov_b32 s13, 0
	s_mov_b32 s35, exec_lo
                                        ; implicit-def: $sgpr34
	v_cmpx_lt_i16_e32 0x7f, v40
	s_xor_b32 s35, exec_lo, s35
	s_cbranch_execnz .LBB6_3023
; %bb.2698:                             ;   in Loop: Header=BB6_2329 Depth=4
	s_or_saveexec_b32 s35, s35
	v_mov_b32_e32 v181, s34
	s_xor_b32 exec_lo, exec_lo, s35
	s_cbranch_execnz .LBB6_3026
.LBB6_2699:                             ;   in Loop: Header=BB6_2329 Depth=4
	s_or_b32 exec_lo, exec_lo, s35
	s_and_saveexec_b32 s34, s13
	s_cbranch_execz .LBB6_2701
.LBB6_2700:                             ;   in Loop: Header=BB6_2329 Depth=4
	v_lshrrev_b16 v46, 3, v115
	s_delay_alu instid0(VALU_DEP_1) | instskip(NEXT) | instid1(VALU_DEP_1)
	v_and_b32_e32 v46, 15, v46
	v_cmp_eq_u32_e32 vcc_lo, 0, v46
	v_and_b32_e32 v181, 7, v115
	s_delay_alu instid0(VALU_DEP_1) | instskip(NEXT) | instid1(VALU_DEP_1)
	v_clz_i32_u32_e32 v40, v181
	v_min_u32_e32 v40, 32, v40
	s_delay_alu instid0(VALU_DEP_1) | instskip(SKIP_1) | instid1(VALU_DEP_1)
	v_subrev_nc_u32_e32 v43, 28, v40
	v_sub_nc_u32_e32 v40, 29, v40
	v_dual_cndmask_b32 v40, v46, v40 :: v_dual_lshlrev_b32 v43, v43, v115
	v_lshlrev_b32_e32 v115, 24, v115
	s_delay_alu instid0(VALU_DEP_2) | instskip(NEXT) | instid1(VALU_DEP_3)
	v_and_b32_e32 v43, 7, v43
	v_lshl_add_u32 v40, v40, 23, 0x3b800000
	s_delay_alu instid0(VALU_DEP_3) | instskip(NEXT) | instid1(VALU_DEP_3)
	v_and_b32_e32 v115, 0x80000000, v115
	v_cndmask_b32_e32 v181, v181, v43, vcc_lo
	s_delay_alu instid0(VALU_DEP_1) | instskip(NEXT) | instid1(VALU_DEP_1)
	v_lshlrev_b32_e32 v181, 20, v181
	v_or3_b32 v181, v115, v40, v181
.LBB6_2701:                             ;   in Loop: Header=BB6_2329 Depth=4
	s_or_b32 exec_lo, exec_lo, s34
	s_waitcnt vmcnt(8) lgkmcnt(8)
	v_and_b32_e32 v40, 0xff, v114
	s_mov_b32 s13, 0
	s_mov_b32 s35, exec_lo
                                        ; implicit-def: $sgpr34
	s_delay_alu instid0(VALU_DEP_1)
	v_cmpx_lt_i16_e32 0x7f, v40
	s_xor_b32 s35, exec_lo, s35
	s_cbranch_execnz .LBB6_3027
; %bb.2702:                             ;   in Loop: Header=BB6_2329 Depth=4
	s_or_saveexec_b32 s35, s35
	v_mov_b32_e32 v115, s34
	s_xor_b32 exec_lo, exec_lo, s35
	s_cbranch_execnz .LBB6_3030
.LBB6_2703:                             ;   in Loop: Header=BB6_2329 Depth=4
	s_or_b32 exec_lo, exec_lo, s35
	s_and_saveexec_b32 s34, s13
	s_cbranch_execz .LBB6_2705
.LBB6_2704:                             ;   in Loop: Header=BB6_2329 Depth=4
	v_lshrrev_b16 v46, 3, v114
	s_delay_alu instid0(VALU_DEP_1) | instskip(NEXT) | instid1(VALU_DEP_1)
	v_and_b32_e32 v46, 15, v46
	v_cmp_eq_u32_e32 vcc_lo, 0, v46
	v_and_b32_e32 v115, 7, v114
	s_delay_alu instid0(VALU_DEP_1) | instskip(NEXT) | instid1(VALU_DEP_1)
	v_clz_i32_u32_e32 v40, v115
	v_min_u32_e32 v40, 32, v40
	s_delay_alu instid0(VALU_DEP_1) | instskip(SKIP_1) | instid1(VALU_DEP_1)
	v_subrev_nc_u32_e32 v43, 28, v40
	v_sub_nc_u32_e32 v40, 29, v40
	v_dual_cndmask_b32 v40, v46, v40 :: v_dual_lshlrev_b32 v43, v43, v114
	v_lshlrev_b32_e32 v114, 24, v114
	s_delay_alu instid0(VALU_DEP_2) | instskip(NEXT) | instid1(VALU_DEP_3)
	v_and_b32_e32 v43, 7, v43
	v_lshl_add_u32 v40, v40, 23, 0x3b800000
	s_delay_alu instid0(VALU_DEP_2) | instskip(NEXT) | instid1(VALU_DEP_1)
	v_dual_cndmask_b32 v115, v115, v43 :: v_dual_and_b32 v114, 0x80000000, v114
	v_lshlrev_b32_e32 v115, 20, v115
	s_delay_alu instid0(VALU_DEP_1)
	v_or3_b32 v115, v114, v40, v115
.LBB6_2705:                             ;   in Loop: Header=BB6_2329 Depth=4
	s_or_b32 exec_lo, exec_lo, s34
	s_delay_alu instid0(VALU_DEP_1) | instskip(NEXT) | instid1(VALU_DEP_1)
	v_add_f32_e32 v115, v181, v115
	v_and_b32_e32 v114, 0x7f800000, v115
	s_delay_alu instid0(VALU_DEP_1)
	v_cmp_ne_u32_e32 vcc_lo, 0x7f800000, v114
	v_mov_b32_e32 v114, 0x80
	s_and_saveexec_b32 s34, vcc_lo
	s_cbranch_execz .LBB6_2713
; %bb.2706:                             ;   in Loop: Header=BB6_2329 Depth=4
	v_mov_b32_e32 v114, 0
	s_mov_b32 s35, exec_lo
	v_cmpx_ne_u32_e32 0, v115
	s_cbranch_execz .LBB6_2712
; %bb.2707:                             ;   in Loop: Header=BB6_2329 Depth=4
	v_bfe_u32 v114, v115, 23, 8
	s_delay_alu instid0(VALU_DEP_1) | instskip(SKIP_1) | instid1(VALU_DEP_2)
	v_sub_nc_u32_e32 v40, 0x78, v114
	v_cmp_gt_u32_e32 vcc_lo, 0x79, v114
	v_dual_cndmask_b32 v40, 0, v40 :: v_dual_and_b32 v181, 0x7fffff, v115
	s_delay_alu instid0(VALU_DEP_1) | instskip(SKIP_2) | instid1(VALU_DEP_4)
	v_or_b32_e32 v43, 0x800000, v181
	v_cmp_eq_u32_e32 vcc_lo, 0, v114
	v_add_nc_u32_e32 v114, 0xffffff89, v114
	v_cndmask_b32_e64 v40, v40, 0x77, vcc_lo
	s_delay_alu instid0(VALU_DEP_4) | instskip(NEXT) | instid1(VALU_DEP_3)
	v_cndmask_b32_e32 v181, v43, v181, vcc_lo
	v_cndmask_b32_e64 v114, v114, 0xffffff8a, vcc_lo
	s_delay_alu instid0(VALU_DEP_3) | instskip(NEXT) | instid1(VALU_DEP_3)
	v_lshl_add_u32 v43, 0x100000, v40, -1
	v_lshrrev_b32_e32 v46, v40, v181
	v_lshlrev_b32_e64 v60, v40, 0x80000
	s_delay_alu instid0(VALU_DEP_4) | instskip(NEXT) | instid1(VALU_DEP_4)
	v_add_nc_u32_e32 v40, v40, v114
	v_and_b32_e32 v181, v43, v181
	s_delay_alu instid0(VALU_DEP_4) | instskip(NEXT) | instid1(VALU_DEP_2)
	v_bfe_u32 v57, v46, 20, 1
	v_cmp_eq_u32_e64 s13, v181, v60
	s_delay_alu instid0(VALU_DEP_2) | instskip(NEXT) | instid1(VALU_DEP_1)
	v_add_nc_u32_e32 v43, -1, v57
	v_cndmask_b32_e64 v181, 0, v43, s13
	v_lshrrev_b32_e32 v43, 23, v46
	s_mov_b32 s13, exec_lo
	s_delay_alu instid0(VALU_DEP_2) | instskip(NEXT) | instid1(VALU_DEP_2)
	v_add_nc_u32_e32 v181, v181, v46
	v_xor_b32_e32 v43, 1, v43
	s_delay_alu instid0(VALU_DEP_2) | instskip(NEXT) | instid1(VALU_DEP_1)
	v_and_b32_e32 v114, 0xfffff, v181
	v_add_nc_u32_e32 v181, v114, v46
                                        ; implicit-def: $vgpr114
	s_delay_alu instid0(VALU_DEP_3)
	v_cmpx_ne_u32_e64 v40, v43
	s_xor_b32 s13, exec_lo, s13
; %bb.2708:                             ;   in Loop: Header=BB6_2329 Depth=4
	s_delay_alu instid0(VALU_DEP_2) | instskip(SKIP_2) | instid1(VALU_DEP_2)
	v_cmp_lt_u32_e32 vcc_lo, 0xffffff, v181
	v_sub_nc_u32_e32 v114, v40, v43
	v_cndmask_b32_e64 v40, 0, 1, vcc_lo
	v_add_co_ci_u32_e32 v114, vcc_lo, 0, v114, vcc_lo
	s_delay_alu instid0(VALU_DEP_2)
	v_lshrrev_b32_e32 v181, v40, v181
; %bb.2709:                             ;   in Loop: Header=BB6_2329 Depth=4
	s_and_not1_saveexec_b32 s13, s13
; %bb.2710:                             ;   in Loop: Header=BB6_2329 Depth=4
	s_delay_alu instid0(VALU_DEP_1)
	v_bfe_u32 v114, v181, 23, 1
; %bb.2711:                             ;   in Loop: Header=BB6_2329 Depth=4
	s_or_b32 exec_lo, exec_lo, s13
	v_lshrrev_b32_e32 v181, 20, v181
	s_delay_alu instid0(VALU_DEP_2) | instskip(SKIP_2) | instid1(VALU_DEP_2)
	v_cmp_gt_i32_e32 vcc_lo, 16, v114
	v_min_i32_e32 v40, 15, v114
	v_lshrrev_b32_e32 v115, 24, v115
	v_dual_cndmask_b32 v181, 7, v181 :: v_dual_lshlrev_b32 v40, 3, v40
	s_delay_alu instid0(VALU_DEP_2) | instskip(NEXT) | instid1(VALU_DEP_2)
	v_and_b32_e32 v115, 0x80, v115
	v_or_b32_e32 v114, v114, v181
	s_delay_alu instid0(VALU_DEP_1) | instskip(SKIP_1) | instid1(VALU_DEP_1)
	v_cmp_ne_u32_e32 vcc_lo, 0, v114
	v_and_b32_e32 v43, 7, v181
	v_or3_b32 v115, v40, v115, v43
	s_delay_alu instid0(VALU_DEP_1)
	v_cndmask_b32_e32 v114, 0, v115, vcc_lo
.LBB6_2712:                             ;   in Loop: Header=BB6_2329 Depth=4
	s_or_b32 exec_lo, exec_lo, s35
.LBB6_2713:                             ;   in Loop: Header=BB6_2329 Depth=4
	s_delay_alu instid0(SALU_CYCLE_1) | instskip(SKIP_3) | instid1(VALU_DEP_1)
	s_or_b32 exec_lo, exec_lo, s34
	v_and_b32_e32 v181, 0xff, v112
	s_mov_b32 s13, 0
	s_mov_b32 s35, exec_lo
                                        ; implicit-def: $sgpr34
	v_cmpx_lt_i16_e64 0x7f, v181
	s_xor_b32 s35, exec_lo, s35
	s_cbranch_execnz .LBB6_3031
; %bb.2714:                             ;   in Loop: Header=BB6_2329 Depth=4
	s_or_saveexec_b32 s35, s35
	v_mov_b32_e32 v115, s34
	s_xor_b32 exec_lo, exec_lo, s35
	s_cbranch_execnz .LBB6_3034
.LBB6_2715:                             ;   in Loop: Header=BB6_2329 Depth=4
	s_or_b32 exec_lo, exec_lo, s35
	s_and_saveexec_b32 s34, s13
	s_cbranch_execz .LBB6_2717
.LBB6_2716:                             ;   in Loop: Header=BB6_2329 Depth=4
	v_and_b32_e32 v115, 7, v112
	v_lshrrev_b16 v43, 3, v112
	s_delay_alu instid0(VALU_DEP_2) | instskip(NEXT) | instid1(VALU_DEP_2)
	v_clz_i32_u32_e32 v181, v115
	v_and_b32_e32 v43, 15, v43
	s_delay_alu instid0(VALU_DEP_2) | instskip(NEXT) | instid1(VALU_DEP_2)
	v_min_u32_e32 v181, 32, v181
	v_cmp_eq_u32_e32 vcc_lo, 0, v43
	s_delay_alu instid0(VALU_DEP_2) | instskip(SKIP_1) | instid1(VALU_DEP_1)
	v_subrev_nc_u32_e32 v40, 28, v181
	v_sub_nc_u32_e32 v181, 29, v181
	v_dual_cndmask_b32 v181, v43, v181 :: v_dual_lshlrev_b32 v40, v40, v112
	v_lshlrev_b32_e32 v112, 24, v112
	s_delay_alu instid0(VALU_DEP_2) | instskip(NEXT) | instid1(VALU_DEP_3)
	v_and_b32_e32 v40, 7, v40
	v_lshl_add_u32 v181, v181, 23, 0x3b800000
	s_delay_alu instid0(VALU_DEP_3) | instskip(NEXT) | instid1(VALU_DEP_3)
	v_and_b32_e32 v112, 0x80000000, v112
	v_cndmask_b32_e32 v115, v115, v40, vcc_lo
	s_delay_alu instid0(VALU_DEP_1) | instskip(NEXT) | instid1(VALU_DEP_1)
	v_lshlrev_b32_e32 v115, 20, v115
	v_or3_b32 v115, v112, v181, v115
.LBB6_2717:                             ;   in Loop: Header=BB6_2329 Depth=4
	s_or_b32 exec_lo, exec_lo, s34
	s_waitcnt vmcnt(7) lgkmcnt(7)
	v_and_b32_e32 v181, 0xff, v51
	s_mov_b32 s13, 0
	s_mov_b32 s35, exec_lo
                                        ; implicit-def: $sgpr34
	s_delay_alu instid0(VALU_DEP_1)
	v_cmpx_lt_i16_e64 0x7f, v181
	s_xor_b32 s35, exec_lo, s35
	s_cbranch_execnz .LBB6_3035
; %bb.2718:                             ;   in Loop: Header=BB6_2329 Depth=4
	s_or_saveexec_b32 s35, s35
	v_mov_b32_e32 v112, s34
	s_xor_b32 exec_lo, exec_lo, s35
	s_cbranch_execnz .LBB6_3038
.LBB6_2719:                             ;   in Loop: Header=BB6_2329 Depth=4
	s_or_b32 exec_lo, exec_lo, s35
	s_and_saveexec_b32 s34, s13
	s_cbranch_execz .LBB6_2721
.LBB6_2720:                             ;   in Loop: Header=BB6_2329 Depth=4
	v_lshrrev_b16 v43, 3, v51
	s_delay_alu instid0(VALU_DEP_1) | instskip(NEXT) | instid1(VALU_DEP_1)
	v_and_b32_e32 v43, 15, v43
	v_cmp_eq_u32_e32 vcc_lo, 0, v43
	v_and_b32_e32 v112, 7, v51
	s_delay_alu instid0(VALU_DEP_1) | instskip(NEXT) | instid1(VALU_DEP_1)
	v_clz_i32_u32_e32 v181, v112
	v_min_u32_e32 v181, 32, v181
	s_delay_alu instid0(VALU_DEP_1) | instskip(SKIP_1) | instid1(VALU_DEP_1)
	v_subrev_nc_u32_e32 v40, 28, v181
	v_sub_nc_u32_e32 v181, 29, v181
	v_dual_cndmask_b32 v181, v43, v181 :: v_dual_lshlrev_b32 v40, v40, v51
	v_lshlrev_b32_e32 v51, 24, v51
	s_delay_alu instid0(VALU_DEP_2) | instskip(NEXT) | instid1(VALU_DEP_3)
	v_and_b32_e32 v40, 7, v40
	v_lshl_add_u32 v181, v181, 23, 0x3b800000
	s_delay_alu instid0(VALU_DEP_2) | instskip(NEXT) | instid1(VALU_DEP_1)
	v_dual_cndmask_b32 v112, v112, v40 :: v_dual_and_b32 v51, 0x80000000, v51
	v_lshlrev_b32_e32 v112, 20, v112
	s_delay_alu instid0(VALU_DEP_1)
	v_or3_b32 v112, v51, v181, v112
.LBB6_2721:                             ;   in Loop: Header=BB6_2329 Depth=4
	s_or_b32 exec_lo, exec_lo, s34
	s_delay_alu instid0(VALU_DEP_1) | instskip(NEXT) | instid1(VALU_DEP_1)
	v_add_f32_e32 v112, v115, v112
	v_and_b32_e32 v51, 0x7f800000, v112
	s_delay_alu instid0(VALU_DEP_1)
	v_cmp_ne_u32_e32 vcc_lo, 0x7f800000, v51
	v_mov_b32_e32 v51, 0x80
	s_and_saveexec_b32 s34, vcc_lo
	s_cbranch_execz .LBB6_2729
; %bb.2722:                             ;   in Loop: Header=BB6_2329 Depth=4
	v_mov_b32_e32 v51, 0
	s_mov_b32 s35, exec_lo
	v_cmpx_ne_u32_e32 0, v112
	s_cbranch_execz .LBB6_2728
; %bb.2723:                             ;   in Loop: Header=BB6_2329 Depth=4
	v_bfe_u32 v51, v112, 23, 8
	v_and_b32_e32 v115, 0x7fffff, v112
	s_delay_alu instid0(VALU_DEP_2) | instskip(SKIP_1) | instid1(VALU_DEP_3)
	v_sub_nc_u32_e32 v181, 0x78, v51
	v_cmp_gt_u32_e32 vcc_lo, 0x79, v51
	v_or_b32_e32 v40, 0x800000, v115
	s_delay_alu instid0(VALU_DEP_3) | instskip(SKIP_2) | instid1(VALU_DEP_3)
	v_cndmask_b32_e32 v181, 0, v181, vcc_lo
	v_cmp_eq_u32_e32 vcc_lo, 0, v51
	v_add_nc_u32_e32 v51, 0xffffff89, v51
	v_cndmask_b32_e64 v181, v181, 0x77, vcc_lo
	v_cndmask_b32_e32 v115, v40, v115, vcc_lo
	s_delay_alu instid0(VALU_DEP_3) | instskip(NEXT) | instid1(VALU_DEP_3)
	v_cndmask_b32_e64 v51, v51, 0xffffff8a, vcc_lo
	v_lshl_add_u32 v40, 0x100000, v181, -1
	s_delay_alu instid0(VALU_DEP_3) | instskip(SKIP_1) | instid1(VALU_DEP_4)
	v_lshrrev_b32_e32 v43, v181, v115
	v_lshlrev_b32_e64 v57, v181, 0x80000
	v_add_nc_u32_e32 v181, v181, v51
	s_delay_alu instid0(VALU_DEP_4) | instskip(NEXT) | instid1(VALU_DEP_4)
	v_and_b32_e32 v115, v40, v115
	v_bfe_u32 v46, v43, 20, 1
	s_delay_alu instid0(VALU_DEP_2) | instskip(NEXT) | instid1(VALU_DEP_2)
	v_cmp_eq_u32_e64 s13, v115, v57
	v_add_nc_u32_e32 v40, -1, v46
	s_delay_alu instid0(VALU_DEP_1) | instskip(SKIP_2) | instid1(VALU_DEP_2)
	v_cndmask_b32_e64 v115, 0, v40, s13
	v_lshrrev_b32_e32 v40, 23, v43
	s_mov_b32 s13, exec_lo
	v_add_nc_u32_e32 v115, v115, v43
	s_delay_alu instid0(VALU_DEP_2) | instskip(NEXT) | instid1(VALU_DEP_2)
	v_xor_b32_e32 v40, 1, v40
	v_and_b32_e32 v51, 0xfffff, v115
	s_delay_alu instid0(VALU_DEP_1) | instskip(NEXT) | instid1(VALU_DEP_3)
	v_add_nc_u32_e32 v115, v51, v43
                                        ; implicit-def: $vgpr51
	v_cmpx_ne_u32_e64 v181, v40
	s_xor_b32 s13, exec_lo, s13
; %bb.2724:                             ;   in Loop: Header=BB6_2329 Depth=4
	s_delay_alu instid0(VALU_DEP_2) | instskip(SKIP_2) | instid1(VALU_DEP_2)
	v_cmp_lt_u32_e32 vcc_lo, 0xffffff, v115
	v_sub_nc_u32_e32 v51, v181, v40
	v_cndmask_b32_e64 v181, 0, 1, vcc_lo
	v_add_co_ci_u32_e32 v51, vcc_lo, 0, v51, vcc_lo
	s_delay_alu instid0(VALU_DEP_2)
	v_lshrrev_b32_e32 v115, v181, v115
; %bb.2725:                             ;   in Loop: Header=BB6_2329 Depth=4
	s_and_not1_saveexec_b32 s13, s13
; %bb.2726:                             ;   in Loop: Header=BB6_2329 Depth=4
	s_delay_alu instid0(VALU_DEP_1)
	v_bfe_u32 v51, v115, 23, 1
; %bb.2727:                             ;   in Loop: Header=BB6_2329 Depth=4
	s_or_b32 exec_lo, exec_lo, s13
	v_lshrrev_b32_e32 v115, 20, v115
	s_delay_alu instid0(VALU_DEP_2) | instskip(SKIP_2) | instid1(VALU_DEP_2)
	v_cmp_gt_i32_e32 vcc_lo, 16, v51
	v_lshrrev_b32_e32 v112, 24, v112
	v_min_i32_e32 v181, 15, v51
	v_dual_cndmask_b32 v115, 7, v115 :: v_dual_and_b32 v112, 0x80, v112
	s_delay_alu instid0(VALU_DEP_2) | instskip(NEXT) | instid1(VALU_DEP_2)
	v_lshlrev_b32_e32 v181, 3, v181
	v_or_b32_e32 v51, v51, v115
	s_delay_alu instid0(VALU_DEP_1) | instskip(SKIP_1) | instid1(VALU_DEP_1)
	v_cmp_ne_u32_e32 vcc_lo, 0, v51
	v_and_b32_e32 v40, 7, v115
	v_or3_b32 v112, v181, v112, v40
	s_delay_alu instid0(VALU_DEP_1)
	v_cndmask_b32_e32 v51, 0, v112, vcc_lo
.LBB6_2728:                             ;   in Loop: Header=BB6_2329 Depth=4
	s_or_b32 exec_lo, exec_lo, s35
.LBB6_2729:                             ;   in Loop: Header=BB6_2329 Depth=4
	s_delay_alu instid0(SALU_CYCLE_1) | instskip(SKIP_3) | instid1(VALU_DEP_1)
	s_or_b32 exec_lo, exec_lo, s34
	v_and_b32_e32 v115, 0xff, v49
	s_mov_b32 s13, 0
	s_mov_b32 s35, exec_lo
                                        ; implicit-def: $sgpr34
	v_cmpx_lt_i16_e32 0x7f, v115
	s_xor_b32 s35, exec_lo, s35
	s_cbranch_execnz .LBB6_3039
; %bb.2730:                             ;   in Loop: Header=BB6_2329 Depth=4
	s_or_saveexec_b32 s35, s35
	v_mov_b32_e32 v112, s34
	s_xor_b32 exec_lo, exec_lo, s35
	s_cbranch_execnz .LBB6_3042
.LBB6_2731:                             ;   in Loop: Header=BB6_2329 Depth=4
	s_or_b32 exec_lo, exec_lo, s35
	s_and_saveexec_b32 s34, s13
	s_cbranch_execz .LBB6_2733
.LBB6_2732:                             ;   in Loop: Header=BB6_2329 Depth=4
	v_lshrrev_b16 v40, 3, v49
	s_delay_alu instid0(VALU_DEP_1) | instskip(NEXT) | instid1(VALU_DEP_1)
	v_and_b32_e32 v40, 15, v40
	v_cmp_eq_u32_e32 vcc_lo, 0, v40
	v_and_b32_e32 v112, 7, v49
	s_delay_alu instid0(VALU_DEP_1) | instskip(NEXT) | instid1(VALU_DEP_1)
	v_clz_i32_u32_e32 v115, v112
	v_min_u32_e32 v115, 32, v115
	s_delay_alu instid0(VALU_DEP_1) | instskip(SKIP_1) | instid1(VALU_DEP_2)
	v_subrev_nc_u32_e32 v181, 28, v115
	v_sub_nc_u32_e32 v115, 29, v115
	v_lshlrev_b32_e32 v181, v181, v49
	s_delay_alu instid0(VALU_DEP_2) | instskip(SKIP_1) | instid1(VALU_DEP_3)
	v_cndmask_b32_e32 v115, v40, v115, vcc_lo
	v_lshlrev_b32_e32 v49, 24, v49
	v_and_b32_e32 v181, 7, v181
	s_delay_alu instid0(VALU_DEP_3) | instskip(NEXT) | instid1(VALU_DEP_3)
	v_lshl_add_u32 v115, v115, 23, 0x3b800000
	v_and_b32_e32 v49, 0x80000000, v49
	s_delay_alu instid0(VALU_DEP_3) | instskip(NEXT) | instid1(VALU_DEP_1)
	v_cndmask_b32_e32 v112, v112, v181, vcc_lo
	v_lshlrev_b32_e32 v112, 20, v112
	s_delay_alu instid0(VALU_DEP_1)
	v_or3_b32 v112, v49, v115, v112
.LBB6_2733:                             ;   in Loop: Header=BB6_2329 Depth=4
	s_or_b32 exec_lo, exec_lo, s34
	s_waitcnt vmcnt(6) lgkmcnt(6)
	v_and_b32_e32 v115, 0xff, v48
	s_mov_b32 s13, 0
	s_mov_b32 s35, exec_lo
                                        ; implicit-def: $sgpr34
	s_delay_alu instid0(VALU_DEP_1)
	v_cmpx_lt_i16_e32 0x7f, v115
	s_xor_b32 s35, exec_lo, s35
	s_cbranch_execnz .LBB6_3043
; %bb.2734:                             ;   in Loop: Header=BB6_2329 Depth=4
	s_or_saveexec_b32 s35, s35
	v_mov_b32_e32 v49, s34
	s_xor_b32 exec_lo, exec_lo, s35
	s_cbranch_execnz .LBB6_3046
.LBB6_2735:                             ;   in Loop: Header=BB6_2329 Depth=4
	s_or_b32 exec_lo, exec_lo, s35
	s_and_saveexec_b32 s34, s13
	s_cbranch_execz .LBB6_2737
.LBB6_2736:                             ;   in Loop: Header=BB6_2329 Depth=4
	v_and_b32_e32 v49, 7, v48
	v_lshrrev_b16 v40, 3, v48
	s_delay_alu instid0(VALU_DEP_2) | instskip(NEXT) | instid1(VALU_DEP_1)
	v_clz_i32_u32_e32 v115, v49
	v_min_u32_e32 v115, 32, v115
	s_delay_alu instid0(VALU_DEP_1) | instskip(SKIP_1) | instid1(VALU_DEP_2)
	v_subrev_nc_u32_e32 v181, 28, v115
	v_sub_nc_u32_e32 v115, 29, v115
	v_lshlrev_b32_e32 v181, v181, v48
	s_delay_alu instid0(VALU_DEP_1) | instskip(SKIP_1) | instid1(VALU_DEP_1)
	v_and_b32_e32 v181, 7, v181
	v_and_b32_e32 v40, 15, v40
	v_cmp_eq_u32_e32 vcc_lo, 0, v40
	s_delay_alu instid0(VALU_DEP_3) | instskip(SKIP_1) | instid1(VALU_DEP_2)
	v_dual_cndmask_b32 v49, v49, v181 :: v_dual_lshlrev_b32 v48, 24, v48
	v_cndmask_b32_e32 v115, v40, v115, vcc_lo
	v_lshlrev_b32_e32 v49, 20, v49
	s_delay_alu instid0(VALU_DEP_3) | instskip(NEXT) | instid1(VALU_DEP_3)
	v_and_b32_e32 v48, 0x80000000, v48
	v_lshl_add_u32 v115, v115, 23, 0x3b800000
	s_delay_alu instid0(VALU_DEP_1)
	v_or3_b32 v49, v48, v115, v49
.LBB6_2737:                             ;   in Loop: Header=BB6_2329 Depth=4
	s_or_b32 exec_lo, exec_lo, s34
	s_delay_alu instid0(VALU_DEP_1) | instskip(NEXT) | instid1(VALU_DEP_1)
	v_add_f32_e32 v49, v112, v49
	v_and_b32_e32 v48, 0x7f800000, v49
	s_delay_alu instid0(VALU_DEP_1)
	v_cmp_ne_u32_e32 vcc_lo, 0x7f800000, v48
	v_mov_b32_e32 v48, 0x80
	s_and_saveexec_b32 s34, vcc_lo
	s_cbranch_execz .LBB6_2745
; %bb.2738:                             ;   in Loop: Header=BB6_2329 Depth=4
	v_mov_b32_e32 v48, 0
	s_mov_b32 s35, exec_lo
	v_cmpx_ne_u32_e32 0, v49
	s_cbranch_execz .LBB6_2744
; %bb.2739:                             ;   in Loop: Header=BB6_2329 Depth=4
	v_bfe_u32 v48, v49, 23, 8
	s_delay_alu instid0(VALU_DEP_1) | instskip(SKIP_1) | instid1(VALU_DEP_2)
	v_sub_nc_u32_e32 v115, 0x78, v48
	v_cmp_gt_u32_e32 vcc_lo, 0x79, v48
	v_dual_cndmask_b32 v115, 0, v115 :: v_dual_and_b32 v112, 0x7fffff, v49
	s_delay_alu instid0(VALU_DEP_1) | instskip(SKIP_2) | instid1(VALU_DEP_4)
	v_or_b32_e32 v181, 0x800000, v112
	v_cmp_eq_u32_e32 vcc_lo, 0, v48
	v_add_nc_u32_e32 v48, 0xffffff89, v48
	v_cndmask_b32_e64 v115, v115, 0x77, vcc_lo
	s_delay_alu instid0(VALU_DEP_4) | instskip(NEXT) | instid1(VALU_DEP_3)
	v_cndmask_b32_e32 v112, v181, v112, vcc_lo
	v_cndmask_b32_e64 v48, v48, 0xffffff8a, vcc_lo
	s_delay_alu instid0(VALU_DEP_3) | instskip(NEXT) | instid1(VALU_DEP_3)
	v_lshl_add_u32 v181, 0x100000, v115, -1
	v_lshrrev_b32_e32 v40, v115, v112
	v_lshlrev_b32_e64 v46, v115, 0x80000
	s_delay_alu instid0(VALU_DEP_4) | instskip(NEXT) | instid1(VALU_DEP_4)
	v_add_nc_u32_e32 v115, v115, v48
	v_and_b32_e32 v112, v181, v112
	s_delay_alu instid0(VALU_DEP_4) | instskip(NEXT) | instid1(VALU_DEP_2)
	v_bfe_u32 v43, v40, 20, 1
	v_cmp_eq_u32_e64 s13, v112, v46
	s_delay_alu instid0(VALU_DEP_2) | instskip(NEXT) | instid1(VALU_DEP_1)
	v_add_nc_u32_e32 v181, -1, v43
	v_cndmask_b32_e64 v112, 0, v181, s13
	v_lshrrev_b32_e32 v181, 23, v40
	s_mov_b32 s13, exec_lo
	s_delay_alu instid0(VALU_DEP_2) | instskip(NEXT) | instid1(VALU_DEP_2)
	v_add_nc_u32_e32 v112, v112, v40
	v_xor_b32_e32 v181, 1, v181
	s_delay_alu instid0(VALU_DEP_2) | instskip(NEXT) | instid1(VALU_DEP_1)
	v_and_b32_e32 v48, 0xfffff, v112
	v_add_nc_u32_e32 v112, v48, v40
                                        ; implicit-def: $vgpr48
	s_delay_alu instid0(VALU_DEP_3)
	v_cmpx_ne_u32_e64 v115, v181
	s_xor_b32 s13, exec_lo, s13
; %bb.2740:                             ;   in Loop: Header=BB6_2329 Depth=4
	s_delay_alu instid0(VALU_DEP_2) | instskip(SKIP_2) | instid1(VALU_DEP_2)
	v_cmp_lt_u32_e32 vcc_lo, 0xffffff, v112
	v_sub_nc_u32_e32 v48, v115, v181
	v_cndmask_b32_e64 v115, 0, 1, vcc_lo
	v_add_co_ci_u32_e32 v48, vcc_lo, 0, v48, vcc_lo
	s_delay_alu instid0(VALU_DEP_2)
	v_lshrrev_b32_e32 v112, v115, v112
; %bb.2741:                             ;   in Loop: Header=BB6_2329 Depth=4
	s_and_not1_saveexec_b32 s13, s13
; %bb.2742:                             ;   in Loop: Header=BB6_2329 Depth=4
	s_delay_alu instid0(VALU_DEP_1)
	v_bfe_u32 v48, v112, 23, 1
; %bb.2743:                             ;   in Loop: Header=BB6_2329 Depth=4
	s_or_b32 exec_lo, exec_lo, s13
	v_lshrrev_b32_e32 v112, 20, v112
	s_delay_alu instid0(VALU_DEP_2) | instskip(SKIP_2) | instid1(VALU_DEP_2)
	v_cmp_gt_i32_e32 vcc_lo, 16, v48
	v_lshrrev_b32_e32 v49, 24, v49
	v_min_i32_e32 v115, 15, v48
	v_dual_cndmask_b32 v112, 7, v112 :: v_dual_and_b32 v49, 0x80, v49
	s_delay_alu instid0(VALU_DEP_2) | instskip(NEXT) | instid1(VALU_DEP_2)
	v_lshlrev_b32_e32 v115, 3, v115
	v_or_b32_e32 v48, v48, v112
	s_delay_alu instid0(VALU_DEP_1) | instskip(SKIP_1) | instid1(VALU_DEP_1)
	v_cmp_ne_u32_e32 vcc_lo, 0, v48
	v_and_b32_e32 v181, 7, v112
	v_or3_b32 v49, v115, v49, v181
	s_delay_alu instid0(VALU_DEP_1)
	v_cndmask_b32_e32 v48, 0, v49, vcc_lo
.LBB6_2744:                             ;   in Loop: Header=BB6_2329 Depth=4
	s_or_b32 exec_lo, exec_lo, s35
.LBB6_2745:                             ;   in Loop: Header=BB6_2329 Depth=4
	s_delay_alu instid0(SALU_CYCLE_1) | instskip(SKIP_3) | instid1(VALU_DEP_1)
	s_or_b32 exec_lo, exec_lo, s34
	v_and_b32_e32 v112, 0xff, v38
	s_mov_b32 s13, 0
	s_mov_b32 s35, exec_lo
                                        ; implicit-def: $sgpr34
	v_cmpx_lt_i16_e32 0x7f, v112
	s_xor_b32 s35, exec_lo, s35
	s_cbranch_execnz .LBB6_3047
; %bb.2746:                             ;   in Loop: Header=BB6_2329 Depth=4
	s_or_saveexec_b32 s35, s35
	v_mov_b32_e32 v49, s34
	s_xor_b32 exec_lo, exec_lo, s35
	s_cbranch_execnz .LBB6_3050
.LBB6_2747:                             ;   in Loop: Header=BB6_2329 Depth=4
	s_or_b32 exec_lo, exec_lo, s35
	s_and_saveexec_b32 s34, s13
	s_cbranch_execz .LBB6_2749
.LBB6_2748:                             ;   in Loop: Header=BB6_2329 Depth=4
	v_lshrrev_b16 v181, 3, v38
	s_delay_alu instid0(VALU_DEP_1) | instskip(NEXT) | instid1(VALU_DEP_1)
	v_and_b32_e32 v181, 15, v181
	v_cmp_eq_u32_e32 vcc_lo, 0, v181
	v_and_b32_e32 v49, 7, v38
	s_delay_alu instid0(VALU_DEP_1) | instskip(NEXT) | instid1(VALU_DEP_1)
	v_clz_i32_u32_e32 v112, v49
	v_min_u32_e32 v112, 32, v112
	s_delay_alu instid0(VALU_DEP_1) | instskip(SKIP_1) | instid1(VALU_DEP_1)
	v_subrev_nc_u32_e32 v115, 28, v112
	v_sub_nc_u32_e32 v112, 29, v112
	v_dual_cndmask_b32 v112, v181, v112 :: v_dual_lshlrev_b32 v115, v115, v38
	s_delay_alu instid0(VALU_DEP_1) | instskip(SKIP_1) | instid1(VALU_DEP_3)
	v_and_b32_e32 v115, 7, v115
	v_lshlrev_b32_e32 v38, 24, v38
	v_lshl_add_u32 v112, v112, 23, 0x3b800000
	s_delay_alu instid0(VALU_DEP_2) | instskip(NEXT) | instid1(VALU_DEP_1)
	v_dual_cndmask_b32 v49, v49, v115 :: v_dual_and_b32 v38, 0x80000000, v38
	v_lshlrev_b32_e32 v49, 20, v49
	s_delay_alu instid0(VALU_DEP_1)
	v_or3_b32 v49, v38, v112, v49
.LBB6_2749:                             ;   in Loop: Header=BB6_2329 Depth=4
	s_or_b32 exec_lo, exec_lo, s34
	s_waitcnt vmcnt(5) lgkmcnt(5)
	v_and_b32_e32 v112, 0xff, v37
	s_mov_b32 s13, 0
	s_mov_b32 s35, exec_lo
                                        ; implicit-def: $sgpr34
	s_delay_alu instid0(VALU_DEP_1)
	v_cmpx_lt_i16_e32 0x7f, v112
	s_xor_b32 s35, exec_lo, s35
	s_cbranch_execnz .LBB6_3051
; %bb.2750:                             ;   in Loop: Header=BB6_2329 Depth=4
	s_or_saveexec_b32 s35, s35
	v_mov_b32_e32 v38, s34
	s_xor_b32 exec_lo, exec_lo, s35
	s_cbranch_execnz .LBB6_3054
.LBB6_2751:                             ;   in Loop: Header=BB6_2329 Depth=4
	s_or_b32 exec_lo, exec_lo, s35
	s_and_saveexec_b32 s34, s13
	s_cbranch_execz .LBB6_2753
.LBB6_2752:                             ;   in Loop: Header=BB6_2329 Depth=4
	v_and_b32_e32 v38, 7, v37
	v_lshrrev_b16 v181, 3, v37
	s_delay_alu instid0(VALU_DEP_2) | instskip(NEXT) | instid1(VALU_DEP_2)
	v_clz_i32_u32_e32 v112, v38
	v_and_b32_e32 v181, 15, v181
	s_delay_alu instid0(VALU_DEP_2) | instskip(NEXT) | instid1(VALU_DEP_2)
	v_min_u32_e32 v112, 32, v112
	v_cmp_eq_u32_e32 vcc_lo, 0, v181
	s_delay_alu instid0(VALU_DEP_2) | instskip(SKIP_1) | instid1(VALU_DEP_1)
	v_subrev_nc_u32_e32 v115, 28, v112
	v_sub_nc_u32_e32 v112, 29, v112
	v_dual_cndmask_b32 v112, v181, v112 :: v_dual_lshlrev_b32 v115, v115, v37
	v_lshlrev_b32_e32 v37, 24, v37
	s_delay_alu instid0(VALU_DEP_2) | instskip(NEXT) | instid1(VALU_DEP_3)
	v_and_b32_e32 v115, 7, v115
	v_lshl_add_u32 v112, v112, 23, 0x3b800000
	s_delay_alu instid0(VALU_DEP_2) | instskip(NEXT) | instid1(VALU_DEP_1)
	v_dual_cndmask_b32 v38, v38, v115 :: v_dual_and_b32 v37, 0x80000000, v37
	v_lshlrev_b32_e32 v38, 20, v38
	s_delay_alu instid0(VALU_DEP_1)
	v_or3_b32 v38, v37, v112, v38
.LBB6_2753:                             ;   in Loop: Header=BB6_2329 Depth=4
	s_or_b32 exec_lo, exec_lo, s34
	s_delay_alu instid0(VALU_DEP_1) | instskip(NEXT) | instid1(VALU_DEP_1)
	v_add_f32_e32 v38, v49, v38
	v_and_b32_e32 v37, 0x7f800000, v38
	s_delay_alu instid0(VALU_DEP_1)
	v_cmp_ne_u32_e32 vcc_lo, 0x7f800000, v37
	v_mov_b32_e32 v37, 0x80
	s_and_saveexec_b32 s34, vcc_lo
	s_cbranch_execz .LBB6_2761
; %bb.2754:                             ;   in Loop: Header=BB6_2329 Depth=4
	v_mov_b32_e32 v37, 0
	s_mov_b32 s35, exec_lo
	v_cmpx_ne_u32_e32 0, v38
	s_cbranch_execz .LBB6_2760
; %bb.2755:                             ;   in Loop: Header=BB6_2329 Depth=4
	v_bfe_u32 v37, v38, 23, 8
	s_delay_alu instid0(VALU_DEP_1) | instskip(SKIP_1) | instid1(VALU_DEP_2)
	v_sub_nc_u32_e32 v112, 0x78, v37
	v_cmp_gt_u32_e32 vcc_lo, 0x79, v37
	v_dual_cndmask_b32 v112, 0, v112 :: v_dual_and_b32 v49, 0x7fffff, v38
	s_delay_alu instid0(VALU_DEP_1) | instskip(SKIP_2) | instid1(VALU_DEP_4)
	v_or_b32_e32 v115, 0x800000, v49
	v_cmp_eq_u32_e32 vcc_lo, 0, v37
	v_add_nc_u32_e32 v37, 0xffffff89, v37
	v_cndmask_b32_e64 v112, v112, 0x77, vcc_lo
	s_delay_alu instid0(VALU_DEP_4) | instskip(NEXT) | instid1(VALU_DEP_3)
	v_cndmask_b32_e32 v49, v115, v49, vcc_lo
	v_cndmask_b32_e64 v37, v37, 0xffffff8a, vcc_lo
	s_delay_alu instid0(VALU_DEP_3) | instskip(NEXT) | instid1(VALU_DEP_3)
	v_lshl_add_u32 v115, 0x100000, v112, -1
	v_lshrrev_b32_e32 v181, v112, v49
	v_lshlrev_b32_e64 v43, v112, 0x80000
	s_delay_alu instid0(VALU_DEP_4) | instskip(NEXT) | instid1(VALU_DEP_4)
	v_add_nc_u32_e32 v112, v112, v37
	v_and_b32_e32 v49, v115, v49
	s_delay_alu instid0(VALU_DEP_4) | instskip(NEXT) | instid1(VALU_DEP_2)
	v_bfe_u32 v40, v181, 20, 1
	v_cmp_eq_u32_e64 s13, v49, v43
	s_delay_alu instid0(VALU_DEP_2) | instskip(NEXT) | instid1(VALU_DEP_1)
	v_add_nc_u32_e32 v115, -1, v40
	v_cndmask_b32_e64 v49, 0, v115, s13
	v_lshrrev_b32_e32 v115, 23, v181
	s_mov_b32 s13, exec_lo
	s_delay_alu instid0(VALU_DEP_2) | instskip(NEXT) | instid1(VALU_DEP_2)
	v_add_nc_u32_e32 v49, v49, v181
	v_xor_b32_e32 v115, 1, v115
	s_delay_alu instid0(VALU_DEP_2) | instskip(NEXT) | instid1(VALU_DEP_1)
	v_and_b32_e32 v37, 0xfffff, v49
	v_add_nc_u32_e32 v49, v37, v181
                                        ; implicit-def: $vgpr37
	s_delay_alu instid0(VALU_DEP_3)
	v_cmpx_ne_u32_e64 v112, v115
	s_xor_b32 s13, exec_lo, s13
; %bb.2756:                             ;   in Loop: Header=BB6_2329 Depth=4
	s_delay_alu instid0(VALU_DEP_2) | instskip(SKIP_2) | instid1(VALU_DEP_2)
	v_cmp_lt_u32_e32 vcc_lo, 0xffffff, v49
	v_sub_nc_u32_e32 v37, v112, v115
	v_cndmask_b32_e64 v112, 0, 1, vcc_lo
	v_add_co_ci_u32_e32 v37, vcc_lo, 0, v37, vcc_lo
	s_delay_alu instid0(VALU_DEP_2)
	v_lshrrev_b32_e32 v49, v112, v49
; %bb.2757:                             ;   in Loop: Header=BB6_2329 Depth=4
	s_and_not1_saveexec_b32 s13, s13
; %bb.2758:                             ;   in Loop: Header=BB6_2329 Depth=4
	s_delay_alu instid0(VALU_DEP_1)
	v_bfe_u32 v37, v49, 23, 1
; %bb.2759:                             ;   in Loop: Header=BB6_2329 Depth=4
	s_or_b32 exec_lo, exec_lo, s13
	v_lshrrev_b32_e32 v49, 20, v49
	s_delay_alu instid0(VALU_DEP_2) | instskip(SKIP_2) | instid1(VALU_DEP_2)
	v_cmp_gt_i32_e32 vcc_lo, 16, v37
	v_lshrrev_b32_e32 v38, 24, v38
	v_min_i32_e32 v112, 15, v37
	v_dual_cndmask_b32 v49, 7, v49 :: v_dual_and_b32 v38, 0x80, v38
	s_delay_alu instid0(VALU_DEP_1) | instskip(SKIP_1) | instid1(VALU_DEP_2)
	v_or_b32_e32 v37, v37, v49
	v_and_b32_e32 v115, 7, v49
	v_cmp_ne_u32_e32 vcc_lo, 0, v37
	v_lshlrev_b32_e32 v112, 3, v112
	s_delay_alu instid0(VALU_DEP_1) | instskip(NEXT) | instid1(VALU_DEP_1)
	v_or3_b32 v38, v112, v38, v115
	v_cndmask_b32_e32 v37, 0, v38, vcc_lo
.LBB6_2760:                             ;   in Loop: Header=BB6_2329 Depth=4
	s_or_b32 exec_lo, exec_lo, s35
.LBB6_2761:                             ;   in Loop: Header=BB6_2329 Depth=4
	s_delay_alu instid0(SALU_CYCLE_1) | instskip(SKIP_3) | instid1(VALU_DEP_1)
	s_or_b32 exec_lo, exec_lo, s34
	v_and_b32_e32 v49, 0xff, v35
	s_mov_b32 s13, 0
	s_mov_b32 s35, exec_lo
                                        ; implicit-def: $sgpr34
	v_cmpx_lt_i16_e32 0x7f, v49
	s_xor_b32 s35, exec_lo, s35
	s_cbranch_execnz .LBB6_3055
; %bb.2762:                             ;   in Loop: Header=BB6_2329 Depth=4
	s_or_saveexec_b32 s35, s35
	v_mov_b32_e32 v38, s34
	s_xor_b32 exec_lo, exec_lo, s35
	s_cbranch_execnz .LBB6_3058
.LBB6_2763:                             ;   in Loop: Header=BB6_2329 Depth=4
	s_or_b32 exec_lo, exec_lo, s35
	s_and_saveexec_b32 s34, s13
	s_cbranch_execz .LBB6_2765
.LBB6_2764:                             ;   in Loop: Header=BB6_2329 Depth=4
	v_lshrrev_b16 v115, 3, v35
	s_delay_alu instid0(VALU_DEP_1) | instskip(NEXT) | instid1(VALU_DEP_1)
	v_and_b32_e32 v115, 15, v115
	v_cmp_eq_u32_e32 vcc_lo, 0, v115
	v_and_b32_e32 v38, 7, v35
	s_delay_alu instid0(VALU_DEP_1) | instskip(NEXT) | instid1(VALU_DEP_1)
	v_clz_i32_u32_e32 v49, v38
	v_min_u32_e32 v49, 32, v49
	s_delay_alu instid0(VALU_DEP_1) | instskip(SKIP_1) | instid1(VALU_DEP_1)
	v_subrev_nc_u32_e32 v112, 28, v49
	v_sub_nc_u32_e32 v49, 29, v49
	v_dual_cndmask_b32 v49, v115, v49 :: v_dual_lshlrev_b32 v112, v112, v35
	v_lshlrev_b32_e32 v35, 24, v35
	s_delay_alu instid0(VALU_DEP_2) | instskip(NEXT) | instid1(VALU_DEP_3)
	v_and_b32_e32 v112, 7, v112
	v_lshl_add_u32 v49, v49, 23, 0x3b800000
	s_delay_alu instid0(VALU_DEP_2) | instskip(NEXT) | instid1(VALU_DEP_1)
	v_dual_cndmask_b32 v38, v38, v112 :: v_dual_and_b32 v35, 0x80000000, v35
	v_lshlrev_b32_e32 v38, 20, v38
	s_delay_alu instid0(VALU_DEP_1)
	v_or3_b32 v38, v35, v49, v38
.LBB6_2765:                             ;   in Loop: Header=BB6_2329 Depth=4
	s_or_b32 exec_lo, exec_lo, s34
	s_waitcnt vmcnt(4) lgkmcnt(4)
	v_and_b32_e32 v49, 0xff, v34
	s_mov_b32 s13, 0
	s_mov_b32 s35, exec_lo
                                        ; implicit-def: $sgpr34
	s_delay_alu instid0(VALU_DEP_1)
	v_cmpx_lt_i16_e32 0x7f, v49
	s_xor_b32 s35, exec_lo, s35
	s_cbranch_execnz .LBB6_3059
; %bb.2766:                             ;   in Loop: Header=BB6_2329 Depth=4
	s_or_saveexec_b32 s35, s35
	v_mov_b32_e32 v35, s34
	s_xor_b32 exec_lo, exec_lo, s35
	s_cbranch_execnz .LBB6_3062
.LBB6_2767:                             ;   in Loop: Header=BB6_2329 Depth=4
	s_or_b32 exec_lo, exec_lo, s35
	s_and_saveexec_b32 s34, s13
	s_cbranch_execz .LBB6_2769
.LBB6_2768:                             ;   in Loop: Header=BB6_2329 Depth=4
	v_and_b32_e32 v35, 7, v34
	v_lshrrev_b16 v115, 3, v34
	s_delay_alu instid0(VALU_DEP_2) | instskip(NEXT) | instid1(VALU_DEP_2)
	v_clz_i32_u32_e32 v49, v35
	v_and_b32_e32 v115, 15, v115
	s_delay_alu instid0(VALU_DEP_2) | instskip(NEXT) | instid1(VALU_DEP_2)
	v_min_u32_e32 v49, 32, v49
	v_cmp_eq_u32_e32 vcc_lo, 0, v115
	s_delay_alu instid0(VALU_DEP_2) | instskip(SKIP_1) | instid1(VALU_DEP_1)
	v_subrev_nc_u32_e32 v112, 28, v49
	v_sub_nc_u32_e32 v49, 29, v49
	v_dual_cndmask_b32 v49, v115, v49 :: v_dual_lshlrev_b32 v112, v112, v34
	s_delay_alu instid0(VALU_DEP_1) | instskip(SKIP_1) | instid1(VALU_DEP_3)
	v_and_b32_e32 v112, 7, v112
	v_lshlrev_b32_e32 v34, 24, v34
	v_lshl_add_u32 v49, v49, 23, 0x3b800000
	s_delay_alu instid0(VALU_DEP_2) | instskip(NEXT) | instid1(VALU_DEP_1)
	v_dual_cndmask_b32 v35, v35, v112 :: v_dual_and_b32 v34, 0x80000000, v34
	v_lshlrev_b32_e32 v35, 20, v35
	s_delay_alu instid0(VALU_DEP_1)
	v_or3_b32 v35, v34, v49, v35
.LBB6_2769:                             ;   in Loop: Header=BB6_2329 Depth=4
	s_or_b32 exec_lo, exec_lo, s34
	s_delay_alu instid0(VALU_DEP_1) | instskip(NEXT) | instid1(VALU_DEP_1)
	v_add_f32_e32 v35, v38, v35
	v_and_b32_e32 v34, 0x7f800000, v35
	s_delay_alu instid0(VALU_DEP_1)
	v_cmp_ne_u32_e32 vcc_lo, 0x7f800000, v34
	v_mov_b32_e32 v34, 0x80
	s_and_saveexec_b32 s34, vcc_lo
	s_cbranch_execz .LBB6_2777
; %bb.2770:                             ;   in Loop: Header=BB6_2329 Depth=4
	v_mov_b32_e32 v34, 0
	s_mov_b32 s35, exec_lo
	v_cmpx_ne_u32_e32 0, v35
	s_cbranch_execz .LBB6_2776
; %bb.2771:                             ;   in Loop: Header=BB6_2329 Depth=4
	v_bfe_u32 v34, v35, 23, 8
	s_delay_alu instid0(VALU_DEP_1) | instskip(SKIP_1) | instid1(VALU_DEP_2)
	v_sub_nc_u32_e32 v49, 0x78, v34
	v_cmp_gt_u32_e32 vcc_lo, 0x79, v34
	v_dual_cndmask_b32 v49, 0, v49 :: v_dual_and_b32 v38, 0x7fffff, v35
	s_delay_alu instid0(VALU_DEP_1) | instskip(SKIP_2) | instid1(VALU_DEP_4)
	v_or_b32_e32 v112, 0x800000, v38
	v_cmp_eq_u32_e32 vcc_lo, 0, v34
	v_add_nc_u32_e32 v34, 0xffffff89, v34
	v_cndmask_b32_e64 v49, v49, 0x77, vcc_lo
	s_delay_alu instid0(VALU_DEP_4) | instskip(NEXT) | instid1(VALU_DEP_3)
	v_cndmask_b32_e32 v38, v112, v38, vcc_lo
	v_cndmask_b32_e64 v34, v34, 0xffffff8a, vcc_lo
	s_delay_alu instid0(VALU_DEP_3) | instskip(NEXT) | instid1(VALU_DEP_3)
	v_lshl_add_u32 v112, 0x100000, v49, -1
	v_lshrrev_b32_e32 v115, v49, v38
	v_lshlrev_b32_e64 v40, v49, 0x80000
	s_delay_alu instid0(VALU_DEP_4) | instskip(NEXT) | instid1(VALU_DEP_4)
	v_add_nc_u32_e32 v49, v49, v34
	v_and_b32_e32 v38, v112, v38
	s_delay_alu instid0(VALU_DEP_4) | instskip(NEXT) | instid1(VALU_DEP_2)
	v_bfe_u32 v181, v115, 20, 1
	v_cmp_eq_u32_e64 s13, v38, v40
	s_delay_alu instid0(VALU_DEP_2) | instskip(NEXT) | instid1(VALU_DEP_1)
	v_add_nc_u32_e32 v112, -1, v181
	v_cndmask_b32_e64 v38, 0, v112, s13
	v_lshrrev_b32_e32 v112, 23, v115
	s_mov_b32 s13, exec_lo
	s_delay_alu instid0(VALU_DEP_2) | instskip(NEXT) | instid1(VALU_DEP_2)
	v_add_nc_u32_e32 v38, v38, v115
	v_xor_b32_e32 v112, 1, v112
	s_delay_alu instid0(VALU_DEP_2) | instskip(NEXT) | instid1(VALU_DEP_1)
	v_and_b32_e32 v34, 0xfffff, v38
	v_add_nc_u32_e32 v38, v34, v115
                                        ; implicit-def: $vgpr34
	s_delay_alu instid0(VALU_DEP_3)
	v_cmpx_ne_u32_e64 v49, v112
	s_xor_b32 s13, exec_lo, s13
; %bb.2772:                             ;   in Loop: Header=BB6_2329 Depth=4
	s_delay_alu instid0(VALU_DEP_2) | instskip(SKIP_2) | instid1(VALU_DEP_2)
	v_cmp_lt_u32_e32 vcc_lo, 0xffffff, v38
	v_sub_nc_u32_e32 v34, v49, v112
	v_cndmask_b32_e64 v49, 0, 1, vcc_lo
	v_add_co_ci_u32_e32 v34, vcc_lo, 0, v34, vcc_lo
	s_delay_alu instid0(VALU_DEP_2)
	v_lshrrev_b32_e32 v38, v49, v38
; %bb.2773:                             ;   in Loop: Header=BB6_2329 Depth=4
	s_and_not1_saveexec_b32 s13, s13
; %bb.2774:                             ;   in Loop: Header=BB6_2329 Depth=4
	s_delay_alu instid0(VALU_DEP_1)
	v_bfe_u32 v34, v38, 23, 1
; %bb.2775:                             ;   in Loop: Header=BB6_2329 Depth=4
	s_or_b32 exec_lo, exec_lo, s13
	v_lshrrev_b32_e32 v38, 20, v38
	s_delay_alu instid0(VALU_DEP_2) | instskip(SKIP_2) | instid1(VALU_DEP_2)
	v_cmp_gt_i32_e32 vcc_lo, 16, v34
	v_lshrrev_b32_e32 v35, 24, v35
	v_min_i32_e32 v49, 15, v34
	v_dual_cndmask_b32 v38, 7, v38 :: v_dual_and_b32 v35, 0x80, v35
	s_delay_alu instid0(VALU_DEP_1) | instskip(SKIP_1) | instid1(VALU_DEP_2)
	v_or_b32_e32 v34, v34, v38
	v_and_b32_e32 v112, 7, v38
	v_cmp_ne_u32_e32 vcc_lo, 0, v34
	v_lshlrev_b32_e32 v49, 3, v49
	s_delay_alu instid0(VALU_DEP_1) | instskip(NEXT) | instid1(VALU_DEP_1)
	v_or3_b32 v35, v49, v35, v112
	v_cndmask_b32_e32 v34, 0, v35, vcc_lo
.LBB6_2776:                             ;   in Loop: Header=BB6_2329 Depth=4
	s_or_b32 exec_lo, exec_lo, s35
.LBB6_2777:                             ;   in Loop: Header=BB6_2329 Depth=4
	s_delay_alu instid0(SALU_CYCLE_1) | instskip(SKIP_3) | instid1(VALU_DEP_1)
	s_or_b32 exec_lo, exec_lo, s34
	v_and_b32_e32 v38, 0xff, v32
	s_mov_b32 s13, 0
	s_mov_b32 s35, exec_lo
                                        ; implicit-def: $sgpr34
	v_cmpx_lt_i16_e32 0x7f, v38
	s_xor_b32 s35, exec_lo, s35
	s_cbranch_execnz .LBB6_3063
; %bb.2778:                             ;   in Loop: Header=BB6_2329 Depth=4
	s_or_saveexec_b32 s35, s35
	v_mov_b32_e32 v35, s34
	s_xor_b32 exec_lo, exec_lo, s35
	s_cbranch_execnz .LBB6_3066
.LBB6_2779:                             ;   in Loop: Header=BB6_2329 Depth=4
	s_or_b32 exec_lo, exec_lo, s35
	s_and_saveexec_b32 s34, s13
	s_cbranch_execz .LBB6_2781
.LBB6_2780:                             ;   in Loop: Header=BB6_2329 Depth=4
	v_lshrrev_b16 v112, 3, v32
	s_delay_alu instid0(VALU_DEP_1) | instskip(NEXT) | instid1(VALU_DEP_1)
	v_and_b32_e32 v112, 15, v112
	v_cmp_eq_u32_e32 vcc_lo, 0, v112
	v_and_b32_e32 v35, 7, v32
	s_delay_alu instid0(VALU_DEP_1) | instskip(NEXT) | instid1(VALU_DEP_1)
	v_clz_i32_u32_e32 v38, v35
	v_min_u32_e32 v38, 32, v38
	s_delay_alu instid0(VALU_DEP_1) | instskip(SKIP_1) | instid1(VALU_DEP_1)
	v_subrev_nc_u32_e32 v49, 28, v38
	v_sub_nc_u32_e32 v38, 29, v38
	v_dual_cndmask_b32 v38, v112, v38 :: v_dual_lshlrev_b32 v49, v49, v32
	v_lshlrev_b32_e32 v32, 24, v32
	s_delay_alu instid0(VALU_DEP_2) | instskip(NEXT) | instid1(VALU_DEP_3)
	v_and_b32_e32 v49, 7, v49
	v_lshl_add_u32 v38, v38, 23, 0x3b800000
	s_delay_alu instid0(VALU_DEP_2) | instskip(NEXT) | instid1(VALU_DEP_1)
	v_dual_cndmask_b32 v35, v35, v49 :: v_dual_and_b32 v32, 0x80000000, v32
	v_lshlrev_b32_e32 v35, 20, v35
	s_delay_alu instid0(VALU_DEP_1)
	v_or3_b32 v35, v32, v38, v35
.LBB6_2781:                             ;   in Loop: Header=BB6_2329 Depth=4
	s_or_b32 exec_lo, exec_lo, s34
	s_waitcnt vmcnt(3) lgkmcnt(3)
	v_and_b32_e32 v38, 0xff, v27
	s_mov_b32 s13, 0
	s_mov_b32 s35, exec_lo
                                        ; implicit-def: $sgpr34
	s_delay_alu instid0(VALU_DEP_1)
	v_cmpx_lt_i16_e32 0x7f, v38
	s_xor_b32 s35, exec_lo, s35
	s_cbranch_execnz .LBB6_3067
; %bb.2782:                             ;   in Loop: Header=BB6_2329 Depth=4
	s_or_saveexec_b32 s35, s35
	v_mov_b32_e32 v32, s34
	s_xor_b32 exec_lo, exec_lo, s35
	s_cbranch_execnz .LBB6_3070
.LBB6_2783:                             ;   in Loop: Header=BB6_2329 Depth=4
	s_or_b32 exec_lo, exec_lo, s35
	s_and_saveexec_b32 s34, s13
	s_cbranch_execz .LBB6_2785
.LBB6_2784:                             ;   in Loop: Header=BB6_2329 Depth=4
	v_and_b32_e32 v32, 7, v27
	v_lshrrev_b16 v112, 3, v27
	s_delay_alu instid0(VALU_DEP_2) | instskip(NEXT) | instid1(VALU_DEP_2)
	v_clz_i32_u32_e32 v38, v32
	v_and_b32_e32 v112, 15, v112
	s_delay_alu instid0(VALU_DEP_2) | instskip(NEXT) | instid1(VALU_DEP_2)
	v_min_u32_e32 v38, 32, v38
	v_cmp_eq_u32_e32 vcc_lo, 0, v112
	s_delay_alu instid0(VALU_DEP_2) | instskip(SKIP_1) | instid1(VALU_DEP_1)
	v_subrev_nc_u32_e32 v49, 28, v38
	v_sub_nc_u32_e32 v38, 29, v38
	v_dual_cndmask_b32 v38, v112, v38 :: v_dual_lshlrev_b32 v49, v49, v27
	s_delay_alu instid0(VALU_DEP_1) | instskip(SKIP_1) | instid1(VALU_DEP_3)
	v_and_b32_e32 v49, 7, v49
	v_lshlrev_b32_e32 v27, 24, v27
	v_lshl_add_u32 v38, v38, 23, 0x3b800000
	s_delay_alu instid0(VALU_DEP_2) | instskip(NEXT) | instid1(VALU_DEP_1)
	v_dual_cndmask_b32 v32, v32, v49 :: v_dual_and_b32 v27, 0x80000000, v27
	v_lshlrev_b32_e32 v32, 20, v32
	s_delay_alu instid0(VALU_DEP_1)
	v_or3_b32 v32, v27, v38, v32
.LBB6_2785:                             ;   in Loop: Header=BB6_2329 Depth=4
	s_or_b32 exec_lo, exec_lo, s34
	s_delay_alu instid0(VALU_DEP_1) | instskip(NEXT) | instid1(VALU_DEP_1)
	v_add_f32_e32 v32, v35, v32
	v_and_b32_e32 v27, 0x7f800000, v32
	s_delay_alu instid0(VALU_DEP_1)
	v_cmp_ne_u32_e32 vcc_lo, 0x7f800000, v27
	v_mov_b32_e32 v27, 0x80
	s_and_saveexec_b32 s34, vcc_lo
	s_cbranch_execz .LBB6_2793
; %bb.2786:                             ;   in Loop: Header=BB6_2329 Depth=4
	v_mov_b32_e32 v27, 0
	s_mov_b32 s35, exec_lo
	v_cmpx_ne_u32_e32 0, v32
	s_cbranch_execz .LBB6_2792
; %bb.2787:                             ;   in Loop: Header=BB6_2329 Depth=4
	v_bfe_u32 v27, v32, 23, 8
	s_delay_alu instid0(VALU_DEP_1) | instskip(SKIP_1) | instid1(VALU_DEP_2)
	v_sub_nc_u32_e32 v38, 0x78, v27
	v_cmp_gt_u32_e32 vcc_lo, 0x79, v27
	v_dual_cndmask_b32 v38, 0, v38 :: v_dual_and_b32 v35, 0x7fffff, v32
	s_delay_alu instid0(VALU_DEP_1) | instskip(SKIP_2) | instid1(VALU_DEP_4)
	v_or_b32_e32 v49, 0x800000, v35
	v_cmp_eq_u32_e32 vcc_lo, 0, v27
	v_add_nc_u32_e32 v27, 0xffffff89, v27
	v_cndmask_b32_e64 v38, v38, 0x77, vcc_lo
	s_delay_alu instid0(VALU_DEP_4) | instskip(NEXT) | instid1(VALU_DEP_3)
	v_cndmask_b32_e32 v35, v49, v35, vcc_lo
	v_cndmask_b32_e64 v27, v27, 0xffffff8a, vcc_lo
	s_delay_alu instid0(VALU_DEP_3) | instskip(NEXT) | instid1(VALU_DEP_3)
	v_lshl_add_u32 v49, 0x100000, v38, -1
	v_lshrrev_b32_e32 v112, v38, v35
	v_lshlrev_b32_e64 v181, v38, 0x80000
	s_delay_alu instid0(VALU_DEP_4) | instskip(NEXT) | instid1(VALU_DEP_4)
	v_add_nc_u32_e32 v38, v38, v27
	v_and_b32_e32 v35, v49, v35
	s_delay_alu instid0(VALU_DEP_4) | instskip(NEXT) | instid1(VALU_DEP_2)
	v_bfe_u32 v115, v112, 20, 1
	v_cmp_eq_u32_e64 s13, v35, v181
	s_delay_alu instid0(VALU_DEP_2) | instskip(NEXT) | instid1(VALU_DEP_1)
	v_add_nc_u32_e32 v49, -1, v115
	v_cndmask_b32_e64 v35, 0, v49, s13
	v_lshrrev_b32_e32 v49, 23, v112
	s_mov_b32 s13, exec_lo
	s_delay_alu instid0(VALU_DEP_2) | instskip(NEXT) | instid1(VALU_DEP_2)
	v_add_nc_u32_e32 v35, v35, v112
	v_xor_b32_e32 v49, 1, v49
	s_delay_alu instid0(VALU_DEP_2) | instskip(NEXT) | instid1(VALU_DEP_1)
	v_and_b32_e32 v27, 0xfffff, v35
	v_add_nc_u32_e32 v35, v27, v112
                                        ; implicit-def: $vgpr27
	s_delay_alu instid0(VALU_DEP_3)
	v_cmpx_ne_u32_e64 v38, v49
	s_xor_b32 s13, exec_lo, s13
; %bb.2788:                             ;   in Loop: Header=BB6_2329 Depth=4
	s_delay_alu instid0(VALU_DEP_2) | instskip(SKIP_2) | instid1(VALU_DEP_2)
	v_cmp_lt_u32_e32 vcc_lo, 0xffffff, v35
	v_sub_nc_u32_e32 v27, v38, v49
	v_cndmask_b32_e64 v38, 0, 1, vcc_lo
	v_add_co_ci_u32_e32 v27, vcc_lo, 0, v27, vcc_lo
	s_delay_alu instid0(VALU_DEP_2)
	v_lshrrev_b32_e32 v35, v38, v35
; %bb.2789:                             ;   in Loop: Header=BB6_2329 Depth=4
	s_and_not1_saveexec_b32 s13, s13
; %bb.2790:                             ;   in Loop: Header=BB6_2329 Depth=4
	s_delay_alu instid0(VALU_DEP_1)
	v_bfe_u32 v27, v35, 23, 1
; %bb.2791:                             ;   in Loop: Header=BB6_2329 Depth=4
	s_or_b32 exec_lo, exec_lo, s13
	v_lshrrev_b32_e32 v35, 20, v35
	s_delay_alu instid0(VALU_DEP_2) | instskip(SKIP_2) | instid1(VALU_DEP_2)
	v_cmp_gt_i32_e32 vcc_lo, 16, v27
	v_lshrrev_b32_e32 v32, 24, v32
	v_min_i32_e32 v38, 15, v27
	v_dual_cndmask_b32 v35, 7, v35 :: v_dual_and_b32 v32, 0x80, v32
	s_delay_alu instid0(VALU_DEP_1) | instskip(SKIP_1) | instid1(VALU_DEP_2)
	v_or_b32_e32 v27, v27, v35
	v_and_b32_e32 v49, 7, v35
	v_cmp_ne_u32_e32 vcc_lo, 0, v27
	v_lshlrev_b32_e32 v38, 3, v38
	s_delay_alu instid0(VALU_DEP_1) | instskip(NEXT) | instid1(VALU_DEP_1)
	v_or3_b32 v32, v38, v32, v49
	v_cndmask_b32_e32 v27, 0, v32, vcc_lo
.LBB6_2792:                             ;   in Loop: Header=BB6_2329 Depth=4
	s_or_b32 exec_lo, exec_lo, s35
.LBB6_2793:                             ;   in Loop: Header=BB6_2329 Depth=4
	s_delay_alu instid0(SALU_CYCLE_1) | instskip(SKIP_3) | instid1(VALU_DEP_1)
	s_or_b32 exec_lo, exec_lo, s34
	v_and_b32_e32 v35, 0xff, v25
	s_mov_b32 s13, 0
	s_mov_b32 s35, exec_lo
                                        ; implicit-def: $sgpr34
	v_cmpx_lt_i16_e32 0x7f, v35
	s_xor_b32 s35, exec_lo, s35
	s_cbranch_execnz .LBB6_3071
; %bb.2794:                             ;   in Loop: Header=BB6_2329 Depth=4
	s_or_saveexec_b32 s35, s35
	v_mov_b32_e32 v32, s34
	s_xor_b32 exec_lo, exec_lo, s35
	s_cbranch_execnz .LBB6_3074
.LBB6_2795:                             ;   in Loop: Header=BB6_2329 Depth=4
	s_or_b32 exec_lo, exec_lo, s35
	s_and_saveexec_b32 s34, s13
	s_cbranch_execz .LBB6_2797
.LBB6_2796:                             ;   in Loop: Header=BB6_2329 Depth=4
	v_lshrrev_b16 v49, 3, v25
	s_delay_alu instid0(VALU_DEP_1) | instskip(NEXT) | instid1(VALU_DEP_1)
	v_and_b32_e32 v49, 15, v49
	v_cmp_eq_u32_e32 vcc_lo, 0, v49
	v_and_b32_e32 v32, 7, v25
	s_delay_alu instid0(VALU_DEP_1) | instskip(NEXT) | instid1(VALU_DEP_1)
	v_clz_i32_u32_e32 v35, v32
	v_min_u32_e32 v35, 32, v35
	s_delay_alu instid0(VALU_DEP_1) | instskip(SKIP_1) | instid1(VALU_DEP_1)
	v_subrev_nc_u32_e32 v38, 28, v35
	v_sub_nc_u32_e32 v35, 29, v35
	v_dual_cndmask_b32 v35, v49, v35 :: v_dual_lshlrev_b32 v38, v38, v25
	v_lshlrev_b32_e32 v25, 24, v25
	s_delay_alu instid0(VALU_DEP_2) | instskip(NEXT) | instid1(VALU_DEP_3)
	v_and_b32_e32 v38, 7, v38
	v_lshl_add_u32 v35, v35, 23, 0x3b800000
	s_delay_alu instid0(VALU_DEP_2) | instskip(NEXT) | instid1(VALU_DEP_1)
	v_dual_cndmask_b32 v32, v32, v38 :: v_dual_and_b32 v25, 0x80000000, v25
	v_lshlrev_b32_e32 v32, 20, v32
	s_delay_alu instid0(VALU_DEP_1)
	v_or3_b32 v32, v25, v35, v32
.LBB6_2797:                             ;   in Loop: Header=BB6_2329 Depth=4
	s_or_b32 exec_lo, exec_lo, s34
	s_waitcnt vmcnt(2) lgkmcnt(2)
	v_and_b32_e32 v35, 0xff, v24
	s_mov_b32 s13, 0
	s_mov_b32 s35, exec_lo
                                        ; implicit-def: $sgpr34
	s_delay_alu instid0(VALU_DEP_1)
	v_cmpx_lt_i16_e32 0x7f, v35
	s_xor_b32 s35, exec_lo, s35
	s_cbranch_execnz .LBB6_3075
; %bb.2798:                             ;   in Loop: Header=BB6_2329 Depth=4
	s_or_saveexec_b32 s35, s35
	v_mov_b32_e32 v25, s34
	s_xor_b32 exec_lo, exec_lo, s35
	s_cbranch_execnz .LBB6_3078
.LBB6_2799:                             ;   in Loop: Header=BB6_2329 Depth=4
	s_or_b32 exec_lo, exec_lo, s35
	s_and_saveexec_b32 s34, s13
	s_cbranch_execz .LBB6_2801
.LBB6_2800:                             ;   in Loop: Header=BB6_2329 Depth=4
	v_and_b32_e32 v25, 7, v24
	v_lshrrev_b16 v49, 3, v24
	s_delay_alu instid0(VALU_DEP_2) | instskip(NEXT) | instid1(VALU_DEP_2)
	v_clz_i32_u32_e32 v35, v25
	v_and_b32_e32 v49, 15, v49
	s_delay_alu instid0(VALU_DEP_2) | instskip(NEXT) | instid1(VALU_DEP_2)
	v_min_u32_e32 v35, 32, v35
	v_cmp_eq_u32_e32 vcc_lo, 0, v49
	s_delay_alu instid0(VALU_DEP_2) | instskip(SKIP_1) | instid1(VALU_DEP_1)
	v_subrev_nc_u32_e32 v38, 28, v35
	v_sub_nc_u32_e32 v35, 29, v35
	v_dual_cndmask_b32 v35, v49, v35 :: v_dual_lshlrev_b32 v38, v38, v24
	s_delay_alu instid0(VALU_DEP_1) | instskip(SKIP_1) | instid1(VALU_DEP_3)
	v_and_b32_e32 v38, 7, v38
	v_lshlrev_b32_e32 v24, 24, v24
	v_lshl_add_u32 v35, v35, 23, 0x3b800000
	s_delay_alu instid0(VALU_DEP_2) | instskip(NEXT) | instid1(VALU_DEP_1)
	v_dual_cndmask_b32 v25, v25, v38 :: v_dual_and_b32 v24, 0x80000000, v24
	v_lshlrev_b32_e32 v25, 20, v25
	s_delay_alu instid0(VALU_DEP_1)
	v_or3_b32 v25, v24, v35, v25
.LBB6_2801:                             ;   in Loop: Header=BB6_2329 Depth=4
	s_or_b32 exec_lo, exec_lo, s34
	s_delay_alu instid0(VALU_DEP_1) | instskip(NEXT) | instid1(VALU_DEP_1)
	v_add_f32_e32 v25, v32, v25
	v_and_b32_e32 v24, 0x7f800000, v25
	s_delay_alu instid0(VALU_DEP_1)
	v_cmp_ne_u32_e32 vcc_lo, 0x7f800000, v24
	v_mov_b32_e32 v24, 0x80
	s_and_saveexec_b32 s34, vcc_lo
	s_cbranch_execz .LBB6_2809
; %bb.2802:                             ;   in Loop: Header=BB6_2329 Depth=4
	v_mov_b32_e32 v24, 0
	s_mov_b32 s35, exec_lo
	v_cmpx_ne_u32_e32 0, v25
	s_cbranch_execz .LBB6_2808
; %bb.2803:                             ;   in Loop: Header=BB6_2329 Depth=4
	v_bfe_u32 v24, v25, 23, 8
	s_delay_alu instid0(VALU_DEP_1) | instskip(SKIP_1) | instid1(VALU_DEP_2)
	v_sub_nc_u32_e32 v35, 0x78, v24
	v_cmp_gt_u32_e32 vcc_lo, 0x79, v24
	v_dual_cndmask_b32 v35, 0, v35 :: v_dual_and_b32 v32, 0x7fffff, v25
	s_delay_alu instid0(VALU_DEP_1) | instskip(SKIP_2) | instid1(VALU_DEP_4)
	v_or_b32_e32 v38, 0x800000, v32
	v_cmp_eq_u32_e32 vcc_lo, 0, v24
	v_add_nc_u32_e32 v24, 0xffffff89, v24
	v_cndmask_b32_e64 v35, v35, 0x77, vcc_lo
	s_delay_alu instid0(VALU_DEP_4) | instskip(NEXT) | instid1(VALU_DEP_3)
	v_cndmask_b32_e32 v32, v38, v32, vcc_lo
	v_cndmask_b32_e64 v24, v24, 0xffffff8a, vcc_lo
	s_delay_alu instid0(VALU_DEP_3) | instskip(NEXT) | instid1(VALU_DEP_3)
	v_lshl_add_u32 v38, 0x100000, v35, -1
	v_lshrrev_b32_e32 v49, v35, v32
	v_lshlrev_b32_e64 v115, v35, 0x80000
	s_delay_alu instid0(VALU_DEP_4) | instskip(NEXT) | instid1(VALU_DEP_4)
	v_add_nc_u32_e32 v35, v35, v24
	v_and_b32_e32 v32, v38, v32
	s_delay_alu instid0(VALU_DEP_4) | instskip(NEXT) | instid1(VALU_DEP_2)
	v_bfe_u32 v112, v49, 20, 1
	v_cmp_eq_u32_e64 s13, v32, v115
	s_delay_alu instid0(VALU_DEP_2) | instskip(NEXT) | instid1(VALU_DEP_1)
	v_add_nc_u32_e32 v38, -1, v112
	v_cndmask_b32_e64 v32, 0, v38, s13
	v_lshrrev_b32_e32 v38, 23, v49
	s_mov_b32 s13, exec_lo
	s_delay_alu instid0(VALU_DEP_2) | instskip(NEXT) | instid1(VALU_DEP_2)
	v_add_nc_u32_e32 v32, v32, v49
	v_xor_b32_e32 v38, 1, v38
	s_delay_alu instid0(VALU_DEP_2) | instskip(NEXT) | instid1(VALU_DEP_1)
	v_and_b32_e32 v24, 0xfffff, v32
	v_add_nc_u32_e32 v32, v24, v49
                                        ; implicit-def: $vgpr24
	s_delay_alu instid0(VALU_DEP_3)
	v_cmpx_ne_u32_e64 v35, v38
	s_xor_b32 s13, exec_lo, s13
; %bb.2804:                             ;   in Loop: Header=BB6_2329 Depth=4
	s_delay_alu instid0(VALU_DEP_2) | instskip(SKIP_2) | instid1(VALU_DEP_2)
	v_cmp_lt_u32_e32 vcc_lo, 0xffffff, v32
	v_sub_nc_u32_e32 v24, v35, v38
	v_cndmask_b32_e64 v35, 0, 1, vcc_lo
	v_add_co_ci_u32_e32 v24, vcc_lo, 0, v24, vcc_lo
	s_delay_alu instid0(VALU_DEP_2)
	v_lshrrev_b32_e32 v32, v35, v32
; %bb.2805:                             ;   in Loop: Header=BB6_2329 Depth=4
	s_and_not1_saveexec_b32 s13, s13
; %bb.2806:                             ;   in Loop: Header=BB6_2329 Depth=4
	s_delay_alu instid0(VALU_DEP_1)
	v_bfe_u32 v24, v32, 23, 1
; %bb.2807:                             ;   in Loop: Header=BB6_2329 Depth=4
	s_or_b32 exec_lo, exec_lo, s13
	v_lshrrev_b32_e32 v32, 20, v32
	s_delay_alu instid0(VALU_DEP_2) | instskip(SKIP_2) | instid1(VALU_DEP_2)
	v_cmp_gt_i32_e32 vcc_lo, 16, v24
	v_lshrrev_b32_e32 v25, 24, v25
	v_min_i32_e32 v35, 15, v24
	v_dual_cndmask_b32 v32, 7, v32 :: v_dual_and_b32 v25, 0x80, v25
	s_delay_alu instid0(VALU_DEP_1) | instskip(SKIP_1) | instid1(VALU_DEP_2)
	v_or_b32_e32 v24, v24, v32
	v_and_b32_e32 v38, 7, v32
	v_cmp_ne_u32_e32 vcc_lo, 0, v24
	v_lshlrev_b32_e32 v35, 3, v35
	s_delay_alu instid0(VALU_DEP_1) | instskip(NEXT) | instid1(VALU_DEP_1)
	v_or3_b32 v25, v35, v25, v38
	v_cndmask_b32_e32 v24, 0, v25, vcc_lo
.LBB6_2808:                             ;   in Loop: Header=BB6_2329 Depth=4
	s_or_b32 exec_lo, exec_lo, s35
.LBB6_2809:                             ;   in Loop: Header=BB6_2329 Depth=4
	s_delay_alu instid0(SALU_CYCLE_1) | instskip(SKIP_3) | instid1(VALU_DEP_1)
	s_or_b32 exec_lo, exec_lo, s34
	v_and_b32_e32 v32, 0xff, v22
	s_mov_b32 s13, 0
	s_mov_b32 s35, exec_lo
                                        ; implicit-def: $sgpr34
	v_cmpx_lt_i16_e32 0x7f, v32
	s_xor_b32 s35, exec_lo, s35
	s_cbranch_execnz .LBB6_3079
; %bb.2810:                             ;   in Loop: Header=BB6_2329 Depth=4
	s_or_saveexec_b32 s35, s35
	v_mov_b32_e32 v25, s34
	s_xor_b32 exec_lo, exec_lo, s35
	s_cbranch_execnz .LBB6_3082
.LBB6_2811:                             ;   in Loop: Header=BB6_2329 Depth=4
	s_or_b32 exec_lo, exec_lo, s35
	s_and_saveexec_b32 s34, s13
	s_cbranch_execz .LBB6_2813
.LBB6_2812:                             ;   in Loop: Header=BB6_2329 Depth=4
	v_lshrrev_b16 v38, 3, v22
	s_delay_alu instid0(VALU_DEP_1) | instskip(NEXT) | instid1(VALU_DEP_1)
	v_and_b32_e32 v38, 15, v38
	v_cmp_eq_u32_e32 vcc_lo, 0, v38
	v_and_b32_e32 v25, 7, v22
	s_delay_alu instid0(VALU_DEP_1) | instskip(NEXT) | instid1(VALU_DEP_1)
	v_clz_i32_u32_e32 v32, v25
	v_min_u32_e32 v32, 32, v32
	s_delay_alu instid0(VALU_DEP_1) | instskip(SKIP_1) | instid1(VALU_DEP_1)
	v_subrev_nc_u32_e32 v35, 28, v32
	v_sub_nc_u32_e32 v32, 29, v32
	v_dual_cndmask_b32 v32, v38, v32 :: v_dual_lshlrev_b32 v35, v35, v22
	v_lshlrev_b32_e32 v22, 24, v22
	s_delay_alu instid0(VALU_DEP_2) | instskip(NEXT) | instid1(VALU_DEP_3)
	v_and_b32_e32 v35, 7, v35
	v_lshl_add_u32 v32, v32, 23, 0x3b800000
	s_delay_alu instid0(VALU_DEP_2) | instskip(NEXT) | instid1(VALU_DEP_1)
	v_dual_cndmask_b32 v25, v25, v35 :: v_dual_and_b32 v22, 0x80000000, v22
	v_lshlrev_b32_e32 v25, 20, v25
	s_delay_alu instid0(VALU_DEP_1)
	v_or3_b32 v25, v22, v32, v25
.LBB6_2813:                             ;   in Loop: Header=BB6_2329 Depth=4
	s_or_b32 exec_lo, exec_lo, s34
	s_waitcnt vmcnt(1) lgkmcnt(1)
	v_and_b32_e32 v32, 0xff, v21
	s_mov_b32 s13, 0
	s_mov_b32 s35, exec_lo
                                        ; implicit-def: $sgpr34
	s_delay_alu instid0(VALU_DEP_1)
	v_cmpx_lt_i16_e32 0x7f, v32
	s_xor_b32 s35, exec_lo, s35
	s_cbranch_execnz .LBB6_3083
; %bb.2814:                             ;   in Loop: Header=BB6_2329 Depth=4
	s_or_saveexec_b32 s35, s35
	v_mov_b32_e32 v22, s34
	s_xor_b32 exec_lo, exec_lo, s35
	s_cbranch_execnz .LBB6_3086
.LBB6_2815:                             ;   in Loop: Header=BB6_2329 Depth=4
	s_or_b32 exec_lo, exec_lo, s35
	s_and_saveexec_b32 s34, s13
	s_cbranch_execz .LBB6_2817
.LBB6_2816:                             ;   in Loop: Header=BB6_2329 Depth=4
	v_and_b32_e32 v22, 7, v21
	v_lshrrev_b16 v38, 3, v21
	s_delay_alu instid0(VALU_DEP_2) | instskip(NEXT) | instid1(VALU_DEP_2)
	v_clz_i32_u32_e32 v32, v22
	v_and_b32_e32 v38, 15, v38
	s_delay_alu instid0(VALU_DEP_2) | instskip(NEXT) | instid1(VALU_DEP_2)
	v_min_u32_e32 v32, 32, v32
	v_cmp_eq_u32_e32 vcc_lo, 0, v38
	s_delay_alu instid0(VALU_DEP_2) | instskip(SKIP_1) | instid1(VALU_DEP_1)
	v_subrev_nc_u32_e32 v35, 28, v32
	v_sub_nc_u32_e32 v32, 29, v32
	v_dual_cndmask_b32 v32, v38, v32 :: v_dual_lshlrev_b32 v35, v35, v21
	s_delay_alu instid0(VALU_DEP_1) | instskip(SKIP_1) | instid1(VALU_DEP_3)
	v_and_b32_e32 v35, 7, v35
	v_lshlrev_b32_e32 v21, 24, v21
	v_lshl_add_u32 v32, v32, 23, 0x3b800000
	s_delay_alu instid0(VALU_DEP_2) | instskip(NEXT) | instid1(VALU_DEP_1)
	v_dual_cndmask_b32 v22, v22, v35 :: v_dual_and_b32 v21, 0x80000000, v21
	v_lshlrev_b32_e32 v22, 20, v22
	s_delay_alu instid0(VALU_DEP_1)
	v_or3_b32 v22, v21, v32, v22
.LBB6_2817:                             ;   in Loop: Header=BB6_2329 Depth=4
	s_or_b32 exec_lo, exec_lo, s34
	s_delay_alu instid0(VALU_DEP_1) | instskip(NEXT) | instid1(VALU_DEP_1)
	v_add_f32_e32 v22, v25, v22
	v_and_b32_e32 v21, 0x7f800000, v22
	s_delay_alu instid0(VALU_DEP_1)
	v_cmp_ne_u32_e32 vcc_lo, 0x7f800000, v21
	v_mov_b32_e32 v21, 0x80
	s_and_saveexec_b32 s34, vcc_lo
	s_cbranch_execz .LBB6_2825
; %bb.2818:                             ;   in Loop: Header=BB6_2329 Depth=4
	v_mov_b32_e32 v21, 0
	s_mov_b32 s35, exec_lo
	v_cmpx_ne_u32_e32 0, v22
	s_cbranch_execz .LBB6_2824
; %bb.2819:                             ;   in Loop: Header=BB6_2329 Depth=4
	v_bfe_u32 v21, v22, 23, 8
	s_delay_alu instid0(VALU_DEP_1) | instskip(SKIP_1) | instid1(VALU_DEP_2)
	v_sub_nc_u32_e32 v32, 0x78, v21
	v_cmp_gt_u32_e32 vcc_lo, 0x79, v21
	v_dual_cndmask_b32 v32, 0, v32 :: v_dual_and_b32 v25, 0x7fffff, v22
	s_delay_alu instid0(VALU_DEP_1) | instskip(SKIP_2) | instid1(VALU_DEP_4)
	v_or_b32_e32 v35, 0x800000, v25
	v_cmp_eq_u32_e32 vcc_lo, 0, v21
	v_add_nc_u32_e32 v21, 0xffffff89, v21
	v_cndmask_b32_e64 v32, v32, 0x77, vcc_lo
	s_delay_alu instid0(VALU_DEP_4) | instskip(NEXT) | instid1(VALU_DEP_3)
	v_cndmask_b32_e32 v25, v35, v25, vcc_lo
	v_cndmask_b32_e64 v21, v21, 0xffffff8a, vcc_lo
	s_delay_alu instid0(VALU_DEP_3) | instskip(NEXT) | instid1(VALU_DEP_3)
	v_lshl_add_u32 v35, 0x100000, v32, -1
	v_lshrrev_b32_e32 v38, v32, v25
	v_lshlrev_b32_e64 v112, v32, 0x80000
	s_delay_alu instid0(VALU_DEP_4) | instskip(NEXT) | instid1(VALU_DEP_4)
	v_add_nc_u32_e32 v32, v32, v21
	v_and_b32_e32 v25, v35, v25
	s_delay_alu instid0(VALU_DEP_4) | instskip(NEXT) | instid1(VALU_DEP_2)
	v_bfe_u32 v49, v38, 20, 1
	v_cmp_eq_u32_e64 s13, v25, v112
	s_delay_alu instid0(VALU_DEP_2) | instskip(NEXT) | instid1(VALU_DEP_1)
	v_add_nc_u32_e32 v35, -1, v49
	v_cndmask_b32_e64 v25, 0, v35, s13
	v_lshrrev_b32_e32 v35, 23, v38
	s_mov_b32 s13, exec_lo
	s_delay_alu instid0(VALU_DEP_2) | instskip(NEXT) | instid1(VALU_DEP_2)
	v_add_nc_u32_e32 v25, v25, v38
	v_xor_b32_e32 v35, 1, v35
	s_delay_alu instid0(VALU_DEP_2) | instskip(NEXT) | instid1(VALU_DEP_1)
	v_and_b32_e32 v21, 0xfffff, v25
	v_add_nc_u32_e32 v25, v21, v38
                                        ; implicit-def: $vgpr21
	s_delay_alu instid0(VALU_DEP_3)
	v_cmpx_ne_u32_e64 v32, v35
	s_xor_b32 s13, exec_lo, s13
; %bb.2820:                             ;   in Loop: Header=BB6_2329 Depth=4
	s_delay_alu instid0(VALU_DEP_2) | instskip(SKIP_2) | instid1(VALU_DEP_2)
	v_cmp_lt_u32_e32 vcc_lo, 0xffffff, v25
	v_sub_nc_u32_e32 v21, v32, v35
	v_cndmask_b32_e64 v32, 0, 1, vcc_lo
	v_add_co_ci_u32_e32 v21, vcc_lo, 0, v21, vcc_lo
	s_delay_alu instid0(VALU_DEP_2)
	v_lshrrev_b32_e32 v25, v32, v25
; %bb.2821:                             ;   in Loop: Header=BB6_2329 Depth=4
	s_and_not1_saveexec_b32 s13, s13
; %bb.2822:                             ;   in Loop: Header=BB6_2329 Depth=4
	s_delay_alu instid0(VALU_DEP_1)
	v_bfe_u32 v21, v25, 23, 1
; %bb.2823:                             ;   in Loop: Header=BB6_2329 Depth=4
	s_or_b32 exec_lo, exec_lo, s13
	v_lshrrev_b32_e32 v25, 20, v25
	s_delay_alu instid0(VALU_DEP_2) | instskip(SKIP_2) | instid1(VALU_DEP_2)
	v_cmp_gt_i32_e32 vcc_lo, 16, v21
	v_lshrrev_b32_e32 v22, 24, v22
	v_min_i32_e32 v32, 15, v21
	v_dual_cndmask_b32 v25, 7, v25 :: v_dual_and_b32 v22, 0x80, v22
	s_delay_alu instid0(VALU_DEP_1) | instskip(SKIP_1) | instid1(VALU_DEP_2)
	v_or_b32_e32 v21, v21, v25
	v_and_b32_e32 v35, 7, v25
	v_cmp_ne_u32_e32 vcc_lo, 0, v21
	v_lshlrev_b32_e32 v32, 3, v32
	s_delay_alu instid0(VALU_DEP_1) | instskip(NEXT) | instid1(VALU_DEP_1)
	v_or3_b32 v22, v32, v22, v35
	v_cndmask_b32_e32 v21, 0, v22, vcc_lo
.LBB6_2824:                             ;   in Loop: Header=BB6_2329 Depth=4
	s_or_b32 exec_lo, exec_lo, s35
.LBB6_2825:                             ;   in Loop: Header=BB6_2329 Depth=4
	s_delay_alu instid0(SALU_CYCLE_1) | instskip(SKIP_3) | instid1(VALU_DEP_1)
	s_or_b32 exec_lo, exec_lo, s34
	v_and_b32_e32 v25, 0xff, v19
	s_mov_b32 s13, 0
	s_mov_b32 s35, exec_lo
                                        ; implicit-def: $sgpr34
	v_cmpx_lt_i16_e32 0x7f, v25
	s_xor_b32 s35, exec_lo, s35
	s_cbranch_execnz .LBB6_3087
; %bb.2826:                             ;   in Loop: Header=BB6_2329 Depth=4
	s_or_saveexec_b32 s35, s35
	v_mov_b32_e32 v22, s34
	s_xor_b32 exec_lo, exec_lo, s35
	s_cbranch_execnz .LBB6_3090
.LBB6_2827:                             ;   in Loop: Header=BB6_2329 Depth=4
	s_or_b32 exec_lo, exec_lo, s35
	s_and_saveexec_b32 s34, s13
	s_cbranch_execz .LBB6_2829
.LBB6_2828:                             ;   in Loop: Header=BB6_2329 Depth=4
	v_lshrrev_b16 v35, 3, v19
	s_delay_alu instid0(VALU_DEP_1) | instskip(NEXT) | instid1(VALU_DEP_1)
	v_and_b32_e32 v35, 15, v35
	v_cmp_eq_u32_e32 vcc_lo, 0, v35
	v_and_b32_e32 v22, 7, v19
	s_delay_alu instid0(VALU_DEP_1) | instskip(NEXT) | instid1(VALU_DEP_1)
	v_clz_i32_u32_e32 v25, v22
	v_min_u32_e32 v25, 32, v25
	s_delay_alu instid0(VALU_DEP_1) | instskip(SKIP_1) | instid1(VALU_DEP_1)
	v_subrev_nc_u32_e32 v32, 28, v25
	v_sub_nc_u32_e32 v25, 29, v25
	v_dual_cndmask_b32 v25, v35, v25 :: v_dual_lshlrev_b32 v32, v32, v19
	v_lshlrev_b32_e32 v19, 24, v19
	s_delay_alu instid0(VALU_DEP_2) | instskip(NEXT) | instid1(VALU_DEP_3)
	v_and_b32_e32 v32, 7, v32
	v_lshl_add_u32 v25, v25, 23, 0x3b800000
	s_delay_alu instid0(VALU_DEP_2) | instskip(NEXT) | instid1(VALU_DEP_1)
	v_dual_cndmask_b32 v22, v22, v32 :: v_dual_and_b32 v19, 0x80000000, v19
	v_lshlrev_b32_e32 v22, 20, v22
	s_delay_alu instid0(VALU_DEP_1)
	v_or3_b32 v22, v19, v25, v22
.LBB6_2829:                             ;   in Loop: Header=BB6_2329 Depth=4
	s_or_b32 exec_lo, exec_lo, s34
	s_waitcnt vmcnt(0) lgkmcnt(0)
	v_and_b32_e32 v25, 0xff, v18
	s_mov_b32 s13, 0
	s_mov_b32 s35, exec_lo
                                        ; implicit-def: $sgpr34
	s_delay_alu instid0(VALU_DEP_1)
	v_cmpx_lt_i16_e32 0x7f, v25
	s_xor_b32 s35, exec_lo, s35
	s_cbranch_execnz .LBB6_3091
; %bb.2830:                             ;   in Loop: Header=BB6_2329 Depth=4
	s_or_saveexec_b32 s35, s35
	v_mov_b32_e32 v19, s34
	s_xor_b32 exec_lo, exec_lo, s35
	s_cbranch_execnz .LBB6_3094
.LBB6_2831:                             ;   in Loop: Header=BB6_2329 Depth=4
	s_or_b32 exec_lo, exec_lo, s35
	s_and_saveexec_b32 s34, s13
	s_cbranch_execz .LBB6_2833
.LBB6_2832:                             ;   in Loop: Header=BB6_2329 Depth=4
	v_and_b32_e32 v19, 7, v18
	v_lshrrev_b16 v35, 3, v18
	s_delay_alu instid0(VALU_DEP_2) | instskip(NEXT) | instid1(VALU_DEP_2)
	v_clz_i32_u32_e32 v25, v19
	v_and_b32_e32 v35, 15, v35
	s_delay_alu instid0(VALU_DEP_2) | instskip(NEXT) | instid1(VALU_DEP_2)
	v_min_u32_e32 v25, 32, v25
	v_cmp_eq_u32_e32 vcc_lo, 0, v35
	s_delay_alu instid0(VALU_DEP_2) | instskip(SKIP_1) | instid1(VALU_DEP_1)
	v_subrev_nc_u32_e32 v32, 28, v25
	v_sub_nc_u32_e32 v25, 29, v25
	v_dual_cndmask_b32 v25, v35, v25 :: v_dual_lshlrev_b32 v32, v32, v18
	s_delay_alu instid0(VALU_DEP_1) | instskip(SKIP_1) | instid1(VALU_DEP_3)
	v_and_b32_e32 v32, 7, v32
	v_lshlrev_b32_e32 v18, 24, v18
	v_lshl_add_u32 v25, v25, 23, 0x3b800000
	s_delay_alu instid0(VALU_DEP_2) | instskip(NEXT) | instid1(VALU_DEP_1)
	v_dual_cndmask_b32 v19, v19, v32 :: v_dual_and_b32 v18, 0x80000000, v18
	v_lshlrev_b32_e32 v19, 20, v19
	s_delay_alu instid0(VALU_DEP_1)
	v_or3_b32 v19, v18, v25, v19
.LBB6_2833:                             ;   in Loop: Header=BB6_2329 Depth=4
	s_or_b32 exec_lo, exec_lo, s34
	s_delay_alu instid0(VALU_DEP_1) | instskip(NEXT) | instid1(VALU_DEP_1)
	v_add_f32_e32 v19, v22, v19
	v_and_b32_e32 v18, 0x7f800000, v19
	s_delay_alu instid0(VALU_DEP_1)
	v_cmp_ne_u32_e32 vcc_lo, 0x7f800000, v18
	v_mov_b32_e32 v18, 0x80
	s_and_saveexec_b32 s34, vcc_lo
	s_cbranch_execz .LBB6_2328
; %bb.2834:                             ;   in Loop: Header=BB6_2329 Depth=4
	v_mov_b32_e32 v18, 0
	s_mov_b32 s35, exec_lo
	v_cmpx_ne_u32_e32 0, v19
	s_cbranch_execz .LBB6_2327
; %bb.2835:                             ;   in Loop: Header=BB6_2329 Depth=4
	v_bfe_u32 v18, v19, 23, 8
	s_delay_alu instid0(VALU_DEP_1) | instskip(SKIP_1) | instid1(VALU_DEP_2)
	v_sub_nc_u32_e32 v25, 0x78, v18
	v_cmp_gt_u32_e32 vcc_lo, 0x79, v18
	v_dual_cndmask_b32 v25, 0, v25 :: v_dual_and_b32 v22, 0x7fffff, v19
	s_delay_alu instid0(VALU_DEP_1) | instskip(SKIP_2) | instid1(VALU_DEP_4)
	v_or_b32_e32 v32, 0x800000, v22
	v_cmp_eq_u32_e32 vcc_lo, 0, v18
	v_add_nc_u32_e32 v18, 0xffffff89, v18
	v_cndmask_b32_e64 v25, v25, 0x77, vcc_lo
	s_delay_alu instid0(VALU_DEP_4) | instskip(NEXT) | instid1(VALU_DEP_3)
	v_cndmask_b32_e32 v22, v32, v22, vcc_lo
	v_cndmask_b32_e64 v18, v18, 0xffffff8a, vcc_lo
	s_delay_alu instid0(VALU_DEP_3) | instskip(NEXT) | instid1(VALU_DEP_3)
	v_lshl_add_u32 v32, 0x100000, v25, -1
	v_lshrrev_b32_e32 v35, v25, v22
	v_lshlrev_b32_e64 v49, v25, 0x80000
	s_delay_alu instid0(VALU_DEP_4) | instskip(NEXT) | instid1(VALU_DEP_4)
	v_add_nc_u32_e32 v25, v25, v18
	v_and_b32_e32 v22, v32, v22
	s_delay_alu instid0(VALU_DEP_4) | instskip(NEXT) | instid1(VALU_DEP_2)
	v_bfe_u32 v38, v35, 20, 1
	v_cmp_eq_u32_e64 s13, v22, v49
	s_delay_alu instid0(VALU_DEP_2) | instskip(NEXT) | instid1(VALU_DEP_1)
	v_add_nc_u32_e32 v32, -1, v38
	v_cndmask_b32_e64 v22, 0, v32, s13
	v_lshrrev_b32_e32 v32, 23, v35
	s_mov_b32 s13, exec_lo
	s_delay_alu instid0(VALU_DEP_2) | instskip(NEXT) | instid1(VALU_DEP_2)
	v_add_nc_u32_e32 v22, v22, v35
	v_xor_b32_e32 v32, 1, v32
	s_delay_alu instid0(VALU_DEP_2) | instskip(NEXT) | instid1(VALU_DEP_1)
	v_and_b32_e32 v18, 0xfffff, v22
	v_add_nc_u32_e32 v22, v18, v35
                                        ; implicit-def: $vgpr18
	s_delay_alu instid0(VALU_DEP_3)
	v_cmpx_ne_u32_e64 v25, v32
	s_xor_b32 s13, exec_lo, s13
; %bb.2836:                             ;   in Loop: Header=BB6_2329 Depth=4
	s_delay_alu instid0(VALU_DEP_2) | instskip(SKIP_2) | instid1(VALU_DEP_2)
	v_cmp_lt_u32_e32 vcc_lo, 0xffffff, v22
	v_sub_nc_u32_e32 v18, v25, v32
	v_cndmask_b32_e64 v25, 0, 1, vcc_lo
	v_add_co_ci_u32_e32 v18, vcc_lo, 0, v18, vcc_lo
	s_delay_alu instid0(VALU_DEP_2)
	v_lshrrev_b32_e32 v22, v25, v22
; %bb.2837:                             ;   in Loop: Header=BB6_2329 Depth=4
	s_and_not1_saveexec_b32 s13, s13
	s_cbranch_execz .LBB6_2326
; %bb.2838:                             ;   in Loop: Header=BB6_2329 Depth=4
	s_delay_alu instid0(VALU_DEP_1)
	v_bfe_u32 v18, v22, 23, 1
	s_branch .LBB6_2326
.LBB6_2839:                             ;   in Loop: Header=BB6_2329 Depth=4
	s_mov_b32 s13, -1
	s_mov_b32 s36, exec_lo
                                        ; implicit-def: $sgpr34
	v_cmpx_eq_u16_e32 0x80, v104
; %bb.2840:                             ;   in Loop: Header=BB6_2329 Depth=4
	s_mov_b32 s34, 0x7f800001
	s_xor_b32 s13, exec_lo, -1
; %bb.2841:                             ;   in Loop: Header=BB6_2329 Depth=4
	s_or_b32 exec_lo, exec_lo, s36
	s_delay_alu instid0(SALU_CYCLE_1)
	s_and_b32 s13, s13, exec_lo
	s_or_saveexec_b32 s35, s35
	v_mov_b32_e32 v105, s34
	s_xor_b32 exec_lo, exec_lo, s35
	s_cbranch_execz .LBB6_2331
.LBB6_2842:                             ;   in Loop: Header=BB6_2329 Depth=4
	v_cmp_ne_u16_e32 vcc_lo, 0, v104
	v_mov_b32_e32 v105, 0
	s_and_not1_b32 s13, s13, exec_lo
	s_and_b32 vcc_lo, vcc_lo, exec_lo
	s_delay_alu instid0(SALU_CYCLE_1)
	s_or_b32 s13, s13, vcc_lo
	s_or_b32 exec_lo, exec_lo, s35
	s_and_saveexec_b32 s34, s13
	s_cbranch_execnz .LBB6_2332
	s_branch .LBB6_2333
.LBB6_2843:                             ;   in Loop: Header=BB6_2329 Depth=4
	s_mov_b32 s13, -1
	s_mov_b32 s36, exec_lo
                                        ; implicit-def: $sgpr34
	v_cmpx_eq_u16_e32 0x80, v106
; %bb.2844:                             ;   in Loop: Header=BB6_2329 Depth=4
	s_mov_b32 s34, 0x7f800001
	s_xor_b32 s13, exec_lo, -1
; %bb.2845:                             ;   in Loop: Header=BB6_2329 Depth=4
	s_or_b32 exec_lo, exec_lo, s36
	s_delay_alu instid0(SALU_CYCLE_1)
	s_and_b32 s13, s13, exec_lo
                                        ; implicit-def: $vgpr106
	s_or_saveexec_b32 s35, s35
	v_mov_b32_e32 v104, s34
	s_xor_b32 exec_lo, exec_lo, s35
	s_cbranch_execz .LBB6_2335
.LBB6_2846:                             ;   in Loop: Header=BB6_2329 Depth=4
	v_cmp_ne_u16_e32 vcc_lo, 0, v106
	v_mov_b32_e32 v104, 0
	s_and_not1_b32 s13, s13, exec_lo
	s_and_b32 vcc_lo, vcc_lo, exec_lo
	s_delay_alu instid0(SALU_CYCLE_1)
	s_or_b32 s13, s13, vcc_lo
	s_or_b32 exec_lo, exec_lo, s35
	s_and_saveexec_b32 s34, s13
	s_cbranch_execnz .LBB6_2336
	s_branch .LBB6_2337
.LBB6_2847:                             ;   in Loop: Header=BB6_2329 Depth=4
	s_mov_b32 s13, -1
	s_mov_b32 s36, exec_lo
                                        ; implicit-def: $sgpr34
	v_cmpx_eq_u16_e32 0x80, v105
; %bb.2848:                             ;   in Loop: Header=BB6_2329 Depth=4
	s_mov_b32 s34, 0x7f800001
	s_xor_b32 s13, exec_lo, -1
; %bb.2849:                             ;   in Loop: Header=BB6_2329 Depth=4
	s_or_b32 exec_lo, exec_lo, s36
	s_delay_alu instid0(SALU_CYCLE_1)
	s_and_b32 s13, s13, exec_lo
                                        ; implicit-def: $vgpr105
	s_or_saveexec_b32 s35, s35
	v_mov_b32_e32 v104, s34
	s_xor_b32 exec_lo, exec_lo, s35
	s_cbranch_execz .LBB6_2347
.LBB6_2850:                             ;   in Loop: Header=BB6_2329 Depth=4
	v_cmp_ne_u16_e32 vcc_lo, 0, v105
	v_mov_b32_e32 v104, 0
	s_and_not1_b32 s13, s13, exec_lo
	s_and_b32 vcc_lo, vcc_lo, exec_lo
	s_delay_alu instid0(SALU_CYCLE_1)
	s_or_b32 s13, s13, vcc_lo
	s_or_b32 exec_lo, exec_lo, s35
	s_and_saveexec_b32 s34, s13
	s_cbranch_execnz .LBB6_2348
	s_branch .LBB6_2349
.LBB6_2851:                             ;   in Loop: Header=BB6_2329 Depth=4
	s_mov_b32 s13, -1
	s_mov_b32 s36, exec_lo
                                        ; implicit-def: $sgpr34
	v_cmpx_eq_u16_e32 0x80, v105
; %bb.2852:                             ;   in Loop: Header=BB6_2329 Depth=4
	s_mov_b32 s34, 0x7f800001
	s_xor_b32 s13, exec_lo, -1
; %bb.2853:                             ;   in Loop: Header=BB6_2329 Depth=4
	s_or_b32 exec_lo, exec_lo, s36
	s_delay_alu instid0(SALU_CYCLE_1)
	s_and_b32 s13, s13, exec_lo
                                        ; implicit-def: $vgpr105
	s_or_saveexec_b32 s35, s35
	v_mov_b32_e32 v95, s34
	s_xor_b32 exec_lo, exec_lo, s35
	s_cbranch_execz .LBB6_2351
.LBB6_2854:                             ;   in Loop: Header=BB6_2329 Depth=4
	v_cmp_ne_u16_e32 vcc_lo, 0, v105
	v_mov_b32_e32 v95, 0
	s_and_not1_b32 s13, s13, exec_lo
	s_and_b32 vcc_lo, vcc_lo, exec_lo
	s_delay_alu instid0(SALU_CYCLE_1)
	s_or_b32 s13, s13, vcc_lo
	s_or_b32 exec_lo, exec_lo, s35
	s_and_saveexec_b32 s34, s13
	s_cbranch_execnz .LBB6_2352
	s_branch .LBB6_2353
.LBB6_2855:                             ;   in Loop: Header=BB6_2329 Depth=4
	s_mov_b32 s13, -1
	s_mov_b32 s36, exec_lo
                                        ; implicit-def: $sgpr34
	v_cmpx_eq_u16_e32 0x80, v104
; %bb.2856:                             ;   in Loop: Header=BB6_2329 Depth=4
	s_mov_b32 s34, 0x7f800001
	s_xor_b32 s13, exec_lo, -1
; %bb.2857:                             ;   in Loop: Header=BB6_2329 Depth=4
	s_or_b32 exec_lo, exec_lo, s36
	s_delay_alu instid0(SALU_CYCLE_1)
	s_and_b32 s13, s13, exec_lo
                                        ; implicit-def: $vgpr104
	s_or_saveexec_b32 s35, s35
	v_mov_b32_e32 v95, s34
	s_xor_b32 exec_lo, exec_lo, s35
	s_cbranch_execz .LBB6_2363
.LBB6_2858:                             ;   in Loop: Header=BB6_2329 Depth=4
	v_cmp_ne_u16_e32 vcc_lo, 0, v104
	v_mov_b32_e32 v95, 0
	s_and_not1_b32 s13, s13, exec_lo
	s_and_b32 vcc_lo, vcc_lo, exec_lo
	s_delay_alu instid0(SALU_CYCLE_1)
	s_or_b32 s13, s13, vcc_lo
	s_or_b32 exec_lo, exec_lo, s35
	s_and_saveexec_b32 s34, s13
	s_cbranch_execnz .LBB6_2364
	s_branch .LBB6_2365
.LBB6_2859:                             ;   in Loop: Header=BB6_2329 Depth=4
	s_mov_b32 s13, -1
	s_mov_b32 s36, exec_lo
                                        ; implicit-def: $sgpr34
	v_cmpx_eq_u16_e32 0x80, v104
; %bb.2860:                             ;   in Loop: Header=BB6_2329 Depth=4
	s_mov_b32 s34, 0x7f800001
	s_xor_b32 s13, exec_lo, -1
; %bb.2861:                             ;   in Loop: Header=BB6_2329 Depth=4
	s_or_b32 exec_lo, exec_lo, s36
	s_delay_alu instid0(SALU_CYCLE_1)
	s_and_b32 s13, s13, exec_lo
                                        ; implicit-def: $vgpr104
	s_or_saveexec_b32 s35, s35
	v_mov_b32_e32 v94, s34
	s_xor_b32 exec_lo, exec_lo, s35
	s_cbranch_execz .LBB6_2367
.LBB6_2862:                             ;   in Loop: Header=BB6_2329 Depth=4
	v_cmp_ne_u16_e32 vcc_lo, 0, v104
	v_mov_b32_e32 v94, 0
	s_and_not1_b32 s13, s13, exec_lo
	s_and_b32 vcc_lo, vcc_lo, exec_lo
	s_delay_alu instid0(SALU_CYCLE_1)
	s_or_b32 s13, s13, vcc_lo
	s_or_b32 exec_lo, exec_lo, s35
	s_and_saveexec_b32 s34, s13
	s_cbranch_execnz .LBB6_2368
	s_branch .LBB6_2369
.LBB6_2863:                             ;   in Loop: Header=BB6_2329 Depth=4
	s_mov_b32 s13, -1
	s_mov_b32 s36, exec_lo
                                        ; implicit-def: $sgpr34
	v_cmpx_eq_u16_e32 0x80, v95
; %bb.2864:                             ;   in Loop: Header=BB6_2329 Depth=4
	s_mov_b32 s34, 0x7f800001
	s_xor_b32 s13, exec_lo, -1
; %bb.2865:                             ;   in Loop: Header=BB6_2329 Depth=4
	s_or_b32 exec_lo, exec_lo, s36
	s_delay_alu instid0(SALU_CYCLE_1)
	s_and_b32 s13, s13, exec_lo
                                        ; implicit-def: $vgpr95
	s_or_saveexec_b32 s35, s35
	v_mov_b32_e32 v94, s34
	s_xor_b32 exec_lo, exec_lo, s35
	s_cbranch_execz .LBB6_2379
.LBB6_2866:                             ;   in Loop: Header=BB6_2329 Depth=4
	v_cmp_ne_u16_e32 vcc_lo, 0, v95
	v_mov_b32_e32 v94, 0
	s_and_not1_b32 s13, s13, exec_lo
	s_and_b32 vcc_lo, vcc_lo, exec_lo
	s_delay_alu instid0(SALU_CYCLE_1)
	s_or_b32 s13, s13, vcc_lo
	s_or_b32 exec_lo, exec_lo, s35
	s_and_saveexec_b32 s34, s13
	s_cbranch_execnz .LBB6_2380
	s_branch .LBB6_2381
.LBB6_2867:                             ;   in Loop: Header=BB6_2329 Depth=4
	s_mov_b32 s13, -1
	s_mov_b32 s36, exec_lo
                                        ; implicit-def: $sgpr34
	v_cmpx_eq_u16_e32 0x80, v95
; %bb.2868:                             ;   in Loop: Header=BB6_2329 Depth=4
	s_mov_b32 s34, 0x7f800001
	s_xor_b32 s13, exec_lo, -1
; %bb.2869:                             ;   in Loop: Header=BB6_2329 Depth=4
	s_or_b32 exec_lo, exec_lo, s36
	s_delay_alu instid0(SALU_CYCLE_1)
	s_and_b32 s13, s13, exec_lo
                                        ; implicit-def: $vgpr95
	s_or_saveexec_b32 s35, s35
	v_mov_b32_e32 v93, s34
	s_xor_b32 exec_lo, exec_lo, s35
	s_cbranch_execz .LBB6_2383
.LBB6_2870:                             ;   in Loop: Header=BB6_2329 Depth=4
	v_cmp_ne_u16_e32 vcc_lo, 0, v95
	v_mov_b32_e32 v93, 0
	s_and_not1_b32 s13, s13, exec_lo
	s_and_b32 vcc_lo, vcc_lo, exec_lo
	s_delay_alu instid0(SALU_CYCLE_1)
	s_or_b32 s13, s13, vcc_lo
	s_or_b32 exec_lo, exec_lo, s35
	s_and_saveexec_b32 s34, s13
	s_cbranch_execnz .LBB6_2384
	s_branch .LBB6_2385
.LBB6_2871:                             ;   in Loop: Header=BB6_2329 Depth=4
	s_mov_b32 s13, -1
	s_mov_b32 s36, exec_lo
                                        ; implicit-def: $sgpr34
	v_cmpx_eq_u16_e32 0x80, v94
; %bb.2872:                             ;   in Loop: Header=BB6_2329 Depth=4
	s_mov_b32 s34, 0x7f800001
	s_xor_b32 s13, exec_lo, -1
; %bb.2873:                             ;   in Loop: Header=BB6_2329 Depth=4
	s_or_b32 exec_lo, exec_lo, s36
	s_delay_alu instid0(SALU_CYCLE_1)
	s_and_b32 s13, s13, exec_lo
                                        ; implicit-def: $vgpr94
	s_or_saveexec_b32 s35, s35
	v_mov_b32_e32 v93, s34
	s_xor_b32 exec_lo, exec_lo, s35
	s_cbranch_execz .LBB6_2395
.LBB6_2874:                             ;   in Loop: Header=BB6_2329 Depth=4
	v_cmp_ne_u16_e32 vcc_lo, 0, v94
	v_mov_b32_e32 v93, 0
	s_and_not1_b32 s13, s13, exec_lo
	s_and_b32 vcc_lo, vcc_lo, exec_lo
	s_delay_alu instid0(SALU_CYCLE_1)
	s_or_b32 s13, s13, vcc_lo
	s_or_b32 exec_lo, exec_lo, s35
	s_and_saveexec_b32 s34, s13
	s_cbranch_execnz .LBB6_2396
	s_branch .LBB6_2397
.LBB6_2875:                             ;   in Loop: Header=BB6_2329 Depth=4
	s_mov_b32 s13, -1
	s_mov_b32 s36, exec_lo
                                        ; implicit-def: $sgpr34
	v_cmpx_eq_u16_e32 0x80, v94
; %bb.2876:                             ;   in Loop: Header=BB6_2329 Depth=4
	s_mov_b32 s34, 0x7f800001
	s_xor_b32 s13, exec_lo, -1
; %bb.2877:                             ;   in Loop: Header=BB6_2329 Depth=4
	s_or_b32 exec_lo, exec_lo, s36
	s_delay_alu instid0(SALU_CYCLE_1)
	s_and_b32 s13, s13, exec_lo
                                        ; implicit-def: $vgpr94
	s_or_saveexec_b32 s35, s35
	v_mov_b32_e32 v92, s34
	s_xor_b32 exec_lo, exec_lo, s35
	s_cbranch_execz .LBB6_2399
.LBB6_2878:                             ;   in Loop: Header=BB6_2329 Depth=4
	v_cmp_ne_u16_e32 vcc_lo, 0, v94
	v_mov_b32_e32 v92, 0
	s_and_not1_b32 s13, s13, exec_lo
	s_and_b32 vcc_lo, vcc_lo, exec_lo
	s_delay_alu instid0(SALU_CYCLE_1)
	s_or_b32 s13, s13, vcc_lo
	s_or_b32 exec_lo, exec_lo, s35
	s_and_saveexec_b32 s34, s13
	s_cbranch_execnz .LBB6_2400
	s_branch .LBB6_2401
.LBB6_2879:                             ;   in Loop: Header=BB6_2329 Depth=4
	s_mov_b32 s13, -1
	s_mov_b32 s36, exec_lo
                                        ; implicit-def: $sgpr34
	v_cmpx_eq_u16_e32 0x80, v93
; %bb.2880:                             ;   in Loop: Header=BB6_2329 Depth=4
	s_mov_b32 s34, 0x7f800001
	s_xor_b32 s13, exec_lo, -1
; %bb.2881:                             ;   in Loop: Header=BB6_2329 Depth=4
	s_or_b32 exec_lo, exec_lo, s36
	s_delay_alu instid0(SALU_CYCLE_1)
	s_and_b32 s13, s13, exec_lo
                                        ; implicit-def: $vgpr93
	s_or_saveexec_b32 s35, s35
	v_mov_b32_e32 v92, s34
	s_xor_b32 exec_lo, exec_lo, s35
	s_cbranch_execz .LBB6_2411
.LBB6_2882:                             ;   in Loop: Header=BB6_2329 Depth=4
	v_cmp_ne_u16_e32 vcc_lo, 0, v93
	v_mov_b32_e32 v92, 0
	s_and_not1_b32 s13, s13, exec_lo
	s_and_b32 vcc_lo, vcc_lo, exec_lo
	s_delay_alu instid0(SALU_CYCLE_1)
	s_or_b32 s13, s13, vcc_lo
	s_or_b32 exec_lo, exec_lo, s35
	s_and_saveexec_b32 s34, s13
	s_cbranch_execnz .LBB6_2412
	s_branch .LBB6_2413
.LBB6_2883:                             ;   in Loop: Header=BB6_2329 Depth=4
	s_mov_b32 s13, -1
	s_mov_b32 s36, exec_lo
                                        ; implicit-def: $sgpr34
	v_cmpx_eq_u16_e32 0x80, v93
; %bb.2884:                             ;   in Loop: Header=BB6_2329 Depth=4
	s_mov_b32 s34, 0x7f800001
	s_xor_b32 s13, exec_lo, -1
; %bb.2885:                             ;   in Loop: Header=BB6_2329 Depth=4
	s_or_b32 exec_lo, exec_lo, s36
	s_delay_alu instid0(SALU_CYCLE_1)
	s_and_b32 s13, s13, exec_lo
                                        ; implicit-def: $vgpr93
	s_or_saveexec_b32 s35, s35
	v_mov_b32_e32 v91, s34
	s_xor_b32 exec_lo, exec_lo, s35
	s_cbranch_execz .LBB6_2415
.LBB6_2886:                             ;   in Loop: Header=BB6_2329 Depth=4
	v_cmp_ne_u16_e32 vcc_lo, 0, v93
	v_mov_b32_e32 v91, 0
	s_and_not1_b32 s13, s13, exec_lo
	s_and_b32 vcc_lo, vcc_lo, exec_lo
	s_delay_alu instid0(SALU_CYCLE_1)
	s_or_b32 s13, s13, vcc_lo
	s_or_b32 exec_lo, exec_lo, s35
	s_and_saveexec_b32 s34, s13
	s_cbranch_execnz .LBB6_2416
	s_branch .LBB6_2417
.LBB6_2887:                             ;   in Loop: Header=BB6_2329 Depth=4
	s_mov_b32 s13, -1
	s_mov_b32 s36, exec_lo
                                        ; implicit-def: $sgpr34
	v_cmpx_eq_u16_e32 0x80, v92
; %bb.2888:                             ;   in Loop: Header=BB6_2329 Depth=4
	s_mov_b32 s34, 0x7f800001
	s_xor_b32 s13, exec_lo, -1
; %bb.2889:                             ;   in Loop: Header=BB6_2329 Depth=4
	s_or_b32 exec_lo, exec_lo, s36
	s_delay_alu instid0(SALU_CYCLE_1)
	s_and_b32 s13, s13, exec_lo
                                        ; implicit-def: $vgpr92
	s_or_saveexec_b32 s35, s35
	v_mov_b32_e32 v91, s34
	s_xor_b32 exec_lo, exec_lo, s35
	s_cbranch_execz .LBB6_2427
.LBB6_2890:                             ;   in Loop: Header=BB6_2329 Depth=4
	v_cmp_ne_u16_e32 vcc_lo, 0, v92
	v_mov_b32_e32 v91, 0
	s_and_not1_b32 s13, s13, exec_lo
	s_and_b32 vcc_lo, vcc_lo, exec_lo
	s_delay_alu instid0(SALU_CYCLE_1)
	s_or_b32 s13, s13, vcc_lo
	s_or_b32 exec_lo, exec_lo, s35
	s_and_saveexec_b32 s34, s13
	s_cbranch_execnz .LBB6_2428
	s_branch .LBB6_2429
.LBB6_2891:                             ;   in Loop: Header=BB6_2329 Depth=4
	s_mov_b32 s13, -1
	s_mov_b32 s36, exec_lo
                                        ; implicit-def: $sgpr34
	v_cmpx_eq_u16_e32 0x80, v92
; %bb.2892:                             ;   in Loop: Header=BB6_2329 Depth=4
	s_mov_b32 s34, 0x7f800001
	s_xor_b32 s13, exec_lo, -1
; %bb.2893:                             ;   in Loop: Header=BB6_2329 Depth=4
	s_or_b32 exec_lo, exec_lo, s36
	s_delay_alu instid0(SALU_CYCLE_1)
	s_and_b32 s13, s13, exec_lo
                                        ; implicit-def: $vgpr92
	s_or_saveexec_b32 s35, s35
	v_mov_b32_e32 v90, s34
	s_xor_b32 exec_lo, exec_lo, s35
	s_cbranch_execz .LBB6_2431
.LBB6_2894:                             ;   in Loop: Header=BB6_2329 Depth=4
	v_cmp_ne_u16_e32 vcc_lo, 0, v92
	v_mov_b32_e32 v90, 0
	s_and_not1_b32 s13, s13, exec_lo
	s_and_b32 vcc_lo, vcc_lo, exec_lo
	s_delay_alu instid0(SALU_CYCLE_1)
	s_or_b32 s13, s13, vcc_lo
	s_or_b32 exec_lo, exec_lo, s35
	s_and_saveexec_b32 s34, s13
	s_cbranch_execnz .LBB6_2432
	s_branch .LBB6_2433
.LBB6_2895:                             ;   in Loop: Header=BB6_2329 Depth=4
	s_mov_b32 s13, -1
	s_mov_b32 s36, exec_lo
                                        ; implicit-def: $sgpr34
	v_cmpx_eq_u16_e32 0x80, v91
; %bb.2896:                             ;   in Loop: Header=BB6_2329 Depth=4
	s_mov_b32 s34, 0x7f800001
	s_xor_b32 s13, exec_lo, -1
; %bb.2897:                             ;   in Loop: Header=BB6_2329 Depth=4
	s_or_b32 exec_lo, exec_lo, s36
	s_delay_alu instid0(SALU_CYCLE_1)
	s_and_b32 s13, s13, exec_lo
                                        ; implicit-def: $vgpr91
	s_or_saveexec_b32 s35, s35
	v_mov_b32_e32 v90, s34
	s_xor_b32 exec_lo, exec_lo, s35
	s_cbranch_execz .LBB6_2443
.LBB6_2898:                             ;   in Loop: Header=BB6_2329 Depth=4
	v_cmp_ne_u16_e32 vcc_lo, 0, v91
	v_mov_b32_e32 v90, 0
	s_and_not1_b32 s13, s13, exec_lo
	s_and_b32 vcc_lo, vcc_lo, exec_lo
	s_delay_alu instid0(SALU_CYCLE_1)
	s_or_b32 s13, s13, vcc_lo
	s_or_b32 exec_lo, exec_lo, s35
	s_and_saveexec_b32 s34, s13
	s_cbranch_execnz .LBB6_2444
	s_branch .LBB6_2445
.LBB6_2899:                             ;   in Loop: Header=BB6_2329 Depth=4
	s_mov_b32 s13, -1
	s_mov_b32 s36, exec_lo
                                        ; implicit-def: $sgpr34
	v_cmpx_eq_u16_e32 0x80, v91
; %bb.2900:                             ;   in Loop: Header=BB6_2329 Depth=4
	s_mov_b32 s34, 0x7f800001
	s_xor_b32 s13, exec_lo, -1
; %bb.2901:                             ;   in Loop: Header=BB6_2329 Depth=4
	s_or_b32 exec_lo, exec_lo, s36
	s_delay_alu instid0(SALU_CYCLE_1)
	s_and_b32 s13, s13, exec_lo
                                        ; implicit-def: $vgpr91
	s_or_saveexec_b32 s35, s35
	v_mov_b32_e32 v89, s34
	s_xor_b32 exec_lo, exec_lo, s35
	s_cbranch_execz .LBB6_2447
.LBB6_2902:                             ;   in Loop: Header=BB6_2329 Depth=4
	v_cmp_ne_u16_e32 vcc_lo, 0, v91
	v_mov_b32_e32 v89, 0
	s_and_not1_b32 s13, s13, exec_lo
	s_and_b32 vcc_lo, vcc_lo, exec_lo
	s_delay_alu instid0(SALU_CYCLE_1)
	s_or_b32 s13, s13, vcc_lo
	s_or_b32 exec_lo, exec_lo, s35
	s_and_saveexec_b32 s34, s13
	s_cbranch_execnz .LBB6_2448
	s_branch .LBB6_2449
.LBB6_2903:                             ;   in Loop: Header=BB6_2329 Depth=4
	s_mov_b32 s13, -1
	s_mov_b32 s36, exec_lo
                                        ; implicit-def: $sgpr34
	v_cmpx_eq_u16_e32 0x80, v90
; %bb.2904:                             ;   in Loop: Header=BB6_2329 Depth=4
	s_mov_b32 s34, 0x7f800001
	s_xor_b32 s13, exec_lo, -1
; %bb.2905:                             ;   in Loop: Header=BB6_2329 Depth=4
	s_or_b32 exec_lo, exec_lo, s36
	s_delay_alu instid0(SALU_CYCLE_1)
	s_and_b32 s13, s13, exec_lo
                                        ; implicit-def: $vgpr90
	s_or_saveexec_b32 s35, s35
	v_mov_b32_e32 v89, s34
	s_xor_b32 exec_lo, exec_lo, s35
	s_cbranch_execz .LBB6_2459
.LBB6_2906:                             ;   in Loop: Header=BB6_2329 Depth=4
	v_cmp_ne_u16_e32 vcc_lo, 0, v90
	v_mov_b32_e32 v89, 0
	s_and_not1_b32 s13, s13, exec_lo
	s_and_b32 vcc_lo, vcc_lo, exec_lo
	s_delay_alu instid0(SALU_CYCLE_1)
	s_or_b32 s13, s13, vcc_lo
	s_or_b32 exec_lo, exec_lo, s35
	s_and_saveexec_b32 s34, s13
	s_cbranch_execnz .LBB6_2460
	s_branch .LBB6_2461
.LBB6_2907:                             ;   in Loop: Header=BB6_2329 Depth=4
	s_mov_b32 s13, -1
	s_mov_b32 s36, exec_lo
                                        ; implicit-def: $sgpr34
	v_cmpx_eq_u16_e32 0x80, v90
; %bb.2908:                             ;   in Loop: Header=BB6_2329 Depth=4
	s_mov_b32 s34, 0x7f800001
	s_xor_b32 s13, exec_lo, -1
; %bb.2909:                             ;   in Loop: Header=BB6_2329 Depth=4
	s_or_b32 exec_lo, exec_lo, s36
	s_delay_alu instid0(SALU_CYCLE_1)
	s_and_b32 s13, s13, exec_lo
                                        ; implicit-def: $vgpr90
	s_or_saveexec_b32 s35, s35
	v_mov_b32_e32 v88, s34
	s_xor_b32 exec_lo, exec_lo, s35
	s_cbranch_execz .LBB6_2463
.LBB6_2910:                             ;   in Loop: Header=BB6_2329 Depth=4
	v_cmp_ne_u16_e32 vcc_lo, 0, v90
	v_mov_b32_e32 v88, 0
	s_and_not1_b32 s13, s13, exec_lo
	s_and_b32 vcc_lo, vcc_lo, exec_lo
	s_delay_alu instid0(SALU_CYCLE_1)
	s_or_b32 s13, s13, vcc_lo
	s_or_b32 exec_lo, exec_lo, s35
	s_and_saveexec_b32 s34, s13
	s_cbranch_execnz .LBB6_2464
	s_branch .LBB6_2465
.LBB6_2911:                             ;   in Loop: Header=BB6_2329 Depth=4
	s_mov_b32 s13, -1
	s_mov_b32 s36, exec_lo
                                        ; implicit-def: $sgpr34
	v_cmpx_eq_u16_e32 0x80, v89
; %bb.2912:                             ;   in Loop: Header=BB6_2329 Depth=4
	s_mov_b32 s34, 0x7f800001
	s_xor_b32 s13, exec_lo, -1
; %bb.2913:                             ;   in Loop: Header=BB6_2329 Depth=4
	s_or_b32 exec_lo, exec_lo, s36
	s_delay_alu instid0(SALU_CYCLE_1)
	s_and_b32 s13, s13, exec_lo
                                        ; implicit-def: $vgpr89
	s_or_saveexec_b32 s35, s35
	v_mov_b32_e32 v88, s34
	s_xor_b32 exec_lo, exec_lo, s35
	s_cbranch_execz .LBB6_2475
.LBB6_2914:                             ;   in Loop: Header=BB6_2329 Depth=4
	v_cmp_ne_u16_e32 vcc_lo, 0, v89
	v_mov_b32_e32 v88, 0
	s_and_not1_b32 s13, s13, exec_lo
	s_and_b32 vcc_lo, vcc_lo, exec_lo
	s_delay_alu instid0(SALU_CYCLE_1)
	s_or_b32 s13, s13, vcc_lo
	s_or_b32 exec_lo, exec_lo, s35
	s_and_saveexec_b32 s34, s13
	s_cbranch_execnz .LBB6_2476
	s_branch .LBB6_2477
.LBB6_2915:                             ;   in Loop: Header=BB6_2329 Depth=4
	s_mov_b32 s13, -1
	s_mov_b32 s36, exec_lo
                                        ; implicit-def: $sgpr34
	v_cmpx_eq_u16_e32 0x80, v89
; %bb.2916:                             ;   in Loop: Header=BB6_2329 Depth=4
	s_mov_b32 s34, 0x7f800001
	s_xor_b32 s13, exec_lo, -1
; %bb.2917:                             ;   in Loop: Header=BB6_2329 Depth=4
	s_or_b32 exec_lo, exec_lo, s36
	s_delay_alu instid0(SALU_CYCLE_1)
	s_and_b32 s13, s13, exec_lo
                                        ; implicit-def: $vgpr89
	s_or_saveexec_b32 s35, s35
	v_mov_b32_e32 v79, s34
	s_xor_b32 exec_lo, exec_lo, s35
	s_cbranch_execz .LBB6_2479
.LBB6_2918:                             ;   in Loop: Header=BB6_2329 Depth=4
	v_cmp_ne_u16_e32 vcc_lo, 0, v89
	v_mov_b32_e32 v79, 0
	s_and_not1_b32 s13, s13, exec_lo
	s_and_b32 vcc_lo, vcc_lo, exec_lo
	s_delay_alu instid0(SALU_CYCLE_1)
	s_or_b32 s13, s13, vcc_lo
	s_or_b32 exec_lo, exec_lo, s35
	s_and_saveexec_b32 s34, s13
	s_cbranch_execnz .LBB6_2480
	s_branch .LBB6_2481
.LBB6_2919:                             ;   in Loop: Header=BB6_2329 Depth=4
	s_mov_b32 s13, -1
	s_mov_b32 s36, exec_lo
                                        ; implicit-def: $sgpr34
	v_cmpx_eq_u16_e32 0x80, v88
; %bb.2920:                             ;   in Loop: Header=BB6_2329 Depth=4
	s_mov_b32 s34, 0x7f800001
	s_xor_b32 s13, exec_lo, -1
; %bb.2921:                             ;   in Loop: Header=BB6_2329 Depth=4
	s_or_b32 exec_lo, exec_lo, s36
	s_delay_alu instid0(SALU_CYCLE_1)
	s_and_b32 s13, s13, exec_lo
                                        ; implicit-def: $vgpr88
	s_or_saveexec_b32 s35, s35
	v_mov_b32_e32 v79, s34
	s_xor_b32 exec_lo, exec_lo, s35
	s_cbranch_execz .LBB6_2491
.LBB6_2922:                             ;   in Loop: Header=BB6_2329 Depth=4
	v_cmp_ne_u16_e32 vcc_lo, 0, v88
	v_mov_b32_e32 v79, 0
	s_and_not1_b32 s13, s13, exec_lo
	s_and_b32 vcc_lo, vcc_lo, exec_lo
	s_delay_alu instid0(SALU_CYCLE_1)
	s_or_b32 s13, s13, vcc_lo
	s_or_b32 exec_lo, exec_lo, s35
	s_and_saveexec_b32 s34, s13
	s_cbranch_execnz .LBB6_2492
	s_branch .LBB6_2493
.LBB6_2923:                             ;   in Loop: Header=BB6_2329 Depth=4
	s_mov_b32 s13, -1
	s_mov_b32 s36, exec_lo
                                        ; implicit-def: $sgpr34
	v_cmpx_eq_u16_e32 0x80, v88
; %bb.2924:                             ;   in Loop: Header=BB6_2329 Depth=4
	s_mov_b32 s34, 0x7f800001
	s_xor_b32 s13, exec_lo, -1
; %bb.2925:                             ;   in Loop: Header=BB6_2329 Depth=4
	s_or_b32 exec_lo, exec_lo, s36
	s_delay_alu instid0(SALU_CYCLE_1)
	s_and_b32 s13, s13, exec_lo
                                        ; implicit-def: $vgpr88
	s_or_saveexec_b32 s35, s35
	v_mov_b32_e32 v78, s34
	s_xor_b32 exec_lo, exec_lo, s35
	s_cbranch_execz .LBB6_2495
.LBB6_2926:                             ;   in Loop: Header=BB6_2329 Depth=4
	v_cmp_ne_u16_e32 vcc_lo, 0, v88
	v_mov_b32_e32 v78, 0
	s_and_not1_b32 s13, s13, exec_lo
	s_and_b32 vcc_lo, vcc_lo, exec_lo
	s_delay_alu instid0(SALU_CYCLE_1)
	s_or_b32 s13, s13, vcc_lo
	s_or_b32 exec_lo, exec_lo, s35
	s_and_saveexec_b32 s34, s13
	s_cbranch_execnz .LBB6_2496
	s_branch .LBB6_2497
.LBB6_2927:                             ;   in Loop: Header=BB6_2329 Depth=4
	s_mov_b32 s13, -1
	s_mov_b32 s36, exec_lo
                                        ; implicit-def: $sgpr34
	v_cmpx_eq_u16_e32 0x80, v79
; %bb.2928:                             ;   in Loop: Header=BB6_2329 Depth=4
	s_mov_b32 s34, 0x7f800001
	s_xor_b32 s13, exec_lo, -1
; %bb.2929:                             ;   in Loop: Header=BB6_2329 Depth=4
	s_or_b32 exec_lo, exec_lo, s36
	s_delay_alu instid0(SALU_CYCLE_1)
	s_and_b32 s13, s13, exec_lo
                                        ; implicit-def: $vgpr79
	s_or_saveexec_b32 s35, s35
	v_mov_b32_e32 v78, s34
	s_xor_b32 exec_lo, exec_lo, s35
	s_cbranch_execz .LBB6_2507
.LBB6_2930:                             ;   in Loop: Header=BB6_2329 Depth=4
	v_cmp_ne_u16_e32 vcc_lo, 0, v79
	v_mov_b32_e32 v78, 0
	s_and_not1_b32 s13, s13, exec_lo
	s_and_b32 vcc_lo, vcc_lo, exec_lo
	s_delay_alu instid0(SALU_CYCLE_1)
	s_or_b32 s13, s13, vcc_lo
	s_or_b32 exec_lo, exec_lo, s35
	s_and_saveexec_b32 s34, s13
	s_cbranch_execnz .LBB6_2508
	s_branch .LBB6_2509
.LBB6_2931:                             ;   in Loop: Header=BB6_2329 Depth=4
	s_mov_b32 s13, -1
	s_mov_b32 s36, exec_lo
                                        ; implicit-def: $sgpr34
	v_cmpx_eq_u16_e32 0x80, v79
; %bb.2932:                             ;   in Loop: Header=BB6_2329 Depth=4
	s_mov_b32 s34, 0x7f800001
	s_xor_b32 s13, exec_lo, -1
; %bb.2933:                             ;   in Loop: Header=BB6_2329 Depth=4
	s_or_b32 exec_lo, exec_lo, s36
	s_delay_alu instid0(SALU_CYCLE_1)
	s_and_b32 s13, s13, exec_lo
                                        ; implicit-def: $vgpr79
	s_or_saveexec_b32 s35, s35
	v_mov_b32_e32 v77, s34
	s_xor_b32 exec_lo, exec_lo, s35
	s_cbranch_execz .LBB6_2511
.LBB6_2934:                             ;   in Loop: Header=BB6_2329 Depth=4
	v_cmp_ne_u16_e32 vcc_lo, 0, v79
	v_mov_b32_e32 v77, 0
	s_and_not1_b32 s13, s13, exec_lo
	s_and_b32 vcc_lo, vcc_lo, exec_lo
	s_delay_alu instid0(SALU_CYCLE_1)
	s_or_b32 s13, s13, vcc_lo
	s_or_b32 exec_lo, exec_lo, s35
	s_and_saveexec_b32 s34, s13
	s_cbranch_execnz .LBB6_2512
	s_branch .LBB6_2513
.LBB6_2935:                             ;   in Loop: Header=BB6_2329 Depth=4
	s_mov_b32 s13, -1
	s_mov_b32 s36, exec_lo
                                        ; implicit-def: $sgpr34
	v_cmpx_eq_u16_e32 0x80, v78
; %bb.2936:                             ;   in Loop: Header=BB6_2329 Depth=4
	s_mov_b32 s34, 0x7f800001
	s_xor_b32 s13, exec_lo, -1
; %bb.2937:                             ;   in Loop: Header=BB6_2329 Depth=4
	s_or_b32 exec_lo, exec_lo, s36
	s_delay_alu instid0(SALU_CYCLE_1)
	s_and_b32 s13, s13, exec_lo
                                        ; implicit-def: $vgpr78
	s_or_saveexec_b32 s35, s35
	v_mov_b32_e32 v77, s34
	s_xor_b32 exec_lo, exec_lo, s35
	s_cbranch_execz .LBB6_2523
.LBB6_2938:                             ;   in Loop: Header=BB6_2329 Depth=4
	v_cmp_ne_u16_e32 vcc_lo, 0, v78
	v_mov_b32_e32 v77, 0
	s_and_not1_b32 s13, s13, exec_lo
	s_and_b32 vcc_lo, vcc_lo, exec_lo
	s_delay_alu instid0(SALU_CYCLE_1)
	s_or_b32 s13, s13, vcc_lo
	s_or_b32 exec_lo, exec_lo, s35
	s_and_saveexec_b32 s34, s13
	s_cbranch_execnz .LBB6_2524
	s_branch .LBB6_2525
.LBB6_2939:                             ;   in Loop: Header=BB6_2329 Depth=4
	s_mov_b32 s13, -1
	s_mov_b32 s36, exec_lo
                                        ; implicit-def: $sgpr34
	v_cmpx_eq_u16_e32 0x80, v78
; %bb.2940:                             ;   in Loop: Header=BB6_2329 Depth=4
	s_mov_b32 s34, 0x7f800001
	s_xor_b32 s13, exec_lo, -1
; %bb.2941:                             ;   in Loop: Header=BB6_2329 Depth=4
	s_or_b32 exec_lo, exec_lo, s36
	s_delay_alu instid0(SALU_CYCLE_1)
	s_and_b32 s13, s13, exec_lo
                                        ; implicit-def: $vgpr78
	s_or_saveexec_b32 s35, s35
	v_mov_b32_e32 v76, s34
	s_xor_b32 exec_lo, exec_lo, s35
	s_cbranch_execz .LBB6_2527
.LBB6_2942:                             ;   in Loop: Header=BB6_2329 Depth=4
	v_cmp_ne_u16_e32 vcc_lo, 0, v78
	v_mov_b32_e32 v76, 0
	s_and_not1_b32 s13, s13, exec_lo
	s_and_b32 vcc_lo, vcc_lo, exec_lo
	s_delay_alu instid0(SALU_CYCLE_1)
	s_or_b32 s13, s13, vcc_lo
	s_or_b32 exec_lo, exec_lo, s35
	s_and_saveexec_b32 s34, s13
	s_cbranch_execnz .LBB6_2528
	s_branch .LBB6_2529
.LBB6_2943:                             ;   in Loop: Header=BB6_2329 Depth=4
	s_mov_b32 s13, -1
	s_mov_b32 s36, exec_lo
                                        ; implicit-def: $sgpr34
	v_cmpx_eq_u16_e32 0x80, v77
; %bb.2944:                             ;   in Loop: Header=BB6_2329 Depth=4
	s_mov_b32 s34, 0x7f800001
	s_xor_b32 s13, exec_lo, -1
; %bb.2945:                             ;   in Loop: Header=BB6_2329 Depth=4
	s_or_b32 exec_lo, exec_lo, s36
	s_delay_alu instid0(SALU_CYCLE_1)
	s_and_b32 s13, s13, exec_lo
                                        ; implicit-def: $vgpr77
	s_or_saveexec_b32 s35, s35
	v_mov_b32_e32 v76, s34
	s_xor_b32 exec_lo, exec_lo, s35
	s_cbranch_execz .LBB6_2539
.LBB6_2946:                             ;   in Loop: Header=BB6_2329 Depth=4
	v_cmp_ne_u16_e32 vcc_lo, 0, v77
	v_mov_b32_e32 v76, 0
	s_and_not1_b32 s13, s13, exec_lo
	s_and_b32 vcc_lo, vcc_lo, exec_lo
	s_delay_alu instid0(SALU_CYCLE_1)
	s_or_b32 s13, s13, vcc_lo
	s_or_b32 exec_lo, exec_lo, s35
	s_and_saveexec_b32 s34, s13
	s_cbranch_execnz .LBB6_2540
	s_branch .LBB6_2541
.LBB6_2947:                             ;   in Loop: Header=BB6_2329 Depth=4
	s_mov_b32 s13, -1
	s_mov_b32 s36, exec_lo
                                        ; implicit-def: $sgpr34
	v_cmpx_eq_u16_e32 0x80, v77
; %bb.2948:                             ;   in Loop: Header=BB6_2329 Depth=4
	s_mov_b32 s34, 0x7f800001
	s_xor_b32 s13, exec_lo, -1
; %bb.2949:                             ;   in Loop: Header=BB6_2329 Depth=4
	s_or_b32 exec_lo, exec_lo, s36
	s_delay_alu instid0(SALU_CYCLE_1)
	s_and_b32 s13, s13, exec_lo
                                        ; implicit-def: $vgpr77
	s_or_saveexec_b32 s35, s35
	v_mov_b32_e32 v75, s34
	s_xor_b32 exec_lo, exec_lo, s35
	s_cbranch_execz .LBB6_2543
.LBB6_2950:                             ;   in Loop: Header=BB6_2329 Depth=4
	v_cmp_ne_u16_e32 vcc_lo, 0, v77
	v_mov_b32_e32 v75, 0
	s_and_not1_b32 s13, s13, exec_lo
	s_and_b32 vcc_lo, vcc_lo, exec_lo
	s_delay_alu instid0(SALU_CYCLE_1)
	s_or_b32 s13, s13, vcc_lo
	s_or_b32 exec_lo, exec_lo, s35
	s_and_saveexec_b32 s34, s13
	s_cbranch_execnz .LBB6_2544
	s_branch .LBB6_2545
.LBB6_2951:                             ;   in Loop: Header=BB6_2329 Depth=4
	s_mov_b32 s13, -1
	s_mov_b32 s36, exec_lo
                                        ; implicit-def: $sgpr34
	v_cmpx_eq_u16_e32 0x80, v76
; %bb.2952:                             ;   in Loop: Header=BB6_2329 Depth=4
	s_mov_b32 s34, 0x7f800001
	s_xor_b32 s13, exec_lo, -1
; %bb.2953:                             ;   in Loop: Header=BB6_2329 Depth=4
	s_or_b32 exec_lo, exec_lo, s36
	s_delay_alu instid0(SALU_CYCLE_1)
	s_and_b32 s13, s13, exec_lo
                                        ; implicit-def: $vgpr76
	s_or_saveexec_b32 s35, s35
	v_mov_b32_e32 v75, s34
	s_xor_b32 exec_lo, exec_lo, s35
	s_cbranch_execz .LBB6_2555
.LBB6_2954:                             ;   in Loop: Header=BB6_2329 Depth=4
	v_cmp_ne_u16_e32 vcc_lo, 0, v76
	v_mov_b32_e32 v75, 0
	s_and_not1_b32 s13, s13, exec_lo
	s_and_b32 vcc_lo, vcc_lo, exec_lo
	s_delay_alu instid0(SALU_CYCLE_1)
	s_or_b32 s13, s13, vcc_lo
	s_or_b32 exec_lo, exec_lo, s35
	s_and_saveexec_b32 s34, s13
	s_cbranch_execnz .LBB6_2556
	s_branch .LBB6_2557
.LBB6_2955:                             ;   in Loop: Header=BB6_2329 Depth=4
	s_mov_b32 s13, -1
	s_mov_b32 s36, exec_lo
                                        ; implicit-def: $sgpr34
	v_cmpx_eq_u16_e32 0x80, v76
; %bb.2956:                             ;   in Loop: Header=BB6_2329 Depth=4
	s_mov_b32 s34, 0x7f800001
	s_xor_b32 s13, exec_lo, -1
; %bb.2957:                             ;   in Loop: Header=BB6_2329 Depth=4
	s_or_b32 exec_lo, exec_lo, s36
	s_delay_alu instid0(SALU_CYCLE_1)
	s_and_b32 s13, s13, exec_lo
                                        ; implicit-def: $vgpr76
	s_or_saveexec_b32 s35, s35
	v_mov_b32_e32 v74, s34
	s_xor_b32 exec_lo, exec_lo, s35
	s_cbranch_execz .LBB6_2559
.LBB6_2958:                             ;   in Loop: Header=BB6_2329 Depth=4
	v_cmp_ne_u16_e32 vcc_lo, 0, v76
	v_mov_b32_e32 v74, 0
	s_and_not1_b32 s13, s13, exec_lo
	s_and_b32 vcc_lo, vcc_lo, exec_lo
	s_delay_alu instid0(SALU_CYCLE_1)
	s_or_b32 s13, s13, vcc_lo
	s_or_b32 exec_lo, exec_lo, s35
	s_and_saveexec_b32 s34, s13
	s_cbranch_execnz .LBB6_2560
	s_branch .LBB6_2561
.LBB6_2959:                             ;   in Loop: Header=BB6_2329 Depth=4
	s_mov_b32 s13, -1
	s_mov_b32 s36, exec_lo
                                        ; implicit-def: $sgpr34
	v_cmpx_eq_u16_e32 0x80, v75
; %bb.2960:                             ;   in Loop: Header=BB6_2329 Depth=4
	s_mov_b32 s34, 0x7f800001
	s_xor_b32 s13, exec_lo, -1
; %bb.2961:                             ;   in Loop: Header=BB6_2329 Depth=4
	s_or_b32 exec_lo, exec_lo, s36
	s_delay_alu instid0(SALU_CYCLE_1)
	s_and_b32 s13, s13, exec_lo
                                        ; implicit-def: $vgpr75
	s_or_saveexec_b32 s35, s35
	v_mov_b32_e32 v74, s34
	s_xor_b32 exec_lo, exec_lo, s35
	s_cbranch_execz .LBB6_2571
.LBB6_2962:                             ;   in Loop: Header=BB6_2329 Depth=4
	v_cmp_ne_u16_e32 vcc_lo, 0, v75
	v_mov_b32_e32 v74, 0
	s_and_not1_b32 s13, s13, exec_lo
	s_and_b32 vcc_lo, vcc_lo, exec_lo
	s_delay_alu instid0(SALU_CYCLE_1)
	s_or_b32 s13, s13, vcc_lo
	s_or_b32 exec_lo, exec_lo, s35
	s_and_saveexec_b32 s34, s13
	s_cbranch_execnz .LBB6_2572
	s_branch .LBB6_2573
.LBB6_2963:                             ;   in Loop: Header=BB6_2329 Depth=4
	s_mov_b32 s13, -1
	s_mov_b32 s36, exec_lo
                                        ; implicit-def: $sgpr34
	v_cmpx_eq_u16_e32 0x80, v75
; %bb.2964:                             ;   in Loop: Header=BB6_2329 Depth=4
	s_mov_b32 s34, 0x7f800001
	s_xor_b32 s13, exec_lo, -1
; %bb.2965:                             ;   in Loop: Header=BB6_2329 Depth=4
	s_or_b32 exec_lo, exec_lo, s36
	s_delay_alu instid0(SALU_CYCLE_1)
	s_and_b32 s13, s13, exec_lo
                                        ; implicit-def: $vgpr75
	s_or_saveexec_b32 s35, s35
	v_mov_b32_e32 v73, s34
	s_xor_b32 exec_lo, exec_lo, s35
	s_cbranch_execz .LBB6_2575
.LBB6_2966:                             ;   in Loop: Header=BB6_2329 Depth=4
	v_cmp_ne_u16_e32 vcc_lo, 0, v75
	v_mov_b32_e32 v73, 0
	s_and_not1_b32 s13, s13, exec_lo
	s_and_b32 vcc_lo, vcc_lo, exec_lo
	s_delay_alu instid0(SALU_CYCLE_1)
	s_or_b32 s13, s13, vcc_lo
	s_or_b32 exec_lo, exec_lo, s35
	s_and_saveexec_b32 s34, s13
	s_cbranch_execnz .LBB6_2576
	s_branch .LBB6_2577
.LBB6_2967:                             ;   in Loop: Header=BB6_2329 Depth=4
	s_mov_b32 s13, -1
	s_mov_b32 s36, exec_lo
                                        ; implicit-def: $sgpr34
	v_cmpx_eq_u16_e32 0x80, v74
; %bb.2968:                             ;   in Loop: Header=BB6_2329 Depth=4
	s_mov_b32 s34, 0x7f800001
	s_xor_b32 s13, exec_lo, -1
; %bb.2969:                             ;   in Loop: Header=BB6_2329 Depth=4
	s_or_b32 exec_lo, exec_lo, s36
	s_delay_alu instid0(SALU_CYCLE_1)
	s_and_b32 s13, s13, exec_lo
                                        ; implicit-def: $vgpr74
	s_or_saveexec_b32 s35, s35
	v_mov_b32_e32 v73, s34
	s_xor_b32 exec_lo, exec_lo, s35
	s_cbranch_execz .LBB6_2587
.LBB6_2970:                             ;   in Loop: Header=BB6_2329 Depth=4
	v_cmp_ne_u16_e32 vcc_lo, 0, v74
	v_mov_b32_e32 v73, 0
	s_and_not1_b32 s13, s13, exec_lo
	s_and_b32 vcc_lo, vcc_lo, exec_lo
	s_delay_alu instid0(SALU_CYCLE_1)
	s_or_b32 s13, s13, vcc_lo
	s_or_b32 exec_lo, exec_lo, s35
	s_and_saveexec_b32 s34, s13
	s_cbranch_execnz .LBB6_2588
	s_branch .LBB6_2589
.LBB6_2971:                             ;   in Loop: Header=BB6_2329 Depth=4
	s_mov_b32 s13, -1
	s_mov_b32 s36, exec_lo
                                        ; implicit-def: $sgpr34
	v_cmpx_eq_u16_e32 0x80, v74
; %bb.2972:                             ;   in Loop: Header=BB6_2329 Depth=4
	s_mov_b32 s34, 0x7f800001
	s_xor_b32 s13, exec_lo, -1
; %bb.2973:                             ;   in Loop: Header=BB6_2329 Depth=4
	s_or_b32 exec_lo, exec_lo, s36
	s_delay_alu instid0(SALU_CYCLE_1)
	s_and_b32 s13, s13, exec_lo
                                        ; implicit-def: $vgpr74
	s_or_saveexec_b32 s35, s35
	v_mov_b32_e32 v63, s34
	s_xor_b32 exec_lo, exec_lo, s35
	s_cbranch_execz .LBB6_2591
.LBB6_2974:                             ;   in Loop: Header=BB6_2329 Depth=4
	v_cmp_ne_u16_e32 vcc_lo, 0, v74
	v_mov_b32_e32 v63, 0
	s_and_not1_b32 s13, s13, exec_lo
	s_and_b32 vcc_lo, vcc_lo, exec_lo
	s_delay_alu instid0(SALU_CYCLE_1)
	s_or_b32 s13, s13, vcc_lo
	s_or_b32 exec_lo, exec_lo, s35
	s_and_saveexec_b32 s34, s13
	s_cbranch_execnz .LBB6_2592
	s_branch .LBB6_2593
.LBB6_2975:                             ;   in Loop: Header=BB6_2329 Depth=4
	s_mov_b32 s13, -1
	s_mov_b32 s36, exec_lo
                                        ; implicit-def: $sgpr34
	v_cmpx_eq_u16_e32 0x80, v73
; %bb.2976:                             ;   in Loop: Header=BB6_2329 Depth=4
	s_mov_b32 s34, 0x7f800001
	s_xor_b32 s13, exec_lo, -1
; %bb.2977:                             ;   in Loop: Header=BB6_2329 Depth=4
	s_or_b32 exec_lo, exec_lo, s36
	s_delay_alu instid0(SALU_CYCLE_1)
	s_and_b32 s13, s13, exec_lo
                                        ; implicit-def: $vgpr73
	s_or_saveexec_b32 s35, s35
	v_mov_b32_e32 v63, s34
	s_xor_b32 exec_lo, exec_lo, s35
	s_cbranch_execz .LBB6_2603
.LBB6_2978:                             ;   in Loop: Header=BB6_2329 Depth=4
	v_cmp_ne_u16_e32 vcc_lo, 0, v73
	v_mov_b32_e32 v63, 0
	s_and_not1_b32 s13, s13, exec_lo
	s_and_b32 vcc_lo, vcc_lo, exec_lo
	s_delay_alu instid0(SALU_CYCLE_1)
	s_or_b32 s13, s13, vcc_lo
	s_or_b32 exec_lo, exec_lo, s35
	s_and_saveexec_b32 s34, s13
	s_cbranch_execnz .LBB6_2604
	s_branch .LBB6_2605
.LBB6_2979:                             ;   in Loop: Header=BB6_2329 Depth=4
	s_mov_b32 s13, -1
	s_mov_b32 s36, exec_lo
                                        ; implicit-def: $sgpr34
	v_cmpx_eq_u16_e32 0x80, v73
; %bb.2980:                             ;   in Loop: Header=BB6_2329 Depth=4
	s_mov_b32 s34, 0x7f800001
	s_xor_b32 s13, exec_lo, -1
; %bb.2981:                             ;   in Loop: Header=BB6_2329 Depth=4
	s_or_b32 exec_lo, exec_lo, s36
	s_delay_alu instid0(SALU_CYCLE_1)
	s_and_b32 s13, s13, exec_lo
                                        ; implicit-def: $vgpr73
	s_or_saveexec_b32 s35, s35
	v_mov_b32_e32 v60, s34
	s_xor_b32 exec_lo, exec_lo, s35
	s_cbranch_execz .LBB6_2607
.LBB6_2982:                             ;   in Loop: Header=BB6_2329 Depth=4
	v_cmp_ne_u16_e32 vcc_lo, 0, v73
	v_mov_b32_e32 v60, 0
	s_and_not1_b32 s13, s13, exec_lo
	s_and_b32 vcc_lo, vcc_lo, exec_lo
	s_delay_alu instid0(SALU_CYCLE_1)
	s_or_b32 s13, s13, vcc_lo
	s_or_b32 exec_lo, exec_lo, s35
	s_and_saveexec_b32 s34, s13
	s_cbranch_execnz .LBB6_2608
	s_branch .LBB6_2609
.LBB6_2983:                             ;   in Loop: Header=BB6_2329 Depth=4
	s_mov_b32 s13, -1
	s_mov_b32 s36, exec_lo
                                        ; implicit-def: $sgpr34
	v_cmpx_eq_u16_e32 0x80, v63
; %bb.2984:                             ;   in Loop: Header=BB6_2329 Depth=4
	s_mov_b32 s34, 0x7f800001
	s_xor_b32 s13, exec_lo, -1
; %bb.2985:                             ;   in Loop: Header=BB6_2329 Depth=4
	s_or_b32 exec_lo, exec_lo, s36
	s_delay_alu instid0(SALU_CYCLE_1)
	s_and_b32 s13, s13, exec_lo
                                        ; implicit-def: $vgpr63
	s_or_saveexec_b32 s35, s35
	v_mov_b32_e32 v60, s34
	s_xor_b32 exec_lo, exec_lo, s35
	s_cbranch_execz .LBB6_2619
.LBB6_2986:                             ;   in Loop: Header=BB6_2329 Depth=4
	v_cmp_ne_u16_e32 vcc_lo, 0, v63
	v_mov_b32_e32 v60, 0
	s_and_not1_b32 s13, s13, exec_lo
	s_and_b32 vcc_lo, vcc_lo, exec_lo
	s_delay_alu instid0(SALU_CYCLE_1)
	s_or_b32 s13, s13, vcc_lo
	s_or_b32 exec_lo, exec_lo, s35
	s_and_saveexec_b32 s34, s13
	s_cbranch_execnz .LBB6_2620
	s_branch .LBB6_2621
.LBB6_2987:                             ;   in Loop: Header=BB6_2329 Depth=4
	s_mov_b32 s13, -1
	s_mov_b32 s36, exec_lo
                                        ; implicit-def: $sgpr34
	v_cmpx_eq_u16_e32 0x80, v63
; %bb.2988:                             ;   in Loop: Header=BB6_2329 Depth=4
	s_mov_b32 s34, 0x7f800001
	s_xor_b32 s13, exec_lo, -1
; %bb.2989:                             ;   in Loop: Header=BB6_2329 Depth=4
	s_or_b32 exec_lo, exec_lo, s36
	s_delay_alu instid0(SALU_CYCLE_1)
	s_and_b32 s13, s13, exec_lo
                                        ; implicit-def: $vgpr63
	s_or_saveexec_b32 s35, s35
	v_mov_b32_e32 v57, s34
	s_xor_b32 exec_lo, exec_lo, s35
	s_cbranch_execz .LBB6_2623
.LBB6_2990:                             ;   in Loop: Header=BB6_2329 Depth=4
	v_cmp_ne_u16_e32 vcc_lo, 0, v63
	v_mov_b32_e32 v57, 0
	s_and_not1_b32 s13, s13, exec_lo
	s_and_b32 vcc_lo, vcc_lo, exec_lo
	s_delay_alu instid0(SALU_CYCLE_1)
	s_or_b32 s13, s13, vcc_lo
	s_or_b32 exec_lo, exec_lo, s35
	s_and_saveexec_b32 s34, s13
	s_cbranch_execnz .LBB6_2624
	s_branch .LBB6_2625
.LBB6_2991:                             ;   in Loop: Header=BB6_2329 Depth=4
	s_mov_b32 s13, -1
	s_mov_b32 s36, exec_lo
                                        ; implicit-def: $sgpr34
	v_cmpx_eq_u16_e32 0x80, v60
; %bb.2992:                             ;   in Loop: Header=BB6_2329 Depth=4
	s_mov_b32 s34, 0x7f800001
	s_xor_b32 s13, exec_lo, -1
; %bb.2993:                             ;   in Loop: Header=BB6_2329 Depth=4
	s_or_b32 exec_lo, exec_lo, s36
	s_delay_alu instid0(SALU_CYCLE_1)
	s_and_b32 s13, s13, exec_lo
                                        ; implicit-def: $vgpr60
	s_or_saveexec_b32 s35, s35
	v_mov_b32_e32 v57, s34
	s_xor_b32 exec_lo, exec_lo, s35
	s_cbranch_execz .LBB6_2635
.LBB6_2994:                             ;   in Loop: Header=BB6_2329 Depth=4
	v_cmp_ne_u16_e32 vcc_lo, 0, v60
	v_mov_b32_e32 v57, 0
	s_and_not1_b32 s13, s13, exec_lo
	s_and_b32 vcc_lo, vcc_lo, exec_lo
	s_delay_alu instid0(SALU_CYCLE_1)
	s_or_b32 s13, s13, vcc_lo
	s_or_b32 exec_lo, exec_lo, s35
	s_and_saveexec_b32 s34, s13
	s_cbranch_execnz .LBB6_2636
	s_branch .LBB6_2637
.LBB6_2995:                             ;   in Loop: Header=BB6_2329 Depth=4
	s_mov_b32 s13, -1
	s_mov_b32 s36, exec_lo
                                        ; implicit-def: $sgpr34
	v_cmpx_eq_u16_e32 0x80, v60
; %bb.2996:                             ;   in Loop: Header=BB6_2329 Depth=4
	s_mov_b32 s34, 0x7f800001
	s_xor_b32 s13, exec_lo, -1
; %bb.2997:                             ;   in Loop: Header=BB6_2329 Depth=4
	s_or_b32 exec_lo, exec_lo, s36
	s_delay_alu instid0(SALU_CYCLE_1)
	s_and_b32 s13, s13, exec_lo
                                        ; implicit-def: $vgpr60
	s_or_saveexec_b32 s35, s35
	v_mov_b32_e32 v46, s34
	s_xor_b32 exec_lo, exec_lo, s35
	s_cbranch_execz .LBB6_2639
.LBB6_2998:                             ;   in Loop: Header=BB6_2329 Depth=4
	v_cmp_ne_u16_e32 vcc_lo, 0, v60
	v_mov_b32_e32 v46, 0
	s_and_not1_b32 s13, s13, exec_lo
	s_and_b32 vcc_lo, vcc_lo, exec_lo
	s_delay_alu instid0(SALU_CYCLE_1)
	s_or_b32 s13, s13, vcc_lo
	s_or_b32 exec_lo, exec_lo, s35
	s_and_saveexec_b32 s34, s13
	s_cbranch_execnz .LBB6_2640
	s_branch .LBB6_2641
.LBB6_2999:                             ;   in Loop: Header=BB6_2329 Depth=4
	s_mov_b32 s13, -1
	s_mov_b32 s36, exec_lo
                                        ; implicit-def: $sgpr34
	v_cmpx_eq_u16_e32 0x80, v57
; %bb.3000:                             ;   in Loop: Header=BB6_2329 Depth=4
	s_mov_b32 s34, 0x7f800001
	s_xor_b32 s13, exec_lo, -1
; %bb.3001:                             ;   in Loop: Header=BB6_2329 Depth=4
	s_or_b32 exec_lo, exec_lo, s36
	s_delay_alu instid0(SALU_CYCLE_1)
	s_and_b32 s13, s13, exec_lo
                                        ; implicit-def: $vgpr57
	s_or_saveexec_b32 s35, s35
	v_mov_b32_e32 v46, s34
	s_xor_b32 exec_lo, exec_lo, s35
	s_cbranch_execz .LBB6_2651
.LBB6_3002:                             ;   in Loop: Header=BB6_2329 Depth=4
	v_cmp_ne_u16_e32 vcc_lo, 0, v57
	v_mov_b32_e32 v46, 0
	s_and_not1_b32 s13, s13, exec_lo
	s_and_b32 vcc_lo, vcc_lo, exec_lo
	s_delay_alu instid0(SALU_CYCLE_1)
	s_or_b32 s13, s13, vcc_lo
	s_or_b32 exec_lo, exec_lo, s35
	s_and_saveexec_b32 s34, s13
	s_cbranch_execnz .LBB6_2652
	s_branch .LBB6_2653
.LBB6_3003:                             ;   in Loop: Header=BB6_2329 Depth=4
	s_mov_b32 s13, -1
	s_mov_b32 s36, exec_lo
                                        ; implicit-def: $sgpr34
	v_cmpx_eq_u16_e32 0x80, v57
; %bb.3004:                             ;   in Loop: Header=BB6_2329 Depth=4
	s_mov_b32 s34, 0x7f800001
	s_xor_b32 s13, exec_lo, -1
; %bb.3005:                             ;   in Loop: Header=BB6_2329 Depth=4
	s_or_b32 exec_lo, exec_lo, s36
	s_delay_alu instid0(SALU_CYCLE_1)
	s_and_b32 s13, s13, exec_lo
                                        ; implicit-def: $vgpr57
	s_or_saveexec_b32 s35, s35
	v_mov_b32_e32 v43, s34
	s_xor_b32 exec_lo, exec_lo, s35
	s_cbranch_execz .LBB6_2655
.LBB6_3006:                             ;   in Loop: Header=BB6_2329 Depth=4
	v_cmp_ne_u16_e32 vcc_lo, 0, v57
	v_mov_b32_e32 v43, 0
	s_and_not1_b32 s13, s13, exec_lo
	s_and_b32 vcc_lo, vcc_lo, exec_lo
	s_delay_alu instid0(SALU_CYCLE_1)
	s_or_b32 s13, s13, vcc_lo
	s_or_b32 exec_lo, exec_lo, s35
	s_and_saveexec_b32 s34, s13
	s_cbranch_execnz .LBB6_2656
	s_branch .LBB6_2657
.LBB6_3007:                             ;   in Loop: Header=BB6_2329 Depth=4
	s_mov_b32 s13, -1
	s_mov_b32 s36, exec_lo
                                        ; implicit-def: $sgpr34
	v_cmpx_eq_u16_e32 0x80, v46
; %bb.3008:                             ;   in Loop: Header=BB6_2329 Depth=4
	s_mov_b32 s34, 0x7f800001
	s_xor_b32 s13, exec_lo, -1
; %bb.3009:                             ;   in Loop: Header=BB6_2329 Depth=4
	s_or_b32 exec_lo, exec_lo, s36
	s_delay_alu instid0(SALU_CYCLE_1)
	s_and_b32 s13, s13, exec_lo
                                        ; implicit-def: $vgpr46
	s_or_saveexec_b32 s35, s35
	v_mov_b32_e32 v43, s34
	s_xor_b32 exec_lo, exec_lo, s35
	s_cbranch_execz .LBB6_2667
.LBB6_3010:                             ;   in Loop: Header=BB6_2329 Depth=4
	v_cmp_ne_u16_e32 vcc_lo, 0, v46
	v_mov_b32_e32 v43, 0
	s_and_not1_b32 s13, s13, exec_lo
	s_and_b32 vcc_lo, vcc_lo, exec_lo
	s_delay_alu instid0(SALU_CYCLE_1)
	s_or_b32 s13, s13, vcc_lo
	s_or_b32 exec_lo, exec_lo, s35
	s_and_saveexec_b32 s34, s13
	s_cbranch_execnz .LBB6_2668
	s_branch .LBB6_2669
.LBB6_3011:                             ;   in Loop: Header=BB6_2329 Depth=4
	s_mov_b32 s13, -1
	s_mov_b32 s36, exec_lo
                                        ; implicit-def: $sgpr34
	v_cmpx_eq_u16_e32 0x80, v46
; %bb.3012:                             ;   in Loop: Header=BB6_2329 Depth=4
	s_mov_b32 s34, 0x7f800001
	s_xor_b32 s13, exec_lo, -1
; %bb.3013:                             ;   in Loop: Header=BB6_2329 Depth=4
	s_or_b32 exec_lo, exec_lo, s36
	s_delay_alu instid0(SALU_CYCLE_1)
	s_and_b32 s13, s13, exec_lo
                                        ; implicit-def: $vgpr46
	s_or_saveexec_b32 s35, s35
	v_mov_b32_e32 v40, s34
	s_xor_b32 exec_lo, exec_lo, s35
	s_cbranch_execz .LBB6_2671
.LBB6_3014:                             ;   in Loop: Header=BB6_2329 Depth=4
	v_cmp_ne_u16_e32 vcc_lo, 0, v46
	v_mov_b32_e32 v40, 0
	s_and_not1_b32 s13, s13, exec_lo
	s_and_b32 vcc_lo, vcc_lo, exec_lo
	s_delay_alu instid0(SALU_CYCLE_1)
	s_or_b32 s13, s13, vcc_lo
	s_or_b32 exec_lo, exec_lo, s35
	s_and_saveexec_b32 s34, s13
	s_cbranch_execnz .LBB6_2672
	s_branch .LBB6_2673
.LBB6_3015:                             ;   in Loop: Header=BB6_2329 Depth=4
	s_mov_b32 s13, -1
	s_mov_b32 s36, exec_lo
                                        ; implicit-def: $sgpr34
	v_cmpx_eq_u16_e32 0x80, v43
; %bb.3016:                             ;   in Loop: Header=BB6_2329 Depth=4
	s_mov_b32 s34, 0x7f800001
	s_xor_b32 s13, exec_lo, -1
; %bb.3017:                             ;   in Loop: Header=BB6_2329 Depth=4
	s_or_b32 exec_lo, exec_lo, s36
	s_delay_alu instid0(SALU_CYCLE_1)
	s_and_b32 s13, s13, exec_lo
                                        ; implicit-def: $vgpr43
	s_or_saveexec_b32 s35, s35
	v_mov_b32_e32 v40, s34
	s_xor_b32 exec_lo, exec_lo, s35
	s_cbranch_execz .LBB6_2683
.LBB6_3018:                             ;   in Loop: Header=BB6_2329 Depth=4
	v_cmp_ne_u16_e32 vcc_lo, 0, v43
	v_mov_b32_e32 v40, 0
	s_and_not1_b32 s13, s13, exec_lo
	s_and_b32 vcc_lo, vcc_lo, exec_lo
	s_delay_alu instid0(SALU_CYCLE_1)
	s_or_b32 s13, s13, vcc_lo
	s_or_b32 exec_lo, exec_lo, s35
	s_and_saveexec_b32 s34, s13
	s_cbranch_execnz .LBB6_2684
	s_branch .LBB6_2685
.LBB6_3019:                             ;   in Loop: Header=BB6_2329 Depth=4
	s_mov_b32 s13, -1
	s_mov_b32 s36, exec_lo
                                        ; implicit-def: $sgpr34
	v_cmpx_eq_u16_e32 0x80, v43
; %bb.3020:                             ;   in Loop: Header=BB6_2329 Depth=4
	s_mov_b32 s34, 0x7f800001
	s_xor_b32 s13, exec_lo, -1
; %bb.3021:                             ;   in Loop: Header=BB6_2329 Depth=4
	s_or_b32 exec_lo, exec_lo, s36
	s_delay_alu instid0(SALU_CYCLE_1)
	s_and_b32 s13, s13, exec_lo
                                        ; implicit-def: $vgpr43
	s_or_saveexec_b32 s35, s35
	v_mov_b32_e32 v181, s34
	s_xor_b32 exec_lo, exec_lo, s35
	s_cbranch_execz .LBB6_2687
.LBB6_3022:                             ;   in Loop: Header=BB6_2329 Depth=4
	v_cmp_ne_u16_e32 vcc_lo, 0, v43
	v_mov_b32_e32 v181, 0
	s_and_not1_b32 s13, s13, exec_lo
	s_and_b32 vcc_lo, vcc_lo, exec_lo
	s_delay_alu instid0(SALU_CYCLE_1)
	s_or_b32 s13, s13, vcc_lo
	s_or_b32 exec_lo, exec_lo, s35
	s_and_saveexec_b32 s34, s13
	s_cbranch_execnz .LBB6_2688
	s_branch .LBB6_2689
.LBB6_3023:                             ;   in Loop: Header=BB6_2329 Depth=4
	s_mov_b32 s13, -1
	s_mov_b32 s36, exec_lo
                                        ; implicit-def: $sgpr34
	v_cmpx_eq_u16_e32 0x80, v40
; %bb.3024:                             ;   in Loop: Header=BB6_2329 Depth=4
	s_mov_b32 s34, 0x7f800001
	s_xor_b32 s13, exec_lo, -1
; %bb.3025:                             ;   in Loop: Header=BB6_2329 Depth=4
	s_or_b32 exec_lo, exec_lo, s36
	s_delay_alu instid0(SALU_CYCLE_1)
	s_and_b32 s13, s13, exec_lo
                                        ; implicit-def: $vgpr40
	s_or_saveexec_b32 s35, s35
	v_mov_b32_e32 v181, s34
	s_xor_b32 exec_lo, exec_lo, s35
	s_cbranch_execz .LBB6_2699
.LBB6_3026:                             ;   in Loop: Header=BB6_2329 Depth=4
	v_cmp_ne_u16_e32 vcc_lo, 0, v40
	v_mov_b32_e32 v181, 0
	s_and_not1_b32 s13, s13, exec_lo
	s_and_b32 vcc_lo, vcc_lo, exec_lo
	s_delay_alu instid0(SALU_CYCLE_1)
	s_or_b32 s13, s13, vcc_lo
	s_or_b32 exec_lo, exec_lo, s35
	s_and_saveexec_b32 s34, s13
	s_cbranch_execnz .LBB6_2700
	s_branch .LBB6_2701
.LBB6_3027:                             ;   in Loop: Header=BB6_2329 Depth=4
	s_mov_b32 s13, -1
	s_mov_b32 s36, exec_lo
                                        ; implicit-def: $sgpr34
	v_cmpx_eq_u16_e32 0x80, v40
; %bb.3028:                             ;   in Loop: Header=BB6_2329 Depth=4
	s_mov_b32 s34, 0x7f800001
	s_xor_b32 s13, exec_lo, -1
; %bb.3029:                             ;   in Loop: Header=BB6_2329 Depth=4
	s_or_b32 exec_lo, exec_lo, s36
	s_delay_alu instid0(SALU_CYCLE_1)
	s_and_b32 s13, s13, exec_lo
                                        ; implicit-def: $vgpr40
	s_or_saveexec_b32 s35, s35
	v_mov_b32_e32 v115, s34
	s_xor_b32 exec_lo, exec_lo, s35
	s_cbranch_execz .LBB6_2703
.LBB6_3030:                             ;   in Loop: Header=BB6_2329 Depth=4
	v_cmp_ne_u16_e32 vcc_lo, 0, v40
	v_mov_b32_e32 v115, 0
	s_and_not1_b32 s13, s13, exec_lo
	s_and_b32 vcc_lo, vcc_lo, exec_lo
	s_delay_alu instid0(SALU_CYCLE_1)
	s_or_b32 s13, s13, vcc_lo
	s_or_b32 exec_lo, exec_lo, s35
	s_and_saveexec_b32 s34, s13
	s_cbranch_execnz .LBB6_2704
	s_branch .LBB6_2705
.LBB6_3031:                             ;   in Loop: Header=BB6_2329 Depth=4
	s_mov_b32 s13, -1
	s_mov_b32 s36, exec_lo
                                        ; implicit-def: $sgpr34
	v_cmpx_eq_u16_e64 0x80, v181
; %bb.3032:                             ;   in Loop: Header=BB6_2329 Depth=4
	s_mov_b32 s34, 0x7f800001
	s_xor_b32 s13, exec_lo, -1
; %bb.3033:                             ;   in Loop: Header=BB6_2329 Depth=4
	s_or_b32 exec_lo, exec_lo, s36
	s_delay_alu instid0(SALU_CYCLE_1)
	s_and_b32 s13, s13, exec_lo
                                        ; implicit-def: $vgpr181
	s_or_saveexec_b32 s35, s35
	v_mov_b32_e32 v115, s34
	s_xor_b32 exec_lo, exec_lo, s35
	s_cbranch_execz .LBB6_2715
.LBB6_3034:                             ;   in Loop: Header=BB6_2329 Depth=4
	v_cmp_ne_u16_e64 vcc_lo, 0, v181
	v_mov_b32_e32 v115, 0
	s_and_not1_b32 s13, s13, exec_lo
	s_delay_alu instid0(VALU_DEP_2) | instskip(NEXT) | instid1(SALU_CYCLE_1)
	s_and_b32 vcc_lo, vcc_lo, exec_lo
	s_or_b32 s13, s13, vcc_lo
	s_or_b32 exec_lo, exec_lo, s35
	s_and_saveexec_b32 s34, s13
	s_cbranch_execnz .LBB6_2716
	s_branch .LBB6_2717
.LBB6_3035:                             ;   in Loop: Header=BB6_2329 Depth=4
	s_mov_b32 s13, -1
	s_mov_b32 s36, exec_lo
                                        ; implicit-def: $sgpr34
	v_cmpx_eq_u16_e64 0x80, v181
; %bb.3036:                             ;   in Loop: Header=BB6_2329 Depth=4
	s_mov_b32 s34, 0x7f800001
	s_xor_b32 s13, exec_lo, -1
; %bb.3037:                             ;   in Loop: Header=BB6_2329 Depth=4
	s_or_b32 exec_lo, exec_lo, s36
	s_delay_alu instid0(SALU_CYCLE_1)
	s_and_b32 s13, s13, exec_lo
                                        ; implicit-def: $vgpr181
	s_or_saveexec_b32 s35, s35
	v_mov_b32_e32 v112, s34
	s_xor_b32 exec_lo, exec_lo, s35
	s_cbranch_execz .LBB6_2719
.LBB6_3038:                             ;   in Loop: Header=BB6_2329 Depth=4
	v_cmp_ne_u16_e64 vcc_lo, 0, v181
	v_mov_b32_e32 v112, 0
	s_and_not1_b32 s13, s13, exec_lo
	s_delay_alu instid0(VALU_DEP_2) | instskip(NEXT) | instid1(SALU_CYCLE_1)
	s_and_b32 vcc_lo, vcc_lo, exec_lo
	s_or_b32 s13, s13, vcc_lo
	s_or_b32 exec_lo, exec_lo, s35
	s_and_saveexec_b32 s34, s13
	s_cbranch_execnz .LBB6_2720
	s_branch .LBB6_2721
.LBB6_3039:                             ;   in Loop: Header=BB6_2329 Depth=4
	s_mov_b32 s13, -1
	s_mov_b32 s36, exec_lo
                                        ; implicit-def: $sgpr34
	v_cmpx_eq_u16_e32 0x80, v115
; %bb.3040:                             ;   in Loop: Header=BB6_2329 Depth=4
	s_mov_b32 s34, 0x7f800001
	s_xor_b32 s13, exec_lo, -1
; %bb.3041:                             ;   in Loop: Header=BB6_2329 Depth=4
	s_or_b32 exec_lo, exec_lo, s36
	s_delay_alu instid0(SALU_CYCLE_1)
	s_and_b32 s13, s13, exec_lo
                                        ; implicit-def: $vgpr115
	s_or_saveexec_b32 s35, s35
	v_mov_b32_e32 v112, s34
	s_xor_b32 exec_lo, exec_lo, s35
	s_cbranch_execz .LBB6_2731
.LBB6_3042:                             ;   in Loop: Header=BB6_2329 Depth=4
	v_cmp_ne_u16_e32 vcc_lo, 0, v115
	v_mov_b32_e32 v112, 0
	s_and_not1_b32 s13, s13, exec_lo
	s_and_b32 vcc_lo, vcc_lo, exec_lo
	s_delay_alu instid0(SALU_CYCLE_1)
	s_or_b32 s13, s13, vcc_lo
	s_or_b32 exec_lo, exec_lo, s35
	s_and_saveexec_b32 s34, s13
	s_cbranch_execnz .LBB6_2732
	s_branch .LBB6_2733
.LBB6_3043:                             ;   in Loop: Header=BB6_2329 Depth=4
	s_mov_b32 s13, -1
	s_mov_b32 s36, exec_lo
                                        ; implicit-def: $sgpr34
	v_cmpx_eq_u16_e32 0x80, v115
; %bb.3044:                             ;   in Loop: Header=BB6_2329 Depth=4
	s_mov_b32 s34, 0x7f800001
	s_xor_b32 s13, exec_lo, -1
; %bb.3045:                             ;   in Loop: Header=BB6_2329 Depth=4
	s_or_b32 exec_lo, exec_lo, s36
	s_delay_alu instid0(SALU_CYCLE_1)
	s_and_b32 s13, s13, exec_lo
                                        ; implicit-def: $vgpr115
	s_or_saveexec_b32 s35, s35
	v_mov_b32_e32 v49, s34
	s_xor_b32 exec_lo, exec_lo, s35
	s_cbranch_execz .LBB6_2735
.LBB6_3046:                             ;   in Loop: Header=BB6_2329 Depth=4
	v_cmp_ne_u16_e32 vcc_lo, 0, v115
	v_mov_b32_e32 v49, 0
	s_and_not1_b32 s13, s13, exec_lo
	s_and_b32 vcc_lo, vcc_lo, exec_lo
	s_delay_alu instid0(SALU_CYCLE_1)
	s_or_b32 s13, s13, vcc_lo
	s_or_b32 exec_lo, exec_lo, s35
	s_and_saveexec_b32 s34, s13
	s_cbranch_execnz .LBB6_2736
	s_branch .LBB6_2737
.LBB6_3047:                             ;   in Loop: Header=BB6_2329 Depth=4
	s_mov_b32 s13, -1
	s_mov_b32 s36, exec_lo
                                        ; implicit-def: $sgpr34
	v_cmpx_eq_u16_e32 0x80, v112
; %bb.3048:                             ;   in Loop: Header=BB6_2329 Depth=4
	s_mov_b32 s34, 0x7f800001
	s_xor_b32 s13, exec_lo, -1
; %bb.3049:                             ;   in Loop: Header=BB6_2329 Depth=4
	s_or_b32 exec_lo, exec_lo, s36
	s_delay_alu instid0(SALU_CYCLE_1)
	s_and_b32 s13, s13, exec_lo
                                        ; implicit-def: $vgpr112
	s_or_saveexec_b32 s35, s35
	v_mov_b32_e32 v49, s34
	s_xor_b32 exec_lo, exec_lo, s35
	s_cbranch_execz .LBB6_2747
.LBB6_3050:                             ;   in Loop: Header=BB6_2329 Depth=4
	v_cmp_ne_u16_e32 vcc_lo, 0, v112
	v_mov_b32_e32 v49, 0
	s_and_not1_b32 s13, s13, exec_lo
	s_and_b32 vcc_lo, vcc_lo, exec_lo
	s_delay_alu instid0(SALU_CYCLE_1)
	s_or_b32 s13, s13, vcc_lo
	s_or_b32 exec_lo, exec_lo, s35
	s_and_saveexec_b32 s34, s13
	s_cbranch_execnz .LBB6_2748
	s_branch .LBB6_2749
.LBB6_3051:                             ;   in Loop: Header=BB6_2329 Depth=4
	s_mov_b32 s13, -1
	s_mov_b32 s36, exec_lo
                                        ; implicit-def: $sgpr34
	v_cmpx_eq_u16_e32 0x80, v112
; %bb.3052:                             ;   in Loop: Header=BB6_2329 Depth=4
	s_mov_b32 s34, 0x7f800001
	s_xor_b32 s13, exec_lo, -1
; %bb.3053:                             ;   in Loop: Header=BB6_2329 Depth=4
	s_or_b32 exec_lo, exec_lo, s36
	s_delay_alu instid0(SALU_CYCLE_1)
	s_and_b32 s13, s13, exec_lo
                                        ; implicit-def: $vgpr112
	s_or_saveexec_b32 s35, s35
	v_mov_b32_e32 v38, s34
	s_xor_b32 exec_lo, exec_lo, s35
	s_cbranch_execz .LBB6_2751
.LBB6_3054:                             ;   in Loop: Header=BB6_2329 Depth=4
	v_cmp_ne_u16_e32 vcc_lo, 0, v112
	v_mov_b32_e32 v38, 0
	s_and_not1_b32 s13, s13, exec_lo
	s_and_b32 vcc_lo, vcc_lo, exec_lo
	s_delay_alu instid0(SALU_CYCLE_1)
	s_or_b32 s13, s13, vcc_lo
	s_or_b32 exec_lo, exec_lo, s35
	s_and_saveexec_b32 s34, s13
	s_cbranch_execnz .LBB6_2752
	s_branch .LBB6_2753
.LBB6_3055:                             ;   in Loop: Header=BB6_2329 Depth=4
	s_mov_b32 s13, -1
	s_mov_b32 s36, exec_lo
                                        ; implicit-def: $sgpr34
	v_cmpx_eq_u16_e32 0x80, v49
; %bb.3056:                             ;   in Loop: Header=BB6_2329 Depth=4
	s_mov_b32 s34, 0x7f800001
	s_xor_b32 s13, exec_lo, -1
; %bb.3057:                             ;   in Loop: Header=BB6_2329 Depth=4
	s_or_b32 exec_lo, exec_lo, s36
	s_delay_alu instid0(SALU_CYCLE_1)
	s_and_b32 s13, s13, exec_lo
                                        ; implicit-def: $vgpr49
	s_or_saveexec_b32 s35, s35
	v_mov_b32_e32 v38, s34
	s_xor_b32 exec_lo, exec_lo, s35
	s_cbranch_execz .LBB6_2763
.LBB6_3058:                             ;   in Loop: Header=BB6_2329 Depth=4
	v_cmp_ne_u16_e32 vcc_lo, 0, v49
	v_mov_b32_e32 v38, 0
	s_and_not1_b32 s13, s13, exec_lo
	s_and_b32 vcc_lo, vcc_lo, exec_lo
	s_delay_alu instid0(SALU_CYCLE_1)
	s_or_b32 s13, s13, vcc_lo
	s_or_b32 exec_lo, exec_lo, s35
	s_and_saveexec_b32 s34, s13
	s_cbranch_execnz .LBB6_2764
	s_branch .LBB6_2765
.LBB6_3059:                             ;   in Loop: Header=BB6_2329 Depth=4
	s_mov_b32 s13, -1
	s_mov_b32 s36, exec_lo
                                        ; implicit-def: $sgpr34
	v_cmpx_eq_u16_e32 0x80, v49
; %bb.3060:                             ;   in Loop: Header=BB6_2329 Depth=4
	s_mov_b32 s34, 0x7f800001
	s_xor_b32 s13, exec_lo, -1
; %bb.3061:                             ;   in Loop: Header=BB6_2329 Depth=4
	s_or_b32 exec_lo, exec_lo, s36
	s_delay_alu instid0(SALU_CYCLE_1)
	s_and_b32 s13, s13, exec_lo
                                        ; implicit-def: $vgpr49
	s_or_saveexec_b32 s35, s35
	v_mov_b32_e32 v35, s34
	s_xor_b32 exec_lo, exec_lo, s35
	s_cbranch_execz .LBB6_2767
.LBB6_3062:                             ;   in Loop: Header=BB6_2329 Depth=4
	v_cmp_ne_u16_e32 vcc_lo, 0, v49
	v_mov_b32_e32 v35, 0
	s_and_not1_b32 s13, s13, exec_lo
	s_and_b32 vcc_lo, vcc_lo, exec_lo
	s_delay_alu instid0(SALU_CYCLE_1)
	s_or_b32 s13, s13, vcc_lo
	s_or_b32 exec_lo, exec_lo, s35
	s_and_saveexec_b32 s34, s13
	s_cbranch_execnz .LBB6_2768
	s_branch .LBB6_2769
.LBB6_3063:                             ;   in Loop: Header=BB6_2329 Depth=4
	s_mov_b32 s13, -1
	s_mov_b32 s36, exec_lo
                                        ; implicit-def: $sgpr34
	v_cmpx_eq_u16_e32 0x80, v38
; %bb.3064:                             ;   in Loop: Header=BB6_2329 Depth=4
	s_mov_b32 s34, 0x7f800001
	s_xor_b32 s13, exec_lo, -1
; %bb.3065:                             ;   in Loop: Header=BB6_2329 Depth=4
	s_or_b32 exec_lo, exec_lo, s36
	s_delay_alu instid0(SALU_CYCLE_1)
	s_and_b32 s13, s13, exec_lo
                                        ; implicit-def: $vgpr38
	s_or_saveexec_b32 s35, s35
	v_mov_b32_e32 v35, s34
	s_xor_b32 exec_lo, exec_lo, s35
	s_cbranch_execz .LBB6_2779
.LBB6_3066:                             ;   in Loop: Header=BB6_2329 Depth=4
	v_cmp_ne_u16_e32 vcc_lo, 0, v38
	v_mov_b32_e32 v35, 0
	s_and_not1_b32 s13, s13, exec_lo
	s_and_b32 vcc_lo, vcc_lo, exec_lo
	s_delay_alu instid0(SALU_CYCLE_1)
	s_or_b32 s13, s13, vcc_lo
	s_or_b32 exec_lo, exec_lo, s35
	s_and_saveexec_b32 s34, s13
	s_cbranch_execnz .LBB6_2780
	s_branch .LBB6_2781
.LBB6_3067:                             ;   in Loop: Header=BB6_2329 Depth=4
	s_mov_b32 s13, -1
	s_mov_b32 s36, exec_lo
                                        ; implicit-def: $sgpr34
	v_cmpx_eq_u16_e32 0x80, v38
; %bb.3068:                             ;   in Loop: Header=BB6_2329 Depth=4
	s_mov_b32 s34, 0x7f800001
	s_xor_b32 s13, exec_lo, -1
; %bb.3069:                             ;   in Loop: Header=BB6_2329 Depth=4
	s_or_b32 exec_lo, exec_lo, s36
	s_delay_alu instid0(SALU_CYCLE_1)
	s_and_b32 s13, s13, exec_lo
                                        ; implicit-def: $vgpr38
	s_or_saveexec_b32 s35, s35
	v_mov_b32_e32 v32, s34
	s_xor_b32 exec_lo, exec_lo, s35
	s_cbranch_execz .LBB6_2783
.LBB6_3070:                             ;   in Loop: Header=BB6_2329 Depth=4
	v_cmp_ne_u16_e32 vcc_lo, 0, v38
	v_mov_b32_e32 v32, 0
	s_and_not1_b32 s13, s13, exec_lo
	s_and_b32 vcc_lo, vcc_lo, exec_lo
	s_delay_alu instid0(SALU_CYCLE_1)
	s_or_b32 s13, s13, vcc_lo
	s_or_b32 exec_lo, exec_lo, s35
	s_and_saveexec_b32 s34, s13
	s_cbranch_execnz .LBB6_2784
	s_branch .LBB6_2785
.LBB6_3071:                             ;   in Loop: Header=BB6_2329 Depth=4
	s_mov_b32 s13, -1
	s_mov_b32 s36, exec_lo
                                        ; implicit-def: $sgpr34
	v_cmpx_eq_u16_e32 0x80, v35
; %bb.3072:                             ;   in Loop: Header=BB6_2329 Depth=4
	s_mov_b32 s34, 0x7f800001
	s_xor_b32 s13, exec_lo, -1
; %bb.3073:                             ;   in Loop: Header=BB6_2329 Depth=4
	s_or_b32 exec_lo, exec_lo, s36
	s_delay_alu instid0(SALU_CYCLE_1)
	s_and_b32 s13, s13, exec_lo
                                        ; implicit-def: $vgpr35
	s_or_saveexec_b32 s35, s35
	v_mov_b32_e32 v32, s34
	s_xor_b32 exec_lo, exec_lo, s35
	s_cbranch_execz .LBB6_2795
.LBB6_3074:                             ;   in Loop: Header=BB6_2329 Depth=4
	v_cmp_ne_u16_e32 vcc_lo, 0, v35
	v_mov_b32_e32 v32, 0
	s_and_not1_b32 s13, s13, exec_lo
	s_and_b32 vcc_lo, vcc_lo, exec_lo
	s_delay_alu instid0(SALU_CYCLE_1)
	s_or_b32 s13, s13, vcc_lo
	s_or_b32 exec_lo, exec_lo, s35
	s_and_saveexec_b32 s34, s13
	s_cbranch_execnz .LBB6_2796
	s_branch .LBB6_2797
.LBB6_3075:                             ;   in Loop: Header=BB6_2329 Depth=4
	s_mov_b32 s13, -1
	s_mov_b32 s36, exec_lo
                                        ; implicit-def: $sgpr34
	v_cmpx_eq_u16_e32 0x80, v35
; %bb.3076:                             ;   in Loop: Header=BB6_2329 Depth=4
	s_mov_b32 s34, 0x7f800001
	s_xor_b32 s13, exec_lo, -1
; %bb.3077:                             ;   in Loop: Header=BB6_2329 Depth=4
	s_or_b32 exec_lo, exec_lo, s36
	s_delay_alu instid0(SALU_CYCLE_1)
	s_and_b32 s13, s13, exec_lo
                                        ; implicit-def: $vgpr35
	s_or_saveexec_b32 s35, s35
	v_mov_b32_e32 v25, s34
	s_xor_b32 exec_lo, exec_lo, s35
	s_cbranch_execz .LBB6_2799
.LBB6_3078:                             ;   in Loop: Header=BB6_2329 Depth=4
	v_cmp_ne_u16_e32 vcc_lo, 0, v35
	v_mov_b32_e32 v25, 0
	s_and_not1_b32 s13, s13, exec_lo
	s_and_b32 vcc_lo, vcc_lo, exec_lo
	s_delay_alu instid0(SALU_CYCLE_1)
	s_or_b32 s13, s13, vcc_lo
	s_or_b32 exec_lo, exec_lo, s35
	s_and_saveexec_b32 s34, s13
	s_cbranch_execnz .LBB6_2800
	s_branch .LBB6_2801
.LBB6_3079:                             ;   in Loop: Header=BB6_2329 Depth=4
	s_mov_b32 s13, -1
	s_mov_b32 s36, exec_lo
                                        ; implicit-def: $sgpr34
	v_cmpx_eq_u16_e32 0x80, v32
; %bb.3080:                             ;   in Loop: Header=BB6_2329 Depth=4
	s_mov_b32 s34, 0x7f800001
	s_xor_b32 s13, exec_lo, -1
; %bb.3081:                             ;   in Loop: Header=BB6_2329 Depth=4
	s_or_b32 exec_lo, exec_lo, s36
	s_delay_alu instid0(SALU_CYCLE_1)
	s_and_b32 s13, s13, exec_lo
                                        ; implicit-def: $vgpr32
	s_or_saveexec_b32 s35, s35
	v_mov_b32_e32 v25, s34
	s_xor_b32 exec_lo, exec_lo, s35
	s_cbranch_execz .LBB6_2811
.LBB6_3082:                             ;   in Loop: Header=BB6_2329 Depth=4
	v_cmp_ne_u16_e32 vcc_lo, 0, v32
	v_mov_b32_e32 v25, 0
	s_and_not1_b32 s13, s13, exec_lo
	s_and_b32 vcc_lo, vcc_lo, exec_lo
	s_delay_alu instid0(SALU_CYCLE_1)
	s_or_b32 s13, s13, vcc_lo
	s_or_b32 exec_lo, exec_lo, s35
	s_and_saveexec_b32 s34, s13
	s_cbranch_execnz .LBB6_2812
	s_branch .LBB6_2813
.LBB6_3083:                             ;   in Loop: Header=BB6_2329 Depth=4
	s_mov_b32 s13, -1
	s_mov_b32 s36, exec_lo
                                        ; implicit-def: $sgpr34
	v_cmpx_eq_u16_e32 0x80, v32
; %bb.3084:                             ;   in Loop: Header=BB6_2329 Depth=4
	s_mov_b32 s34, 0x7f800001
	s_xor_b32 s13, exec_lo, -1
; %bb.3085:                             ;   in Loop: Header=BB6_2329 Depth=4
	s_or_b32 exec_lo, exec_lo, s36
	s_delay_alu instid0(SALU_CYCLE_1)
	s_and_b32 s13, s13, exec_lo
                                        ; implicit-def: $vgpr32
	s_or_saveexec_b32 s35, s35
	v_mov_b32_e32 v22, s34
	s_xor_b32 exec_lo, exec_lo, s35
	s_cbranch_execz .LBB6_2815
.LBB6_3086:                             ;   in Loop: Header=BB6_2329 Depth=4
	v_cmp_ne_u16_e32 vcc_lo, 0, v32
	v_mov_b32_e32 v22, 0
	s_and_not1_b32 s13, s13, exec_lo
	s_and_b32 vcc_lo, vcc_lo, exec_lo
	s_delay_alu instid0(SALU_CYCLE_1)
	s_or_b32 s13, s13, vcc_lo
	s_or_b32 exec_lo, exec_lo, s35
	s_and_saveexec_b32 s34, s13
	s_cbranch_execnz .LBB6_2816
	s_branch .LBB6_2817
.LBB6_3087:                             ;   in Loop: Header=BB6_2329 Depth=4
	s_mov_b32 s13, -1
	s_mov_b32 s36, exec_lo
                                        ; implicit-def: $sgpr34
	v_cmpx_eq_u16_e32 0x80, v25
; %bb.3088:                             ;   in Loop: Header=BB6_2329 Depth=4
	s_mov_b32 s34, 0x7f800001
	s_xor_b32 s13, exec_lo, -1
; %bb.3089:                             ;   in Loop: Header=BB6_2329 Depth=4
	s_or_b32 exec_lo, exec_lo, s36
	s_delay_alu instid0(SALU_CYCLE_1)
	s_and_b32 s13, s13, exec_lo
                                        ; implicit-def: $vgpr25
	s_or_saveexec_b32 s35, s35
	v_mov_b32_e32 v22, s34
	s_xor_b32 exec_lo, exec_lo, s35
	s_cbranch_execz .LBB6_2827
.LBB6_3090:                             ;   in Loop: Header=BB6_2329 Depth=4
	v_cmp_ne_u16_e32 vcc_lo, 0, v25
	v_mov_b32_e32 v22, 0
	s_and_not1_b32 s13, s13, exec_lo
	s_and_b32 vcc_lo, vcc_lo, exec_lo
	s_delay_alu instid0(SALU_CYCLE_1)
	s_or_b32 s13, s13, vcc_lo
	s_or_b32 exec_lo, exec_lo, s35
	s_and_saveexec_b32 s34, s13
	s_cbranch_execnz .LBB6_2828
	s_branch .LBB6_2829
.LBB6_3091:                             ;   in Loop: Header=BB6_2329 Depth=4
	s_mov_b32 s13, -1
	s_mov_b32 s36, exec_lo
                                        ; implicit-def: $sgpr34
	v_cmpx_eq_u16_e32 0x80, v25
; %bb.3092:                             ;   in Loop: Header=BB6_2329 Depth=4
	s_mov_b32 s34, 0x7f800001
	s_xor_b32 s13, exec_lo, -1
; %bb.3093:                             ;   in Loop: Header=BB6_2329 Depth=4
	s_or_b32 exec_lo, exec_lo, s36
	s_delay_alu instid0(SALU_CYCLE_1)
	s_and_b32 s13, s13, exec_lo
                                        ; implicit-def: $vgpr25
	s_or_saveexec_b32 s35, s35
	v_mov_b32_e32 v19, s34
	s_xor_b32 exec_lo, exec_lo, s35
	s_cbranch_execz .LBB6_2831
.LBB6_3094:                             ;   in Loop: Header=BB6_2329 Depth=4
	v_cmp_ne_u16_e32 vcc_lo, 0, v25
	v_mov_b32_e32 v19, 0
	s_and_not1_b32 s13, s13, exec_lo
	s_and_b32 vcc_lo, vcc_lo, exec_lo
	s_delay_alu instid0(SALU_CYCLE_1)
	s_or_b32 s13, s13, vcc_lo
	s_or_b32 exec_lo, exec_lo, s35
	s_and_saveexec_b32 s34, s13
	s_cbranch_execnz .LBB6_2832
	s_branch .LBB6_2833
.LBB6_3095:                             ;   in Loop: Header=BB6_305 Depth=3
	s_or_b32 exec_lo, exec_lo, s31
.LBB6_3096:                             ;   in Loop: Header=BB6_305 Depth=3
	s_delay_alu instid0(SALU_CYCLE_1) | instskip(SKIP_2) | instid1(VALU_DEP_1)
	s_or_b32 exec_lo, exec_lo, s30
	v_lshlrev_b32_e32 v8, 10, v17
	s_mov_b32 s30, exec_lo
	v_cmpx_ne_u32_e64 v15, v8
	s_cbranch_execz .LBB6_3125
; %bb.3097:                             ;   in Loop: Header=BB6_305 Depth=3
	v_ashrrev_i32_e32 v9, 31, v16
	v_lshlrev_b32_e32 v2, 5, v2
	s_delay_alu instid0(VALU_DEP_2) | instskip(NEXT) | instid1(VALU_DEP_1)
	v_lshrrev_b32_e32 v9, 27, v9
	v_add_nc_u32_e32 v9, v16, v9
	s_delay_alu instid0(VALU_DEP_1) | instskip(NEXT) | instid1(VALU_DEP_1)
	v_and_b32_e32 v9, 0xffffffe0, v9
	v_sub_nc_u32_e32 v9, v16, v9
	s_delay_alu instid0(VALU_DEP_1) | instskip(NEXT) | instid1(VALU_DEP_1)
	v_sub_nc_u32_e32 v2, v9, v2
	v_add_nc_u32_e32 v8, v8, v2
	s_delay_alu instid0(VALU_DEP_1) | instskip(NEXT) | instid1(VALU_DEP_1)
	v_sub_nc_u32_e32 v2, v15, v8
	v_cmp_lt_i32_e32 vcc_lo, 0, v2
	s_and_b32 exec_lo, exec_lo, vcc_lo
	s_cbranch_execz .LBB6_3125
; %bb.3098:                             ;   in Loop: Header=BB6_305 Depth=3
	s_cbranch_execz .LBB6_3099
; %bb.10225:
	s_getpc_b64 s[48:49]
.Lpost_getpc288:
	s_add_u32 s48, s48, (.LBB6_9859-.Lpost_getpc288)&4294967295
	s_addc_u32 s49, s49, (.LBB6_9859-.Lpost_getpc288)>>32
	s_setpc_b64 s[48:49]
.LBB6_3099:                             ;   in Loop: Header=BB6_305 Depth=3
	ds_load_b128 v[9:12], v0
	ds_load_b64 v[15:16], v0
	v_add_nc_u32_e32 v13, v8, v14
	s_mov_b32 s31, 0
	s_delay_alu instid0(VALU_DEP_1) | instskip(SKIP_2) | instid1(VALU_DEP_2)
	v_ashrrev_i32_e32 v14, 31, v13
	s_waitcnt lgkmcnt(1)
	v_add_co_u32 v8, vcc_lo, v9, v13
	v_add_co_ci_u32_e32 v9, vcc_lo, v10, v14, vcc_lo
	v_add_co_u32 v10, vcc_lo, v11, v13
	v_add_co_ci_u32_e32 v11, vcc_lo, v12, v14, vcc_lo
	s_waitcnt lgkmcnt(0)
	v_add_co_u32 v12, vcc_lo, v15, v13
	v_add_co_ci_u32_e32 v13, vcc_lo, v16, v14, vcc_lo
	s_branch .LBB6_3103
.LBB6_3100:                             ;   in Loop: Header=BB6_3103 Depth=4
	s_or_b32 exec_lo, exec_lo, s13
	s_delay_alu instid0(VALU_DEP_1) | instskip(NEXT) | instid1(VALU_DEP_2)
	v_lshrrev_b32_e32 v16, 20, v16
	v_cmp_gt_i32_e32 vcc_lo, 16, v15
	v_min_i32_e32 v17, 15, v15
	v_lshrrev_b32_e32 v14, 24, v14
	s_delay_alu instid0(VALU_DEP_2) | instskip(NEXT) | instid1(VALU_DEP_2)
	v_dual_cndmask_b32 v16, 7, v16 :: v_dual_lshlrev_b32 v17, 3, v17
	v_and_b32_e32 v14, 0x80, v14
	s_delay_alu instid0(VALU_DEP_2) | instskip(NEXT) | instid1(VALU_DEP_1)
	v_or_b32_e32 v15, v15, v16
	v_cmp_ne_u32_e32 vcc_lo, 0, v15
	v_and_b32_e32 v18, 7, v16
	s_delay_alu instid0(VALU_DEP_1) | instskip(NEXT) | instid1(VALU_DEP_1)
	v_or3_b32 v14, v17, v14, v18
	v_cndmask_b32_e32 v15, 0, v14, vcc_lo
.LBB6_3101:                             ;   in Loop: Header=BB6_3103 Depth=4
	s_or_b32 exec_lo, exec_lo, s35
.LBB6_3102:                             ;   in Loop: Header=BB6_3103 Depth=4
	s_delay_alu instid0(SALU_CYCLE_1)
	s_or_b32 exec_lo, exec_lo, s34
	v_add_co_u32 v8, vcc_lo, v8, v162
	v_sub_nc_u32_e32 v2, v2, v147
	v_add_co_ci_u32_e32 v9, vcc_lo, v9, v163, vcc_lo
	v_add_co_u32 v10, vcc_lo, v10, v162
	v_add_co_ci_u32_e32 v11, vcc_lo, v11, v163, vcc_lo
	flat_store_b8 v[12:13], v15 glc slc dlc
	v_cmp_gt_i32_e32 vcc_lo, 1, v2
	v_add_co_u32 v12, s13, v12, v162
	s_delay_alu instid0(VALU_DEP_1) | instskip(SKIP_1) | instid1(SALU_CYCLE_1)
	v_add_co_ci_u32_e64 v13, s13, v13, v163, s13
	s_or_b32 s31, vcc_lo, s31
	s_and_not1_b32 exec_lo, exec_lo, s31
	s_cbranch_execz .LBB6_3125
.LBB6_3103:                             ;   Parent Loop BB6_51 Depth=1
                                        ;     Parent Loop BB6_303 Depth=2
                                        ;       Parent Loop BB6_305 Depth=3
                                        ; =>      This Inner Loop Header: Depth=4
	flat_load_u8 v16, v[8:9] slc dlc
	flat_load_u8 v14, v[10:11] slc dlc
	s_mov_b32 s13, 0
	s_mov_b32 s35, exec_lo
                                        ; implicit-def: $sgpr34
	s_waitcnt vmcnt(1) lgkmcnt(1)
	v_cmpx_lt_i16_e32 0x7f, v16
	s_xor_b32 s35, exec_lo, s35
	s_cbranch_execnz .LBB6_3117
; %bb.3104:                             ;   in Loop: Header=BB6_3103 Depth=4
	s_or_saveexec_b32 s35, s35
	v_mov_b32_e32 v15, s34
	s_xor_b32 exec_lo, exec_lo, s35
	s_cbranch_execnz .LBB6_3120
.LBB6_3105:                             ;   in Loop: Header=BB6_3103 Depth=4
	s_or_b32 exec_lo, exec_lo, s35
	s_and_saveexec_b32 s34, s13
	s_cbranch_execz .LBB6_3107
.LBB6_3106:                             ;   in Loop: Header=BB6_3103 Depth=4
	v_and_b32_e32 v15, 0xffff, v16
	s_delay_alu instid0(VALU_DEP_1) | instskip(NEXT) | instid1(VALU_DEP_1)
	v_and_b32_e32 v17, 7, v15
	v_clz_i32_u32_e32 v18, v17
	s_delay_alu instid0(VALU_DEP_1) | instskip(NEXT) | instid1(VALU_DEP_1)
	v_min_u32_e32 v18, 32, v18
	v_subrev_nc_u32_e32 v19, 28, v18
	v_sub_nc_u32_e32 v18, 29, v18
	s_delay_alu instid0(VALU_DEP_2) | instskip(SKIP_1) | instid1(VALU_DEP_2)
	v_lshlrev_b32_e32 v19, v19, v15
	v_bfe_u32 v15, v15, 3, 4
	v_and_b32_e32 v19, 7, v19
	s_delay_alu instid0(VALU_DEP_2) | instskip(SKIP_1) | instid1(VALU_DEP_1)
	v_cmp_eq_u32_e32 vcc_lo, 0, v15
	v_dual_cndmask_b32 v15, v15, v18 :: v_dual_lshlrev_b32 v16, 24, v16
	v_dual_cndmask_b32 v17, v17, v19 :: v_dual_and_b32 v16, 0x80000000, v16
	s_delay_alu instid0(VALU_DEP_2) | instskip(NEXT) | instid1(VALU_DEP_2)
	v_lshl_add_u32 v15, v15, 23, 0x3b800000
	v_lshlrev_b32_e32 v17, 20, v17
	s_delay_alu instid0(VALU_DEP_1)
	v_or3_b32 v15, v16, v15, v17
.LBB6_3107:                             ;   in Loop: Header=BB6_3103 Depth=4
	s_or_b32 exec_lo, exec_lo, s34
	s_waitcnt vmcnt(0) lgkmcnt(0)
	v_and_b32_e32 v17, 0xff, v14
	s_mov_b32 s13, 0
	s_mov_b32 s35, exec_lo
                                        ; implicit-def: $sgpr34
	s_delay_alu instid0(VALU_DEP_1)
	v_cmpx_lt_i16_e32 0x7f, v17
	s_xor_b32 s35, exec_lo, s35
	s_cbranch_execnz .LBB6_3121
; %bb.3108:                             ;   in Loop: Header=BB6_3103 Depth=4
	s_or_saveexec_b32 s35, s35
	v_mov_b32_e32 v16, s34
	s_xor_b32 exec_lo, exec_lo, s35
	s_cbranch_execnz .LBB6_3124
.LBB6_3109:                             ;   in Loop: Header=BB6_3103 Depth=4
	s_or_b32 exec_lo, exec_lo, s35
	s_and_saveexec_b32 s34, s13
	s_cbranch_execz .LBB6_3111
.LBB6_3110:                             ;   in Loop: Header=BB6_3103 Depth=4
	v_lshrrev_b16 v19, 3, v14
	s_delay_alu instid0(VALU_DEP_1) | instskip(NEXT) | instid1(VALU_DEP_1)
	v_and_b32_e32 v19, 15, v19
	v_cmp_eq_u32_e32 vcc_lo, 0, v19
	v_and_b32_e32 v16, 7, v14
	s_delay_alu instid0(VALU_DEP_1) | instskip(NEXT) | instid1(VALU_DEP_1)
	v_clz_i32_u32_e32 v17, v16
	v_min_u32_e32 v17, 32, v17
	s_delay_alu instid0(VALU_DEP_1) | instskip(SKIP_1) | instid1(VALU_DEP_1)
	v_subrev_nc_u32_e32 v18, 28, v17
	v_sub_nc_u32_e32 v17, 29, v17
	v_dual_cndmask_b32 v17, v19, v17 :: v_dual_lshlrev_b32 v18, v18, v14
	v_lshlrev_b32_e32 v14, 24, v14
	s_delay_alu instid0(VALU_DEP_2) | instskip(NEXT) | instid1(VALU_DEP_3)
	v_and_b32_e32 v18, 7, v18
	v_lshl_add_u32 v17, v17, 23, 0x3b800000
	s_delay_alu instid0(VALU_DEP_3) | instskip(NEXT) | instid1(VALU_DEP_3)
	v_and_b32_e32 v14, 0x80000000, v14
	v_cndmask_b32_e32 v16, v16, v18, vcc_lo
	s_delay_alu instid0(VALU_DEP_1) | instskip(NEXT) | instid1(VALU_DEP_1)
	v_lshlrev_b32_e32 v16, 20, v16
	v_or3_b32 v16, v14, v17, v16
.LBB6_3111:                             ;   in Loop: Header=BB6_3103 Depth=4
	s_or_b32 exec_lo, exec_lo, s34
	s_delay_alu instid0(VALU_DEP_1) | instskip(NEXT) | instid1(VALU_DEP_1)
	v_add_f32_e32 v14, v15, v16
	v_and_b32_e32 v15, 0x7f800000, v14
	s_delay_alu instid0(VALU_DEP_1)
	v_cmp_ne_u32_e32 vcc_lo, 0x7f800000, v15
	v_mov_b32_e32 v15, 0x80
	s_and_saveexec_b32 s34, vcc_lo
	s_cbranch_execz .LBB6_3102
; %bb.3112:                             ;   in Loop: Header=BB6_3103 Depth=4
	v_mov_b32_e32 v15, 0
	s_mov_b32 s35, exec_lo
	v_cmpx_ne_u32_e32 0, v14
	s_cbranch_execz .LBB6_3101
; %bb.3113:                             ;   in Loop: Header=BB6_3103 Depth=4
	v_bfe_u32 v15, v14, 23, 8
	s_delay_alu instid0(VALU_DEP_1) | instskip(SKIP_1) | instid1(VALU_DEP_2)
	v_sub_nc_u32_e32 v17, 0x78, v15
	v_cmp_gt_u32_e32 vcc_lo, 0x79, v15
	v_dual_cndmask_b32 v17, 0, v17 :: v_dual_and_b32 v16, 0x7fffff, v14
	s_delay_alu instid0(VALU_DEP_1) | instskip(SKIP_2) | instid1(VALU_DEP_4)
	v_or_b32_e32 v18, 0x800000, v16
	v_cmp_eq_u32_e32 vcc_lo, 0, v15
	v_add_nc_u32_e32 v15, 0xffffff89, v15
	v_cndmask_b32_e64 v17, v17, 0x77, vcc_lo
	s_delay_alu instid0(VALU_DEP_4) | instskip(NEXT) | instid1(VALU_DEP_3)
	v_cndmask_b32_e32 v16, v18, v16, vcc_lo
	v_cndmask_b32_e64 v15, v15, 0xffffff8a, vcc_lo
	s_delay_alu instid0(VALU_DEP_3) | instskip(NEXT) | instid1(VALU_DEP_3)
	v_lshl_add_u32 v18, 0x100000, v17, -1
	v_lshrrev_b32_e32 v19, v17, v16
	v_lshlrev_b32_e64 v21, v17, 0x80000
	s_delay_alu instid0(VALU_DEP_4) | instskip(NEXT) | instid1(VALU_DEP_4)
	v_add_nc_u32_e32 v17, v17, v15
	v_and_b32_e32 v16, v18, v16
	s_delay_alu instid0(VALU_DEP_4) | instskip(NEXT) | instid1(VALU_DEP_2)
	v_bfe_u32 v20, v19, 20, 1
	v_cmp_eq_u32_e64 s13, v16, v21
	s_delay_alu instid0(VALU_DEP_2) | instskip(NEXT) | instid1(VALU_DEP_1)
	v_add_nc_u32_e32 v18, -1, v20
	v_cndmask_b32_e64 v16, 0, v18, s13
	v_lshrrev_b32_e32 v18, 23, v19
	s_mov_b32 s13, exec_lo
	s_delay_alu instid0(VALU_DEP_2) | instskip(NEXT) | instid1(VALU_DEP_2)
	v_add_nc_u32_e32 v16, v16, v19
	v_xor_b32_e32 v18, 1, v18
	s_delay_alu instid0(VALU_DEP_2) | instskip(NEXT) | instid1(VALU_DEP_1)
	v_and_b32_e32 v15, 0xfffff, v16
	v_add_nc_u32_e32 v16, v15, v19
                                        ; implicit-def: $vgpr15
	s_delay_alu instid0(VALU_DEP_3)
	v_cmpx_ne_u32_e64 v17, v18
	s_xor_b32 s13, exec_lo, s13
; %bb.3114:                             ;   in Loop: Header=BB6_3103 Depth=4
	s_delay_alu instid0(VALU_DEP_2) | instskip(SKIP_2) | instid1(VALU_DEP_2)
	v_cmp_lt_u32_e32 vcc_lo, 0xffffff, v16
	v_sub_nc_u32_e32 v15, v17, v18
	v_cndmask_b32_e64 v17, 0, 1, vcc_lo
	v_add_co_ci_u32_e32 v15, vcc_lo, 0, v15, vcc_lo
	s_delay_alu instid0(VALU_DEP_2)
	v_lshrrev_b32_e32 v16, v17, v16
; %bb.3115:                             ;   in Loop: Header=BB6_3103 Depth=4
	s_and_not1_saveexec_b32 s13, s13
	s_cbranch_execz .LBB6_3100
; %bb.3116:                             ;   in Loop: Header=BB6_3103 Depth=4
	s_delay_alu instid0(VALU_DEP_1)
	v_bfe_u32 v15, v16, 23, 1
	s_branch .LBB6_3100
.LBB6_3117:                             ;   in Loop: Header=BB6_3103 Depth=4
	s_mov_b32 s13, -1
	s_mov_b32 s36, exec_lo
                                        ; implicit-def: $sgpr34
	v_cmpx_eq_u16_e32 0x80, v16
; %bb.3118:                             ;   in Loop: Header=BB6_3103 Depth=4
	s_mov_b32 s34, 0x7f800001
	s_xor_b32 s13, exec_lo, -1
; %bb.3119:                             ;   in Loop: Header=BB6_3103 Depth=4
	s_or_b32 exec_lo, exec_lo, s36
	s_delay_alu instid0(SALU_CYCLE_1)
	s_and_b32 s13, s13, exec_lo
	s_or_saveexec_b32 s35, s35
	v_mov_b32_e32 v15, s34
	s_xor_b32 exec_lo, exec_lo, s35
	s_cbranch_execz .LBB6_3105
.LBB6_3120:                             ;   in Loop: Header=BB6_3103 Depth=4
	v_cmp_ne_u16_e32 vcc_lo, 0, v16
	v_mov_b32_e32 v15, 0
	s_and_not1_b32 s13, s13, exec_lo
	s_and_b32 vcc_lo, vcc_lo, exec_lo
	s_delay_alu instid0(SALU_CYCLE_1)
	s_or_b32 s13, s13, vcc_lo
	s_or_b32 exec_lo, exec_lo, s35
	s_and_saveexec_b32 s34, s13
	s_cbranch_execnz .LBB6_3106
	s_branch .LBB6_3107
.LBB6_3121:                             ;   in Loop: Header=BB6_3103 Depth=4
	s_mov_b32 s13, -1
	s_mov_b32 s36, exec_lo
                                        ; implicit-def: $sgpr34
	v_cmpx_eq_u16_e32 0x80, v17
; %bb.3122:                             ;   in Loop: Header=BB6_3103 Depth=4
	s_mov_b32 s34, 0x7f800001
	s_xor_b32 s13, exec_lo, -1
; %bb.3123:                             ;   in Loop: Header=BB6_3103 Depth=4
	s_or_b32 exec_lo, exec_lo, s36
	s_delay_alu instid0(SALU_CYCLE_1)
	s_and_b32 s13, s13, exec_lo
                                        ; implicit-def: $vgpr17
	s_or_saveexec_b32 s35, s35
	v_mov_b32_e32 v16, s34
	s_xor_b32 exec_lo, exec_lo, s35
	s_cbranch_execz .LBB6_3109
.LBB6_3124:                             ;   in Loop: Header=BB6_3103 Depth=4
	v_cmp_ne_u16_e32 vcc_lo, 0, v17
	v_mov_b32_e32 v16, 0
	s_and_not1_b32 s13, s13, exec_lo
	s_and_b32 vcc_lo, vcc_lo, exec_lo
	s_delay_alu instid0(SALU_CYCLE_1)
	s_or_b32 s13, s13, vcc_lo
	s_or_b32 exec_lo, exec_lo, s35
	s_and_saveexec_b32 s34, s13
	s_cbranch_execnz .LBB6_3110
	s_branch .LBB6_3111
.LBB6_3125:                             ;   in Loop: Header=BB6_305 Depth=3
	s_or_b32 exec_lo, exec_lo, s30
.LBB6_3126:                             ;   in Loop: Header=BB6_305 Depth=3
	s_delay_alu instid0(SALU_CYCLE_1)
	s_or_b32 exec_lo, exec_lo, s14
.LBB6_3127:                             ;   in Loop: Header=BB6_305 Depth=3
	s_and_saveexec_b32 s13, s3
	s_cbranch_execz .LBB6_3149
; %bb.3128:                             ;   in Loop: Header=BB6_305 Depth=3
	s_and_saveexec_b32 s14, s4
	s_delay_alu instid0(SALU_CYCLE_1)
	s_xor_b32 s14, exec_lo, s14
	s_cbranch_execz .LBB6_3146
; %bb.3129:                             ;   in Loop: Header=BB6_305 Depth=3
	s_and_saveexec_b32 s30, s1
	s_cbranch_execz .LBB6_3145
; %bb.3130:                             ;   in Loop: Header=BB6_305 Depth=3
	s_mov_b32 s34, exec_lo
	s_mov_b32 s31, exec_lo
	v_mbcnt_lo_u32_b32 v2, s34, 0
	s_waitcnt lgkmcnt(0)
	s_waitcnt_vscnt null, 0x0
	buffer_gl1_inv
	buffer_gl0_inv
	v_cmpx_eq_u32_e32 0, v2
	s_cbranch_execz .LBB6_3132
; %bb.3131:                             ;   in Loop: Header=BB6_305 Depth=3
	s_bcnt1_i32_b32 vcc_lo, s34
	s_delay_alu instid0(SALU_CYCLE_1)
	v_mov_b32_e32 v2, vcc_lo
	ds_add_u64 v0, v[2:3]
	s_cbranch_execz .LBB6_3132
; %bb.10227:
	s_getpc_b64 s[48:49]
.Lpost_getpc289:
	s_add_u32 s48, s48, (.LBB6_9839-.Lpost_getpc289)&4294967295
	s_addc_u32 s49, s49, (.LBB6_9839-.Lpost_getpc289)>>32
	s_setpc_b64 s[48:49]
.LBB6_3132:                             ;   in Loop: Header=BB6_305 Depth=3
	s_or_b32 exec_lo, exec_lo, s31
	s_cbranch_execz .LBB6_3133
; %bb.10229:
	s_getpc_b64 s[48:49]
.Lpost_getpc290:
	s_add_u32 s48, s48, (.LBB6_9815-.Lpost_getpc290)&4294967295
	s_addc_u32 s49, s49, (.LBB6_9815-.Lpost_getpc290)>>32
	s_setpc_b64 s[48:49]
.LBB6_3133:                             ;   in Loop: Header=BB6_305 Depth=3
	ds_load_b64 v[8:9], v0
	v_add_co_u32 v80, vcc_lo, v80, v129
	v_add_co_ci_u32_e32 v81, vcc_lo, 0, v81, vcc_lo
	s_mov_b32 s31, exec_lo
	s_waitcnt lgkmcnt(0)
	s_delay_alu instid0(VALU_DEP_1)
	v_cmpx_lt_u64_e64 v[8:9], v[80:81]
	s_cbranch_execz .LBB6_3144
; %bb.3134:                             ;   in Loop: Header=BB6_305 Depth=3
	s_mov_b32 s34, 0
	s_mov_b32 s37, 0
                                        ; implicit-def: $sgpr35
                                        ; implicit-def: $sgpr36
	s_branch .LBB6_3136
.LBB6_3135:                             ;   in Loop: Header=BB6_3136 Depth=4
	s_or_b32 exec_lo, exec_lo, s39
	s_delay_alu instid0(SALU_CYCLE_1) | instskip(NEXT) | instid1(SALU_CYCLE_1)
	s_and_b32 vcc_lo, exec_lo, vcc_lo
	s_or_b32 s34, vcc_lo, s34
	s_and_not1_b32 vcc_lo, s35, exec_lo
	s_and_b32 s35, s36, exec_lo
	s_delay_alu instid0(SALU_CYCLE_1)
	s_or_b32 s35, vcc_lo, s35
	s_and_not1_b32 exec_lo, exec_lo, s34
	s_cbranch_execz .LBB6_3142
.LBB6_3136:                             ;   Parent Loop BB6_51 Depth=1
                                        ;     Parent Loop BB6_303 Depth=2
                                        ;       Parent Loop BB6_305 Depth=3
                                        ; =>      This Inner Loop Header: Depth=4
	s_add_i32 s37, s37, 1
                                        ; implicit-def: $sgpr39
	s_delay_alu instid0(SALU_CYCLE_1) | instskip(SKIP_1) | instid1(SALU_CYCLE_1)
	s_cmpk_lg_i32 s37, 0x2710
	s_cselect_b32 s38, -1, 0
	s_and_b32 vcc_lo, exec_lo, s38
	s_cbranch_vccz .LBB6_3140
.LBB6_3137:                             ;   in Loop: Header=BB6_3136 Depth=4
	s_and_not1_b32 s36, s36, exec_lo
	s_and_b32 s39, s39, exec_lo
	s_mov_b32 vcc_lo, -1
	s_or_b32 s36, s36, s39
	s_and_saveexec_b32 s39, s38
	s_cbranch_execz .LBB6_3135
; %bb.3138:                             ;   in Loop: Header=BB6_3136 Depth=4
	s_sleep 1
	s_cbranch_execz .LBB6_3139
; %bb.10231:
	s_getpc_b64 s[48:49]
.Lpost_getpc291:
	s_add_u32 s48, s48, (.LBB6_9893-.Lpost_getpc291)&4294967295
	s_addc_u32 s49, s49, (.LBB6_9893-.Lpost_getpc291)>>32
	s_setpc_b64 s[48:49]
.LBB6_3139:                             ;   in Loop: Header=BB6_3136 Depth=4
	ds_load_b64 v[8:9], v0
	s_and_not1_b32 s36, s36, exec_lo
	s_waitcnt lgkmcnt(0)
	v_cmp_ge_u64_e32 vcc_lo, v[8:9], v[80:81]
	s_or_not1_b32 vcc_lo, vcc_lo, exec_lo
	s_branch .LBB6_3135
.LBB6_3140:                             ;   in Loop: Header=BB6_3136 Depth=4
	s_cbranch_execz .LBB6_3141
; %bb.10233:
	s_getpc_b64 s[48:49]
.Lpost_getpc292:
	s_add_u32 s48, s48, (.LBB6_9905-.Lpost_getpc292)&4294967295
	s_addc_u32 s49, s49, (.LBB6_9905-.Lpost_getpc292)>>32
	s_setpc_b64 s[48:49]
.LBB6_3141:                             ;   in Loop: Header=BB6_3136 Depth=4
	ds_load_b64 v[8:9], v0
	s_and_not1_b32 s38, s38, exec_lo
	s_mov_b32 s37, 0
	s_mov_b32 s39, -1
	s_waitcnt lgkmcnt(0)
	flat_load_b32 v2, v[8:9] glc
	s_waitcnt vmcnt(0) lgkmcnt(0)
	buffer_gl1_inv
	buffer_gl0_inv
	v_cmp_eq_u32_e32 vcc_lo, 0, v2
	s_and_b32 vcc_lo, vcc_lo, exec_lo
	s_delay_alu instid0(SALU_CYCLE_1)
	s_or_b32 s38, s38, vcc_lo
	s_branch .LBB6_3137
.LBB6_3142:                             ;   in Loop: Header=BB6_305 Depth=3
	s_or_b32 exec_lo, exec_lo, s34
	s_and_saveexec_b32 vcc_lo, s35
	s_delay_alu instid0(SALU_CYCLE_1)
	s_xor_b32 vcc_lo, exec_lo, vcc_lo
	s_cbranch_execz .LBB6_3144
; %bb.3143:                             ;   in Loop: Header=BB6_305 Depth=3
	ds_store_b32 v0, v176
	s_cbranch_execz .LBB6_3144
; %bb.10235:
	s_getpc_b64 s[48:49]
.Lpost_getpc293:
	s_add_u32 s48, s48, (.LBB6_10037-.Lpost_getpc293)&4294967295
	s_addc_u32 s49, s49, (.LBB6_10037-.Lpost_getpc293)>>32
	s_setpc_b64 s[48:49]
.LBB6_3144:                             ;   in Loop: Header=BB6_305 Depth=3
	s_or_b32 exec_lo, exec_lo, s31
	;;#ASMSTART
	s_wakeup
	;;#ASMEND
.LBB6_3145:                             ;   in Loop: Header=BB6_305 Depth=3
	s_or_b32 exec_lo, exec_lo, s30
.LBB6_3146:                             ;   in Loop: Header=BB6_305 Depth=3
	s_and_not1_saveexec_b32 s14, s14
	s_cbranch_execz .LBB6_3148
; %bb.3147:                             ;   in Loop: Header=BB6_305 Depth=3
	s_waitcnt lgkmcnt(0)
	s_waitcnt_vscnt null, 0x0
	buffer_gl1_inv
	buffer_gl0_inv
	s_barrier
.LBB6_3148:                             ;   in Loop: Header=BB6_305 Depth=3
	s_or_b32 exec_lo, exec_lo, s14
.LBB6_3149:                             ;   in Loop: Header=BB6_305 Depth=3
	s_delay_alu instid0(SALU_CYCLE_1) | instskip(SKIP_1) | instid1(SALU_CYCLE_1)
	s_or_b32 exec_lo, exec_lo, s13
                                        ; implicit-def: $vgpr2
	s_and_saveexec_b32 s13, s7
	s_xor_b32 s14, exec_lo, s13
	s_cbranch_execz .LBB6_3153
; %bb.3150:                             ;   in Loop: Header=BB6_305 Depth=3
	v_and_b32_e32 v2, 16, v30
	v_cmp_lt_i32_e32 vcc_lo, 0, v101
	s_delay_alu instid0(VALU_DEP_2) | instskip(SKIP_1) | instid1(VALU_DEP_2)
	v_cmp_ne_u32_e64 s13, 0, v2
	v_and_b32_e32 v2, 16, v30
	s_and_b32 vcc_lo, s13, vcc_lo
	s_delay_alu instid0(SALU_CYCLE_1)
	s_and_saveexec_b32 s13, vcc_lo
	s_cbranch_execz .LBB6_3152
; %bb.3151:                             ;   in Loop: Header=BB6_305 Depth=3
	v_mov_b32_e32 v2, 1
	s_waitcnt lgkmcnt(0)
	s_waitcnt_vscnt null, 0x0
	buffer_gl1_inv
	buffer_gl0_inv
.LBB6_3152:                             ;   in Loop: Header=BB6_305 Depth=3
	s_or_b32 exec_lo, exec_lo, s13
.LBB6_3153:                             ;   in Loop: Header=BB6_305 Depth=3
	s_and_not1_saveexec_b32 s13, s14
	s_cbranch_execz .LBB6_3175
; %bb.3154:                             ;   in Loop: Header=BB6_305 Depth=3
	s_and_saveexec_b32 s14, s4
	s_delay_alu instid0(SALU_CYCLE_1)
	s_xor_b32 s14, exec_lo, s14
	s_cbranch_execz .LBB6_3172
; %bb.3155:                             ;   in Loop: Header=BB6_305 Depth=3
	s_and_saveexec_b32 s30, s1
	s_cbranch_execz .LBB6_3171
; %bb.3156:                             ;   in Loop: Header=BB6_305 Depth=3
	s_mov_b32 s34, exec_lo
	s_mov_b32 s31, exec_lo
	v_mbcnt_lo_u32_b32 v2, s34, 0
	;;#ASMSTART
	s_waitcnt lgkmcnt(0) vmcnt(0)
	;;#ASMEND
	s_delay_alu instid0(VALU_DEP_1)
	v_cmpx_eq_u32_e32 0, v2
	s_cbranch_execz .LBB6_3158
; %bb.3157:                             ;   in Loop: Header=BB6_305 Depth=3
	s_bcnt1_i32_b32 vcc_lo, s34
	s_delay_alu instid0(SALU_CYCLE_1)
	v_mov_b32_e32 v2, vcc_lo
	ds_add_u64 v0, v[2:3]
	s_cbranch_execz .LBB6_3158
; %bb.10237:
	s_getpc_b64 s[48:49]
.Lpost_getpc294:
	s_add_u32 s48, s48, (.LBB6_9841-.Lpost_getpc294)&4294967295
	s_addc_u32 s49, s49, (.LBB6_9841-.Lpost_getpc294)>>32
	s_setpc_b64 s[48:49]
.LBB6_3158:                             ;   in Loop: Header=BB6_305 Depth=3
	s_or_b32 exec_lo, exec_lo, s31
	s_cbranch_execz .LBB6_3159
; %bb.10239:
	s_getpc_b64 s[48:49]
.Lpost_getpc295:
	s_add_u32 s48, s48, (.LBB6_9819-.Lpost_getpc295)&4294967295
	s_addc_u32 s49, s49, (.LBB6_9819-.Lpost_getpc295)>>32
	s_setpc_b64 s[48:49]
.LBB6_3159:                             ;   in Loop: Header=BB6_305 Depth=3
	ds_load_b64 v[8:9], v0
	v_add_co_u32 v80, vcc_lo, v80, v129
	v_add_co_ci_u32_e32 v81, vcc_lo, 0, v81, vcc_lo
	s_mov_b32 s31, exec_lo
	s_waitcnt lgkmcnt(0)
	s_delay_alu instid0(VALU_DEP_1)
	v_cmpx_lt_u64_e64 v[8:9], v[80:81]
	s_cbranch_execz .LBB6_3170
; %bb.3160:                             ;   in Loop: Header=BB6_305 Depth=3
	s_mov_b32 s34, 0
	s_mov_b32 s37, 0
                                        ; implicit-def: $sgpr35
                                        ; implicit-def: $sgpr36
	s_branch .LBB6_3162
.LBB6_3161:                             ;   in Loop: Header=BB6_3162 Depth=4
	s_or_b32 exec_lo, exec_lo, s39
	s_delay_alu instid0(SALU_CYCLE_1) | instskip(NEXT) | instid1(SALU_CYCLE_1)
	s_and_b32 vcc_lo, exec_lo, vcc_lo
	s_or_b32 s34, vcc_lo, s34
	s_and_not1_b32 vcc_lo, s35, exec_lo
	s_and_b32 s35, s36, exec_lo
	s_delay_alu instid0(SALU_CYCLE_1)
	s_or_b32 s35, vcc_lo, s35
	s_and_not1_b32 exec_lo, exec_lo, s34
	s_cbranch_execz .LBB6_3168
.LBB6_3162:                             ;   Parent Loop BB6_51 Depth=1
                                        ;     Parent Loop BB6_303 Depth=2
                                        ;       Parent Loop BB6_305 Depth=3
                                        ; =>      This Inner Loop Header: Depth=4
	s_add_i32 s37, s37, 1
                                        ; implicit-def: $sgpr39
	s_delay_alu instid0(SALU_CYCLE_1) | instskip(SKIP_1) | instid1(SALU_CYCLE_1)
	s_cmpk_lg_i32 s37, 0x2710
	s_cselect_b32 s38, -1, 0
	s_and_b32 vcc_lo, exec_lo, s38
	s_cbranch_vccz .LBB6_3166
.LBB6_3163:                             ;   in Loop: Header=BB6_3162 Depth=4
	s_and_not1_b32 s36, s36, exec_lo
	s_and_b32 s39, s39, exec_lo
	s_mov_b32 vcc_lo, -1
	s_or_b32 s36, s36, s39
	s_and_saveexec_b32 s39, s38
	s_cbranch_execz .LBB6_3161
; %bb.3164:                             ;   in Loop: Header=BB6_3162 Depth=4
	s_sleep 1
	s_cbranch_execz .LBB6_3165
; %bb.10241:
	s_getpc_b64 s[48:49]
.Lpost_getpc296:
	s_add_u32 s48, s48, (.LBB6_9895-.Lpost_getpc296)&4294967295
	s_addc_u32 s49, s49, (.LBB6_9895-.Lpost_getpc296)>>32
	s_setpc_b64 s[48:49]
.LBB6_3165:                             ;   in Loop: Header=BB6_3162 Depth=4
	ds_load_b64 v[8:9], v0
	s_and_not1_b32 s36, s36, exec_lo
	s_waitcnt lgkmcnt(0)
	v_cmp_ge_u64_e32 vcc_lo, v[8:9], v[80:81]
	s_or_not1_b32 vcc_lo, vcc_lo, exec_lo
	s_branch .LBB6_3161
.LBB6_3166:                             ;   in Loop: Header=BB6_3162 Depth=4
	s_cbranch_execz .LBB6_3167
; %bb.10243:
	s_getpc_b64 s[48:49]
.Lpost_getpc297:
	s_add_u32 s48, s48, (.LBB6_9913-.Lpost_getpc297)&4294967295
	s_addc_u32 s49, s49, (.LBB6_9913-.Lpost_getpc297)>>32
	s_setpc_b64 s[48:49]
.LBB6_3167:                             ;   in Loop: Header=BB6_3162 Depth=4
	ds_load_b64 v[8:9], v0
	s_and_not1_b32 s38, s38, exec_lo
	s_mov_b32 s37, 0
	s_mov_b32 s39, -1
	s_waitcnt lgkmcnt(0)
	s_waitcnt_vscnt null, 0x0
	flat_load_b32 v2, v[8:9] glc
	s_waitcnt vmcnt(0) lgkmcnt(0)
	buffer_gl1_inv
	buffer_gl0_inv
	v_cmp_eq_u32_e32 vcc_lo, 0, v2
	s_and_b32 vcc_lo, vcc_lo, exec_lo
	s_delay_alu instid0(SALU_CYCLE_1)
	s_or_b32 s38, s38, vcc_lo
	s_branch .LBB6_3163
.LBB6_3168:                             ;   in Loop: Header=BB6_305 Depth=3
	s_or_b32 exec_lo, exec_lo, s34
	s_and_saveexec_b32 vcc_lo, s35
	s_delay_alu instid0(SALU_CYCLE_1)
	s_xor_b32 vcc_lo, exec_lo, vcc_lo
	s_cbranch_execz .LBB6_3170
; %bb.3169:                             ;   in Loop: Header=BB6_305 Depth=3
	ds_store_b32 v0, v176
	s_cbranch_execz .LBB6_3170
; %bb.10245:
	s_getpc_b64 s[48:49]
.Lpost_getpc298:
	s_add_u32 s48, s48, (.LBB6_10039-.Lpost_getpc298)&4294967295
	s_addc_u32 s49, s49, (.LBB6_10039-.Lpost_getpc298)>>32
	s_setpc_b64 s[48:49]
.LBB6_3170:                             ;   in Loop: Header=BB6_305 Depth=3
	s_or_b32 exec_lo, exec_lo, s31
	;;#ASMSTART
	s_wakeup
	;;#ASMEND
.LBB6_3171:                             ;   in Loop: Header=BB6_305 Depth=3
	s_or_b32 exec_lo, exec_lo, s30
.LBB6_3172:                             ;   in Loop: Header=BB6_305 Depth=3
	s_and_not1_saveexec_b32 s14, s14
	s_cbranch_execz .LBB6_3174
; %bb.3173:                             ;   in Loop: Header=BB6_305 Depth=3
	;;#ASMSTART
	s_waitcnt lgkmcnt(0) vmcnt(0)
	;;#ASMEND
	s_waitcnt lgkmcnt(0)
	s_waitcnt_vscnt null, 0x0
	s_barrier
.LBB6_3174:                             ;   in Loop: Header=BB6_305 Depth=3
	s_or_b32 exec_lo, exec_lo, s14
	v_and_b32_e32 v2, 16, v30
.LBB6_3175:                             ;   in Loop: Header=BB6_305 Depth=3
	s_or_b32 exec_lo, exec_lo, s13
	s_delay_alu instid0(VALU_DEP_1) | instskip(SKIP_1) | instid1(SALU_CYCLE_1)
	v_cmp_ne_u32_e32 vcc_lo, 0, v2
	s_xor_b32 s13, s10, -1
	s_and_b32 s14, vcc_lo, s13
	s_delay_alu instid0(SALU_CYCLE_1)
	s_and_saveexec_b32 s13, s14
	s_cbranch_execz .LBB6_3177
; %bb.3176:                             ;   in Loop: Header=BB6_305 Depth=3
	s_waitcnt lgkmcnt(0)
	s_waitcnt_vscnt null, 0x0
	flat_store_b32 v[70:71], v176
.LBB6_3177:                             ;   in Loop: Header=BB6_305 Depth=3
	s_or_b32 exec_lo, exec_lo, s13
	v_and_b32_e32 v2, 48, v30
	s_mov_b32 s13, exec_lo
	s_delay_alu instid0(VALU_DEP_1)
	v_cmpx_ne_u32_e32 0, v2
	s_cbranch_execz .LBB6_3179
; %bb.3178:                             ;   in Loop: Header=BB6_305 Depth=3
	v_add_co_u32 v66, vcc_lo, v66, 2
	v_add_co_ci_u32_e32 v67, vcc_lo, 0, v67, vcc_lo
	s_waitcnt lgkmcnt(0)
	s_waitcnt_vscnt null, 0x0
	flat_store_b64 v[64:65], v[66:67]
.LBB6_3179:                             ;   in Loop: Header=BB6_305 Depth=3
	s_or_b32 exec_lo, exec_lo, s13
	v_add_nc_u32_e32 v180, v100, v180
	v_readlane_b32 s13, v122, 10
	v_readlane_b32 s31, v122, 5
	v_readlane_b32 s34, v122, 6
	v_readlane_b32 s30, v122, 8
	v_cmp_ge_i32_e32 vcc_lo, v180, v179
	s_xor_b32 s13, s13, -1
	v_readlane_b32 s35, v122, 7
	s_mov_b32 s36, 0
	s_mov_b32 s37, 2
	s_or_b32 s13, s13, vcc_lo
	s_delay_alu instid0(SALU_CYCLE_1) | instskip(SKIP_3) | instid1(VALU_DEP_2)
	s_and_b32 s14, exec_lo, s13
	v_readlane_b32 s13, v122, 11
	s_or_b32 s17, s14, s17
	v_readlane_b32 s14, v122, 4
	v_mov_b32_e32 v2, s13
	s_and_not1_b32 exec_lo, exec_lo, s17
	s_cbranch_execnz .LBB6_305
; %bb.3180:                             ;   in Loop: Header=BB6_303 Depth=2
	s_or_b32 exec_lo, exec_lo, s17
.LBB6_3181:                             ;   in Loop: Header=BB6_303 Depth=2
	s_delay_alu instid0(SALU_CYCLE_1) | instskip(NEXT) | instid1(SALU_CYCLE_1)
	s_or_b32 exec_lo, exec_lo, s16
	s_mov_b32 s16, exec_lo
	v_cmpx_gt_i32_e32 2, v2
	s_cbranch_execz .LBB6_3267
; %bb.3182:                             ;   in Loop: Header=BB6_303 Depth=2
	v_cmp_eq_u32_e64 s13, 0, v2
	s_mov_b32 s17, 0
.LBB6_3183:                             ;   Parent Loop BB6_51 Depth=1
                                        ;     Parent Loop BB6_303 Depth=2
                                        ; =>    This Loop Header: Depth=3
                                        ;         Child Loop BB6_3189 Depth 4
                                        ;         Child Loop BB6_3221 Depth 4
	;; [unrolled: 1-line block ×3, first 2 shown]
	v_and_b32_e32 v2, 12, v30
	s_mov_b32 s37, -1
	s_mov_b32 s36, exec_lo
	s_delay_alu instid0(VALU_DEP_1)
	v_cmpx_ne_u32_e32 0, v2
	s_cbranch_execz .LBB6_3197
; %bb.3184:                             ;   in Loop: Header=BB6_3183 Depth=3
	v_and_b32_e32 v2, 8, v30
	s_delay_alu instid0(VALU_DEP_1) | instskip(SKIP_3) | instid1(VALU_DEP_1)
	v_add_co_u32 v10, vcc_lo, v82, v2
	v_add_co_ci_u32_e32 v11, vcc_lo, 0, v83, vcc_lo
	v_add_co_u32 v8, vcc_lo, v66, 2
	v_add_co_ci_u32_e32 v9, vcc_lo, 0, v67, vcc_lo
	v_cmp_lt_u64_e32 vcc_lo, v[10:11], v[8:9]
	v_mov_b32_e32 v10, 1
	s_and_saveexec_b32 s37, vcc_lo
	s_cbranch_execz .LBB6_3196
; %bb.3185:                             ;   in Loop: Header=BB6_3183 Depth=3
	v_mov_b32_e32 v10, 0
	s_mov_b32 s38, 0
                                        ; implicit-def: $sgpr39
	s_branch .LBB6_3189
.LBB6_3186:                             ;   in Loop: Header=BB6_3189 Depth=4
	s_or_b32 exec_lo, exec_lo, s43
	v_mov_b32_e32 v11, 0
	s_or_not1_b32 s42, s42, exec_lo
.LBB6_3187:                             ;   in Loop: Header=BB6_3189 Depth=4
	s_or_b32 exec_lo, exec_lo, s41
	s_delay_alu instid0(VALU_DEP_1) | instskip(SKIP_2) | instid1(SALU_CYCLE_1)
	v_mov_b32_e32 v10, v11
	s_and_not1_b32 vcc_lo, s39, exec_lo
	s_and_b32 s39, s42, exec_lo
	s_or_b32 s39, vcc_lo, s39
.LBB6_3188:                             ;   in Loop: Header=BB6_3189 Depth=4
	s_or_b32 exec_lo, exec_lo, s40
	s_waitcnt vmcnt(0) lgkmcnt(0)
	v_add_co_u32 v11, vcc_lo, v82, v2
	v_add_co_ci_u32_e32 v12, vcc_lo, 0, v83, vcc_lo
	s_xor_b32 s40, s39, -1
	s_delay_alu instid0(VALU_DEP_1) | instskip(SKIP_1) | instid1(SALU_CYCLE_1)
	v_cmp_ge_u64_e32 vcc_lo, v[11:12], v[8:9]
	s_or_b32 vcc_lo, s40, vcc_lo
	s_and_b32 vcc_lo, exec_lo, vcc_lo
	s_delay_alu instid0(SALU_CYCLE_1) | instskip(NEXT) | instid1(SALU_CYCLE_1)
	s_or_b32 s38, vcc_lo, s38
	s_and_not1_b32 exec_lo, exec_lo, s38
	s_cbranch_execz .LBB6_3195
.LBB6_3189:                             ;   Parent Loop BB6_51 Depth=1
                                        ;     Parent Loop BB6_303 Depth=2
                                        ;       Parent Loop BB6_3183 Depth=3
                                        ; =>      This Inner Loop Header: Depth=4
	s_sleep 1
	flat_load_b64 v[82:83], v[64:65] glc
	v_and_b32_e32 v11, 64, v30
	s_and_not1_b32 s39, s39, exec_lo
	s_mov_b32 s40, exec_lo
	s_delay_alu instid0(VALU_DEP_1)
	v_cmpx_eq_u32_e32 0, v11
	s_cbranch_execz .LBB6_3188
; %bb.3190:                             ;   in Loop: Header=BB6_3189 Depth=4
	v_add_nc_u32_e32 v11, 1, v10
	s_mov_b32 s42, -1
	s_mov_b32 s41, exec_lo
	v_cmpx_lt_i32_e32 0x270e, v10
	s_cbranch_execz .LBB6_3187
; %bb.3191:                             ;   in Loop: Header=BB6_3189 Depth=4
	s_cbranch_execz .LBB6_3192
; %bb.10247:
	s_getpc_b64 s[48:49]
.Lpost_getpc299:
	s_add_u32 s48, s48, (.LBB6_9639-.Lpost_getpc299)&4294967295
	s_addc_u32 s49, s49, (.LBB6_9639-.Lpost_getpc299)>>32
	s_setpc_b64 s[48:49]
.LBB6_3192:                             ;   in Loop: Header=BB6_3189 Depth=4
	ds_load_b64 v[10:11], v0
	s_mov_b32 s43, exec_lo
	s_waitcnt vmcnt(0) lgkmcnt(0)
	s_waitcnt_vscnt null, 0x0
	flat_load_b32 v10, v[10:11] glc
	s_waitcnt vmcnt(0) lgkmcnt(0)
	buffer_gl1_inv
	buffer_gl0_inv
	v_cmpx_ne_u32_e32 0, v10
	s_cbranch_execz .LBB6_3186
; %bb.3193:                             ;   in Loop: Header=BB6_3189 Depth=4
	ds_store_b32 v0, v10
	s_cbranch_execz .LBB6_3194
; %bb.10249:
	s_getpc_b64 s[48:49]
.Lpost_getpc300:
	s_add_u32 s48, s48, (.LBB6_9687-.Lpost_getpc300)&4294967295
	s_addc_u32 s49, s49, (.LBB6_9687-.Lpost_getpc300)>>32
	s_setpc_b64 s[48:49]
.LBB6_3194:                             ;   in Loop: Header=BB6_3189 Depth=4
	v_or_b32_e32 v30, 64, v30
	s_xor_b32 s42, exec_lo, -1
	s_branch .LBB6_3186
.LBB6_3195:                             ;   in Loop: Header=BB6_3183 Depth=3
	s_or_b32 exec_lo, exec_lo, s38
	v_and_b32_e32 v10, 12, v30
.LBB6_3196:                             ;   in Loop: Header=BB6_3183 Depth=3
	s_or_b32 exec_lo, exec_lo, s37
	s_delay_alu instid0(VALU_DEP_1)
	v_cmp_eq_u32_e32 vcc_lo, 0, v10
	;;#ASMSTART
	s_wakeup
	;;#ASMEND
	s_or_not1_b32 s37, vcc_lo, exec_lo
.LBB6_3197:                             ;   in Loop: Header=BB6_3183 Depth=3
	s_or_b32 exec_lo, exec_lo, s36
	v_sub_nc_u32_e32 v2, v179, v180
	s_xor_b32 s13, s13, -1
	s_delay_alu instid0(SALU_CYCLE_1) | instskip(NEXT) | instid1(SALU_CYCLE_1)
	s_and_b32 s13, exec_lo, s13
	s_or_b32 s17, s13, s17
	s_delay_alu instid0(VALU_DEP_1) | instskip(SKIP_1) | instid1(SALU_CYCLE_1)
	v_min_i32_e32 v100, v100, v2
	s_xor_b32 s13, s37, -1
	s_and_saveexec_b32 s36, s13
	s_cbranch_execz .LBB6_3212
; %bb.3198:                             ;   in Loop: Header=BB6_3183 Depth=3
	v_and_b32_e32 v2, 0x108, v30
	s_mov_b32 s13, exec_lo
	s_delay_alu instid0(VALU_DEP_1)
	v_cmpx_ne_u32_e32 0x108, v2
	s_xor_b32 s13, exec_lo, s13
                                        ; implicit-def: $vgpr8_vgpr9
; %bb.3199:                             ;   in Loop: Header=BB6_3183 Depth=3
	v_and_b32_e32 v8, 7, v66
; %bb.3200:                             ;   in Loop: Header=BB6_3183 Depth=3
	s_and_not1_saveexec_b32 s13, s13
	s_cbranch_execz .LBB6_3202
; %bb.3201:                             ;   in Loop: Header=BB6_3183 Depth=3
	v_and_b32_e32 v8, 7, v66
	v_ashrrev_i32_e32 v101, 31, v100
	s_delay_alu instid0(VALU_DEP_2)
	v_mad_u64_u32 v[9:10], null, v8, 24, v[6:7]
	flat_store_b64 v[9:10], v[100:101] offset:8
.LBB6_3202:                             ;   in Loop: Header=BB6_3183 Depth=3
	s_or_b32 exec_lo, exec_lo, s13
	v_and_b32_e32 v2, 0x100, v30
	s_mov_b32 s13, -1
	s_mov_b32 s37, exec_lo
                                        ; implicit-def: $vgpr9_vgpr10
	s_delay_alu instid0(VALU_DEP_1)
	v_cmpx_ne_u32_e32 0, v2
	s_cbranch_execnz .LBB6_3205
; %bb.3203:                             ;   in Loop: Header=BB6_3183 Depth=3
	s_or_b32 exec_lo, exec_lo, s37
	s_and_saveexec_b32 vcc_lo, s13
	s_cbranch_execnz .LBB6_3208
.LBB6_3204:                             ;   in Loop: Header=BB6_3183 Depth=3
	s_or_b32 exec_lo, exec_lo, vcc_lo
	s_cbranch_execz .LBB6_3209
; %bb.10251:
	s_getpc_b64 s[48:49]
.Lpost_getpc301:
	s_add_u32 s48, s48, (.LBB6_9631-.Lpost_getpc301)&4294967295
	s_addc_u32 s49, s49, (.LBB6_9631-.Lpost_getpc301)>>32
	s_setpc_b64 s[48:49]
.LBB6_3205:                             ;   in Loop: Header=BB6_3183 Depth=3
	v_mad_u64_u32 v[11:12], null, v8, 24, v[6:7]
	s_mov_b32 s38, exec_lo
	s_delay_alu instid0(VALU_DEP_1) | instskip(NEXT) | instid1(VALU_DEP_1)
	v_mov_b32_e32 v2, v12
	v_mad_u64_u32 v[9:10], null, v3, 24, v[2:3]
	s_delay_alu instid0(VALU_DEP_1)
	v_mov_b32_e32 v12, v9
                                        ; implicit-def: $vgpr9_vgpr10
	flat_load_b32 v2, v[11:12]
	s_waitcnt vmcnt(0) lgkmcnt(0)
	v_cmp_ne_u32_e32 vcc_lo, 1, v2
	v_cmpx_eq_u32_e32 1, v2
	s_cbranch_execz .LBB6_3207
; %bb.3206:                             ;   in Loop: Header=BB6_3183 Depth=3
	flat_load_b32 v9, v[11:12] offset:4 glc
	s_waitcnt vmcnt(0) lgkmcnt(0)
	v_ashrrev_i32_e32 v10, 31, v9
.LBB6_3207:                             ;   in Loop: Header=BB6_3183 Depth=3
	s_or_b32 exec_lo, exec_lo, s38
	s_delay_alu instid0(SALU_CYCLE_1)
	s_or_not1_b32 s13, vcc_lo, exec_lo
	s_or_b32 exec_lo, exec_lo, s37
	s_and_saveexec_b32 vcc_lo, s13
	s_cbranch_execz .LBB6_3204
.LBB6_3208:                             ;   in Loop: Header=BB6_3183 Depth=3
	v_mul_lo_u32 v2, v3, v118
	v_mul_lo_u32 v11, v8, v128
	v_mad_u64_u32 v[9:10], null, v8, v118, 0
	s_delay_alu instid0(VALU_DEP_1)
	v_add3_u32 v10, v10, v11, v2
	s_or_b32 exec_lo, exec_lo, vcc_lo
	s_cbranch_execz .LBB6_3209
; %bb.10253:
	s_getpc_b64 s[48:49]
.Lpost_getpc302:
	s_add_u32 s48, s48, (.LBB6_9631-.Lpost_getpc302)&4294967295
	s_addc_u32 s49, s49, (.LBB6_9631-.Lpost_getpc302)>>32
	s_setpc_b64 s[48:49]
.LBB6_3209:                             ;   in Loop: Header=BB6_3183 Depth=3
	s_delay_alu instid0(VALU_DEP_2)
	v_add_co_u32 v8, vcc_lo, v68, v9
	v_and_b32_e32 v2, 0x2000, v30
	v_add_co_ci_u32_e32 v9, vcc_lo, v69, v10, vcc_lo
	s_mov_b32 s13, exec_lo
	ds_store_b64 v0, v[8:9]
	v_cmpx_ne_u32_e32 0, v2
	s_cbranch_execz .LBB6_3211
; %bb.3210:                             ;   in Loop: Header=BB6_3183 Depth=3
	ds_load_b64 v[8:9], v0 offset:584
	s_waitcnt lgkmcnt(0)
	v_add_co_u32 v8, vcc_lo, v8, 1
	v_add_co_ci_u32_e32 v9, vcc_lo, 0, v9, vcc_lo
	ds_store_b64 v0, v[8:9] offset:584
.LBB6_3211:                             ;   in Loop: Header=BB6_3183 Depth=3
	s_or_b32 exec_lo, exec_lo, s13
	v_add_co_u32 v66, vcc_lo, v66, 2
	v_add_co_ci_u32_e32 v67, vcc_lo, 0, v67, vcc_lo
.LBB6_3212:                             ;   in Loop: Header=BB6_3183 Depth=3
	s_or_b32 exec_lo, exec_lo, s36
	s_and_saveexec_b32 s13, s3
	s_cbranch_execz .LBB6_3234
; %bb.3213:                             ;   in Loop: Header=BB6_3183 Depth=3
	s_and_saveexec_b32 vcc_lo, s4
	s_delay_alu instid0(SALU_CYCLE_1)
	s_xor_b32 s36, exec_lo, vcc_lo
	s_cbranch_execz .LBB6_3231
; %bb.3214:                             ;   in Loop: Header=BB6_3183 Depth=3
	s_and_saveexec_b32 s37, s1
	s_cbranch_execz .LBB6_3230
; %bb.3215:                             ;   in Loop: Header=BB6_3183 Depth=3
	s_mov_b32 s39, exec_lo
	s_mov_b32 s38, exec_lo
	v_mbcnt_lo_u32_b32 v2, s39, 0
	s_waitcnt lgkmcnt(0)
	s_waitcnt_vscnt null, 0x0
	buffer_gl1_inv
	buffer_gl0_inv
	v_cmpx_eq_u32_e32 0, v2
	s_cbranch_execz .LBB6_3217
; %bb.3216:                             ;   in Loop: Header=BB6_3183 Depth=3
	s_bcnt1_i32_b32 vcc_lo, s39
	s_delay_alu instid0(SALU_CYCLE_1)
	v_mov_b32_e32 v2, vcc_lo
	ds_add_u64 v0, v[2:3]
	s_cbranch_execz .LBB6_3217
; %bb.10255:
	s_getpc_b64 s[48:49]
.Lpost_getpc303:
	s_add_u32 s48, s48, (.LBB6_9741-.Lpost_getpc303)&4294967295
	s_addc_u32 s49, s49, (.LBB6_9741-.Lpost_getpc303)>>32
	s_setpc_b64 s[48:49]
.LBB6_3217:                             ;   in Loop: Header=BB6_3183 Depth=3
	s_or_b32 exec_lo, exec_lo, s38
	s_cbranch_execz .LBB6_3218
; %bb.10257:
	s_getpc_b64 s[48:49]
.Lpost_getpc304:
	s_add_u32 s48, s48, (.LBB6_9707-.Lpost_getpc304)&4294967295
	s_addc_u32 s49, s49, (.LBB6_9707-.Lpost_getpc304)>>32
	s_setpc_b64 s[48:49]
.LBB6_3218:                             ;   in Loop: Header=BB6_3183 Depth=3
	ds_load_b64 v[8:9], v0
	v_add_co_u32 v80, vcc_lo, v80, v129
	v_add_co_ci_u32_e32 v81, vcc_lo, 0, v81, vcc_lo
	s_mov_b32 s38, exec_lo
	s_waitcnt lgkmcnt(0)
	s_delay_alu instid0(VALU_DEP_1)
	v_cmpx_lt_u64_e64 v[8:9], v[80:81]
	s_cbranch_execz .LBB6_3229
; %bb.3219:                             ;   in Loop: Header=BB6_3183 Depth=3
	s_mov_b32 s39, 0
	s_mov_b32 s42, 0
                                        ; implicit-def: $sgpr40
                                        ; implicit-def: $sgpr41
	s_branch .LBB6_3221
.LBB6_3220:                             ;   in Loop: Header=BB6_3221 Depth=4
	s_or_b32 exec_lo, exec_lo, s44
	s_delay_alu instid0(SALU_CYCLE_1) | instskip(NEXT) | instid1(SALU_CYCLE_1)
	s_and_b32 vcc_lo, exec_lo, vcc_lo
	s_or_b32 s39, vcc_lo, s39
	s_and_not1_b32 vcc_lo, s40, exec_lo
	s_and_b32 s40, s41, exec_lo
	s_delay_alu instid0(SALU_CYCLE_1)
	s_or_b32 s40, vcc_lo, s40
	s_and_not1_b32 exec_lo, exec_lo, s39
	s_cbranch_execz .LBB6_3227
.LBB6_3221:                             ;   Parent Loop BB6_51 Depth=1
                                        ;     Parent Loop BB6_303 Depth=2
                                        ;       Parent Loop BB6_3183 Depth=3
                                        ; =>      This Inner Loop Header: Depth=4
	s_add_i32 s42, s42, 1
                                        ; implicit-def: $sgpr44
	s_delay_alu instid0(SALU_CYCLE_1) | instskip(SKIP_1) | instid1(SALU_CYCLE_1)
	s_cmpk_lg_i32 s42, 0x2710
	s_cselect_b32 s43, -1, 0
	s_and_b32 vcc_lo, exec_lo, s43
	s_cbranch_vccz .LBB6_3225
.LBB6_3222:                             ;   in Loop: Header=BB6_3221 Depth=4
	s_and_not1_b32 s41, s41, exec_lo
	s_and_b32 s44, s44, exec_lo
	s_mov_b32 vcc_lo, -1
	s_or_b32 s41, s41, s44
	s_and_saveexec_b32 s44, s43
	s_cbranch_execz .LBB6_3220
; %bb.3223:                             ;   in Loop: Header=BB6_3221 Depth=4
	s_sleep 1
	s_cbranch_execz .LBB6_3224
; %bb.10259:
	s_getpc_b64 s[48:49]
.Lpost_getpc305:
	s_add_u32 s48, s48, (.LBB6_9789-.Lpost_getpc305)&4294967295
	s_addc_u32 s49, s49, (.LBB6_9789-.Lpost_getpc305)>>32
	s_setpc_b64 s[48:49]
.LBB6_3224:                             ;   in Loop: Header=BB6_3221 Depth=4
	ds_load_b64 v[8:9], v0
	s_and_not1_b32 s41, s41, exec_lo
	s_waitcnt lgkmcnt(0)
	v_cmp_ge_u64_e32 vcc_lo, v[8:9], v[80:81]
	s_or_not1_b32 vcc_lo, vcc_lo, exec_lo
	s_branch .LBB6_3220
.LBB6_3225:                             ;   in Loop: Header=BB6_3221 Depth=4
	s_cbranch_execz .LBB6_3226
; %bb.10261:
	s_getpc_b64 s[48:49]
.Lpost_getpc306:
	s_add_u32 s48, s48, (.LBB6_9799-.Lpost_getpc306)&4294967295
	s_addc_u32 s49, s49, (.LBB6_9799-.Lpost_getpc306)>>32
	s_setpc_b64 s[48:49]
.LBB6_3226:                             ;   in Loop: Header=BB6_3221 Depth=4
	ds_load_b64 v[8:9], v0
	s_and_not1_b32 s43, s43, exec_lo
	s_mov_b32 s42, 0
	s_mov_b32 s44, -1
	s_waitcnt lgkmcnt(0)
	flat_load_b32 v2, v[8:9] glc
	s_waitcnt vmcnt(0) lgkmcnt(0)
	buffer_gl1_inv
	buffer_gl0_inv
	v_cmp_eq_u32_e32 vcc_lo, 0, v2
	s_and_b32 vcc_lo, vcc_lo, exec_lo
	s_delay_alu instid0(SALU_CYCLE_1)
	s_or_b32 s43, s43, vcc_lo
	s_branch .LBB6_3222
.LBB6_3227:                             ;   in Loop: Header=BB6_3183 Depth=3
	s_or_b32 exec_lo, exec_lo, s39
	s_and_saveexec_b32 vcc_lo, s40
	s_delay_alu instid0(SALU_CYCLE_1)
	s_xor_b32 vcc_lo, exec_lo, vcc_lo
	s_cbranch_execz .LBB6_3229
; %bb.3228:                             ;   in Loop: Header=BB6_3183 Depth=3
	ds_store_b32 v0, v176
	s_cbranch_execz .LBB6_3229
; %bb.10263:
	s_getpc_b64 s[48:49]
.Lpost_getpc307:
	s_add_u32 s48, s48, (.LBB6_9999-.Lpost_getpc307)&4294967295
	s_addc_u32 s49, s49, (.LBB6_9999-.Lpost_getpc307)>>32
	s_setpc_b64 s[48:49]
.LBB6_3229:                             ;   in Loop: Header=BB6_3183 Depth=3
	s_or_b32 exec_lo, exec_lo, s38
	;;#ASMSTART
	s_wakeup
	;;#ASMEND
.LBB6_3230:                             ;   in Loop: Header=BB6_3183 Depth=3
	s_or_b32 exec_lo, exec_lo, s37
.LBB6_3231:                             ;   in Loop: Header=BB6_3183 Depth=3
	s_and_not1_saveexec_b32 vcc_lo, s36
	s_cbranch_execz .LBB6_3233
; %bb.3232:                             ;   in Loop: Header=BB6_3183 Depth=3
	s_waitcnt lgkmcnt(0)
	s_waitcnt_vscnt null, 0x0
	buffer_gl1_inv
	buffer_gl0_inv
	s_barrier
.LBB6_3233:                             ;   in Loop: Header=BB6_3183 Depth=3
	s_or_b32 exec_lo, exec_lo, vcc_lo
.LBB6_3234:                             ;   in Loop: Header=BB6_3183 Depth=3
	s_delay_alu instid0(SALU_CYCLE_1) | instskip(SKIP_1) | instid1(SALU_CYCLE_1)
	s_or_b32 exec_lo, exec_lo, s13
                                        ; implicit-def: $vgpr2
	s_and_saveexec_b32 s13, vcc_hi
	s_xor_b32 s13, exec_lo, s13
	s_cbranch_execz .LBB6_3256
; %bb.3235:                             ;   in Loop: Header=BB6_3183 Depth=3
	s_and_saveexec_b32 vcc_lo, s4
	s_delay_alu instid0(SALU_CYCLE_1)
	s_xor_b32 s36, exec_lo, vcc_lo
	s_cbranch_execz .LBB6_3253
; %bb.3236:                             ;   in Loop: Header=BB6_3183 Depth=3
	s_and_saveexec_b32 s37, s1
	s_cbranch_execz .LBB6_3252
; %bb.3237:                             ;   in Loop: Header=BB6_3183 Depth=3
	s_mov_b32 s39, exec_lo
	s_mov_b32 s38, exec_lo
	v_mbcnt_lo_u32_b32 v2, s39, 0
	;;#ASMSTART
	s_waitcnt lgkmcnt(0) vmcnt(0)
	;;#ASMEND
	s_delay_alu instid0(VALU_DEP_1)
	v_cmpx_eq_u32_e32 0, v2
	s_cbranch_execz .LBB6_3239
; %bb.3238:                             ;   in Loop: Header=BB6_3183 Depth=3
	s_bcnt1_i32_b32 vcc_lo, s39
	s_delay_alu instid0(SALU_CYCLE_1)
	v_mov_b32_e32 v2, vcc_lo
	ds_add_u64 v0, v[2:3]
	s_cbranch_execz .LBB6_3239
; %bb.10265:
	s_getpc_b64 s[48:49]
.Lpost_getpc308:
	s_add_u32 s48, s48, (.LBB6_9749-.Lpost_getpc308)&4294967295
	s_addc_u32 s49, s49, (.LBB6_9749-.Lpost_getpc308)>>32
	s_setpc_b64 s[48:49]
.LBB6_3239:                             ;   in Loop: Header=BB6_3183 Depth=3
	s_or_b32 exec_lo, exec_lo, s38
	s_cbranch_execz .LBB6_3240
; %bb.10267:
	s_getpc_b64 s[48:49]
.Lpost_getpc309:
	s_add_u32 s48, s48, (.LBB6_9717-.Lpost_getpc309)&4294967295
	s_addc_u32 s49, s49, (.LBB6_9717-.Lpost_getpc309)>>32
	s_setpc_b64 s[48:49]
.LBB6_3240:                             ;   in Loop: Header=BB6_3183 Depth=3
	ds_load_b64 v[8:9], v0
	v_add_co_u32 v80, vcc_lo, v80, v129
	v_add_co_ci_u32_e32 v81, vcc_lo, 0, v81, vcc_lo
	s_mov_b32 s38, exec_lo
	s_waitcnt lgkmcnt(0)
	s_delay_alu instid0(VALU_DEP_1)
	v_cmpx_lt_u64_e64 v[8:9], v[80:81]
	s_cbranch_execz .LBB6_3251
; %bb.3241:                             ;   in Loop: Header=BB6_3183 Depth=3
	s_mov_b32 s39, 0
	s_mov_b32 s42, 0
                                        ; implicit-def: $sgpr40
                                        ; implicit-def: $sgpr41
	s_branch .LBB6_3243
.LBB6_3242:                             ;   in Loop: Header=BB6_3243 Depth=4
	s_or_b32 exec_lo, exec_lo, s44
	s_delay_alu instid0(SALU_CYCLE_1) | instskip(NEXT) | instid1(SALU_CYCLE_1)
	s_and_b32 vcc_lo, exec_lo, vcc_lo
	s_or_b32 s39, vcc_lo, s39
	s_and_not1_b32 vcc_lo, s40, exec_lo
	s_and_b32 s40, s41, exec_lo
	s_delay_alu instid0(SALU_CYCLE_1)
	s_or_b32 s40, vcc_lo, s40
	s_and_not1_b32 exec_lo, exec_lo, s39
	s_cbranch_execz .LBB6_3249
.LBB6_3243:                             ;   Parent Loop BB6_51 Depth=1
                                        ;     Parent Loop BB6_303 Depth=2
                                        ;       Parent Loop BB6_3183 Depth=3
                                        ; =>      This Inner Loop Header: Depth=4
	s_add_i32 s42, s42, 1
                                        ; implicit-def: $sgpr44
	s_delay_alu instid0(SALU_CYCLE_1) | instskip(SKIP_1) | instid1(SALU_CYCLE_1)
	s_cmpk_lg_i32 s42, 0x2710
	s_cselect_b32 s43, -1, 0
	s_and_b32 vcc_lo, exec_lo, s43
	s_cbranch_vccz .LBB6_3247
.LBB6_3244:                             ;   in Loop: Header=BB6_3243 Depth=4
	s_and_not1_b32 s41, s41, exec_lo
	s_and_b32 s44, s44, exec_lo
	s_mov_b32 vcc_lo, -1
	s_or_b32 s41, s41, s44
	s_and_saveexec_b32 s44, s43
	s_cbranch_execz .LBB6_3242
; %bb.3245:                             ;   in Loop: Header=BB6_3243 Depth=4
	s_sleep 1
	s_cbranch_execz .LBB6_3246
; %bb.10269:
	s_getpc_b64 s[48:49]
.Lpost_getpc310:
	s_add_u32 s48, s48, (.LBB6_9793-.Lpost_getpc310)&4294967295
	s_addc_u32 s49, s49, (.LBB6_9793-.Lpost_getpc310)>>32
	s_setpc_b64 s[48:49]
.LBB6_3246:                             ;   in Loop: Header=BB6_3243 Depth=4
	ds_load_b64 v[8:9], v0
	s_and_not1_b32 s41, s41, exec_lo
	s_waitcnt lgkmcnt(0)
	v_cmp_ge_u64_e32 vcc_lo, v[8:9], v[80:81]
	s_or_not1_b32 vcc_lo, vcc_lo, exec_lo
	s_branch .LBB6_3242
.LBB6_3247:                             ;   in Loop: Header=BB6_3243 Depth=4
	s_cbranch_execz .LBB6_3248
; %bb.10271:
	s_getpc_b64 s[48:49]
.Lpost_getpc311:
	s_add_u32 s48, s48, (.LBB6_9811-.Lpost_getpc311)&4294967295
	s_addc_u32 s49, s49, (.LBB6_9811-.Lpost_getpc311)>>32
	s_setpc_b64 s[48:49]
.LBB6_3248:                             ;   in Loop: Header=BB6_3243 Depth=4
	ds_load_b64 v[8:9], v0
	s_and_not1_b32 s43, s43, exec_lo
	s_mov_b32 s42, 0
	s_mov_b32 s44, -1
	s_waitcnt lgkmcnt(0)
	s_waitcnt_vscnt null, 0x0
	flat_load_b32 v2, v[8:9] glc
	s_waitcnt vmcnt(0) lgkmcnt(0)
	buffer_gl1_inv
	buffer_gl0_inv
	v_cmp_eq_u32_e32 vcc_lo, 0, v2
	s_and_b32 vcc_lo, vcc_lo, exec_lo
	s_delay_alu instid0(SALU_CYCLE_1)
	s_or_b32 s43, s43, vcc_lo
	s_branch .LBB6_3244
.LBB6_3249:                             ;   in Loop: Header=BB6_3183 Depth=3
	s_or_b32 exec_lo, exec_lo, s39
	s_and_saveexec_b32 vcc_lo, s40
	s_delay_alu instid0(SALU_CYCLE_1)
	s_xor_b32 vcc_lo, exec_lo, vcc_lo
	s_cbranch_execz .LBB6_3251
; %bb.3250:                             ;   in Loop: Header=BB6_3183 Depth=3
	ds_store_b32 v0, v176
	s_cbranch_execz .LBB6_3251
; %bb.10273:
	s_getpc_b64 s[48:49]
.Lpost_getpc312:
	s_add_u32 s48, s48, (.LBB6_10003-.Lpost_getpc312)&4294967295
	s_addc_u32 s49, s49, (.LBB6_10003-.Lpost_getpc312)>>32
	s_setpc_b64 s[48:49]
.LBB6_3251:                             ;   in Loop: Header=BB6_3183 Depth=3
	s_or_b32 exec_lo, exec_lo, s38
	;;#ASMSTART
	s_wakeup
	;;#ASMEND
.LBB6_3252:                             ;   in Loop: Header=BB6_3183 Depth=3
	s_or_b32 exec_lo, exec_lo, s37
.LBB6_3253:                             ;   in Loop: Header=BB6_3183 Depth=3
	s_and_not1_saveexec_b32 vcc_lo, s36
	s_cbranch_execz .LBB6_3255
; %bb.3254:                             ;   in Loop: Header=BB6_3183 Depth=3
	;;#ASMSTART
	s_waitcnt lgkmcnt(0) vmcnt(0)
	;;#ASMEND
	s_waitcnt lgkmcnt(0)
	s_waitcnt_vscnt null, 0x0
	s_barrier
.LBB6_3255:                             ;   in Loop: Header=BB6_3183 Depth=3
	s_or_b32 exec_lo, exec_lo, vcc_lo
	v_and_b32_e32 v2, 16, v30
.LBB6_3256:                             ;   in Loop: Header=BB6_3183 Depth=3
	s_and_not1_saveexec_b32 s36, s13
	s_cbranch_execz .LBB6_3261
; %bb.3257:                             ;   in Loop: Header=BB6_3183 Depth=3
	s_cbranch_execz .LBB6_3258
; %bb.10275:
	s_getpc_b64 s[48:49]
.Lpost_getpc313:
	s_add_u32 s48, s48, (.LBB6_9653-.Lpost_getpc313)&4294967295
	s_addc_u32 s49, s49, (.LBB6_9653-.Lpost_getpc313)>>32
	s_setpc_b64 s[48:49]
.LBB6_3258:                             ;   in Loop: Header=BB6_3183 Depth=3
	ds_load_b32 v2, v0
	v_cmp_lt_i32_e32 vcc_lo, 0, v100
	s_waitcnt lgkmcnt(0)
	v_readfirstlane_b32 s13, v2
	v_and_b32_e32 v2, 16, v30
	s_delay_alu instid0(VALU_DEP_2) | instskip(NEXT) | instid1(VALU_DEP_1)
	s_cmp_eq_u32 s13, 0
	v_cmp_ne_u32_e64 s13, 0, v2
	s_cselect_b32 s37, -1, 0
	v_and_b32_e32 v2, 16, v30
	s_and_b32 vcc_lo, vcc_lo, s37
	s_delay_alu instid0(VALU_DEP_2) | instid1(SALU_CYCLE_1)
	s_and_b32 vcc_lo, s13, vcc_lo
	s_delay_alu instid0(SALU_CYCLE_1)
	s_and_saveexec_b32 s13, vcc_lo
	s_cbranch_execz .LBB6_3260
; %bb.3259:                             ;   in Loop: Header=BB6_3183 Depth=3
	v_mov_b32_e32 v2, 1
	s_waitcnt_vscnt null, 0x0
	buffer_gl1_inv
	buffer_gl0_inv
.LBB6_3260:                             ;   in Loop: Header=BB6_3183 Depth=3
	s_or_b32 exec_lo, exec_lo, s13
.LBB6_3261:                             ;   in Loop: Header=BB6_3183 Depth=3
	s_delay_alu instid0(SALU_CYCLE_1) | instskip(NEXT) | instid1(VALU_DEP_1)
	s_or_b32 exec_lo, exec_lo, s36
	v_cmp_ne_u32_e32 vcc_lo, 0, v2
	s_xor_b32 s13, s10, -1
	s_delay_alu instid0(SALU_CYCLE_1) | instskip(NEXT) | instid1(SALU_CYCLE_1)
	s_and_b32 vcc_lo, vcc_lo, s13
	s_and_saveexec_b32 s13, vcc_lo
	s_cbranch_execz .LBB6_3263
; %bb.3262:                             ;   in Loop: Header=BB6_3183 Depth=3
	s_waitcnt lgkmcnt(0)
	s_waitcnt_vscnt null, 0x0
	flat_store_b32 v[70:71], v176
.LBB6_3263:                             ;   in Loop: Header=BB6_3183 Depth=3
	s_or_b32 exec_lo, exec_lo, s13
	v_and_b32_e32 v2, 48, v30
	s_mov_b32 s13, exec_lo
	s_delay_alu instid0(VALU_DEP_1)
	v_cmpx_ne_u32_e32 0, v2
	s_cbranch_execz .LBB6_3265
; %bb.3264:                             ;   in Loop: Header=BB6_3183 Depth=3
	v_add_co_u32 v66, vcc_lo, v66, 2
	v_add_co_ci_u32_e32 v67, vcc_lo, 0, v67, vcc_lo
	s_waitcnt lgkmcnt(0)
	s_waitcnt_vscnt null, 0x0
	flat_store_b64 v[64:65], v[66:67]
.LBB6_3265:                             ;   in Loop: Header=BB6_3183 Depth=3
	s_or_b32 exec_lo, exec_lo, s13
	v_add_nc_u32_e32 v180, v100, v180
	s_mov_b32 s13, 0
	s_and_not1_b32 exec_lo, exec_lo, s17
	s_cbranch_execnz .LBB6_3183
; %bb.3266:                             ;   in Loop: Header=BB6_303 Depth=2
	s_or_b32 exec_lo, exec_lo, s17
.LBB6_3267:                             ;   in Loop: Header=BB6_303 Depth=2
	s_delay_alu instid0(SALU_CYCLE_1) | instskip(SKIP_1) | instid1(SALU_CYCLE_1)
	s_or_b32 exec_lo, exec_lo, s16
	s_add_i32 s15, s15, 1
	s_cmp_eq_u32 s15, s19
	s_cbranch_scc0 .LBB6_303
; %bb.3268:                             ;   in Loop: Header=BB6_51 Depth=1
	s_mov_b32 s36, s12
.LBB6_3269:                             ;   in Loop: Header=BB6_51 Depth=1
	v_mul_lo_u32 v2, v97, s19
	v_mul_lo_u32 v10, v96, s21
	v_mad_u64_u32 v[8:9], null, v96, s19, 0
	s_mov_b32 s37, 0
	v_mov_b32_e32 v179, 0
	s_delay_alu instid0(VALU_DEP_2) | instskip(NEXT) | instid1(VALU_DEP_3)
	v_add3_u32 v9, v9, v10, v2
	v_sub_co_u32 v10, vcc_lo, v98, v8
	s_delay_alu instid0(VALU_DEP_2) | instskip(NEXT) | instid1(VALU_DEP_1)
	v_sub_co_ci_u32_e32 v11, vcc_lo, v99, v9, vcc_lo
	v_cmp_lt_i64_e32 vcc_lo, v[96:97], v[10:11]
	v_cndmask_b32_e32 v10, v10, v96, vcc_lo
	s_delay_alu instid0(VALU_DEP_1) | instskip(NEXT) | instid1(VALU_DEP_1)
	v_max_i32_e32 v103, 0, v10
	v_add_nc_u32_e32 v2, 31, v103
	s_delay_alu instid0(VALU_DEP_1) | instskip(NEXT) | instid1(VALU_DEP_1)
	v_lshrrev_b32_e32 v2, 1, v2
	v_and_b32_e32 v11, 0x3ffffff0, v2
	v_cmp_lt_i32_e32 vcc_lo, 0, v10
	v_mov_b32_e32 v2, 0
	s_delay_alu instid0(VALU_DEP_3) | instskip(SKIP_1) | instid1(SALU_CYCLE_1)
	v_max_i32_e32 v100, s28, v11
	s_and_b32 s13, s30, vcc_lo
	s_and_saveexec_b32 s12, s13
	s_cbranch_execnz .LBB6_3270
; %bb.10277:                            ;   in Loop: Header=BB6_51 Depth=1
	s_getpc_b64 s[48:49]
.Lpost_getpc314:
	s_add_u32 s48, s48, (.LBB6_8900-.Lpost_getpc314)&4294967295
	s_addc_u32 s49, s49, (.LBB6_8900-.Lpost_getpc314)>>32
	s_setpc_b64 s[48:49]
.LBB6_3270:                             ;   in Loop: Header=BB6_51 Depth=1
	v_add_co_u32 v180, vcc_lo, v8, v177
	v_add_co_ci_u32_e32 v181, vcc_lo, v9, v178, vcc_lo
	v_mov_b32_e32 v179, 0
	s_mov_b32 s16, 1
	s_mov_b32 s17, -1
	v_writelane_b32 v122, s12, 0
.LBB6_3271:                             ;   Parent Loop BB6_51 Depth=1
                                        ; =>  This Loop Header: Depth=2
                                        ;       Child Loop BB6_3280 Depth 3
                                        ;       Child Loop BB6_3310 Depth 3
                                        ;       Child Loop BB6_3333 Depth 3
                                        ;       Child Loop BB6_3361 Depth 3
                                        ;       Child Loop BB6_4901 Depth 3
                                        ;         Child Loop BB6_5158 Depth 4
                                        ;       Child Loop BB6_5300 Depth 3
                                        ;       Child Loop BB6_6071 Depth 3
                                        ;         Child Loop BB6_6088 Depth 4
                                        ;       Child Loop BB6_6112 Depth 3
                                        ;       Child Loop BB6_7654 Depth 3
	;; [unrolled: 1-line block ×6, first 2 shown]
	s_and_saveexec_b32 s12, s0
	s_cbranch_execz .LBB6_3274
; %bb.3272:                             ;   in Loop: Header=BB6_3271 Depth=2
	s_cbranch_execz .LBB6_3273
; %bb.10279:
	s_getpc_b64 s[48:49]
.Lpost_getpc315:
	s_add_u32 s48, s48, (.LBB6_9621-.Lpost_getpc315)&4294967295
	s_addc_u32 s49, s49, (.LBB6_9621-.Lpost_getpc315)>>32
	s_setpc_b64 s[48:49]
.LBB6_3273:                             ;   in Loop: Header=BB6_3271 Depth=2
	ds_load_2addr_b64 v[8:11], v0 offset1:1
	ds_load_b64 v[12:13], v0
	v_ashrrev_i32_e32 v2, 31, v179
	s_waitcnt lgkmcnt(1)
	v_add_co_u32 v8, vcc_lo, v8, v180
	v_add_co_ci_u32_e32 v9, vcc_lo, v9, v181, vcc_lo
	v_add_co_u32 v10, vcc_lo, v10, v180
	v_add_co_ci_u32_e32 v11, vcc_lo, v11, v181, vcc_lo
	s_waitcnt lgkmcnt(0)
	v_add_co_u32 v14, vcc_lo, v12, v180
	v_add_co_ci_u32_e32 v15, vcc_lo, v13, v181, vcc_lo
	v_add_co_u32 v8, vcc_lo, v8, v179
	v_add_co_ci_u32_e32 v9, vcc_lo, v9, v2, vcc_lo
	s_delay_alu instid0(VALU_DEP_4) | instskip(NEXT) | instid1(VALU_DEP_4)
	v_add_co_u32 v14, vcc_lo, v14, v179
	v_add_co_ci_u32_e32 v15, vcc_lo, v15, v2, vcc_lo
	v_cmp_ne_u64_e32 vcc_lo, 0, v[12:13]
	v_add_co_u32 v10, s13, v10, v179
	s_delay_alu instid0(VALU_DEP_1) | instskip(NEXT) | instid1(VALU_DEP_4)
	v_add_co_ci_u32_e64 v11, s13, v11, v2, s13
	v_dual_cndmask_b32 v13, 0, v15 :: v_dual_cndmask_b32 v12, 0, v14
	ds_store_b64 v0, v[8:9]
	ds_store_b64 v0, v[10:11]
	;; [unrolled: 1-line block ×3, first 2 shown]
.LBB6_3274:                             ;   in Loop: Header=BB6_3271 Depth=2
	s_or_b32 exec_lo, exec_lo, s12
	v_and_b32_e32 v2, 12, v30
	s_mov_b32 s38, -1
	s_mov_b32 s12, exec_lo
	s_delay_alu instid0(VALU_DEP_1)
	v_cmpx_ne_u32_e32 0, v2
	s_cbranch_execz .LBB6_3288
; %bb.3275:                             ;   in Loop: Header=BB6_3271 Depth=2
	v_and_b32_e32 v2, 8, v30
	s_mov_b32 s13, s16
	s_mov_b32 s15, s17
	;; [unrolled: 1-line block ×3, first 2 shown]
	s_delay_alu instid0(VALU_DEP_1) | instskip(SKIP_3) | instid1(VALU_DEP_1)
	v_add_co_u32 v10, vcc_lo, v82, v2
	v_add_co_ci_u32_e32 v11, vcc_lo, 0, v83, vcc_lo
	v_add_co_u32 v8, vcc_lo, v66, 2
	v_add_co_ci_u32_e32 v9, vcc_lo, 0, v67, vcc_lo
	v_cmp_lt_u64_e32 vcc_lo, v[10:11], v[8:9]
	v_mov_b32_e32 v10, 1
	s_and_saveexec_b32 s17, vcc_lo
	s_cbranch_execz .LBB6_3287
; %bb.3276:                             ;   in Loop: Header=BB6_3271 Depth=2
	v_mov_b32_e32 v10, 0
	s_mov_b32 s37, 0
                                        ; implicit-def: $sgpr38
	s_branch .LBB6_3280
.LBB6_3277:                             ;   in Loop: Header=BB6_3280 Depth=3
	s_or_b32 exec_lo, exec_lo, s42
	v_mov_b32_e32 v11, 0
	s_or_not1_b32 s41, s41, exec_lo
.LBB6_3278:                             ;   in Loop: Header=BB6_3280 Depth=3
	s_or_b32 exec_lo, exec_lo, s40
	s_delay_alu instid0(VALU_DEP_1) | instskip(SKIP_2) | instid1(SALU_CYCLE_1)
	v_mov_b32_e32 v10, v11
	s_and_not1_b32 vcc_lo, s38, exec_lo
	s_and_b32 s38, s41, exec_lo
	s_or_b32 s38, vcc_lo, s38
.LBB6_3279:                             ;   in Loop: Header=BB6_3280 Depth=3
	s_or_b32 exec_lo, exec_lo, s39
	s_waitcnt vmcnt(0) lgkmcnt(0)
	v_add_co_u32 v11, vcc_lo, v82, v2
	v_add_co_ci_u32_e32 v12, vcc_lo, 0, v83, vcc_lo
	s_xor_b32 s39, s38, -1
	s_delay_alu instid0(VALU_DEP_1) | instskip(SKIP_1) | instid1(SALU_CYCLE_1)
	v_cmp_ge_u64_e32 vcc_lo, v[11:12], v[8:9]
	s_or_b32 vcc_lo, s39, vcc_lo
	s_and_b32 vcc_lo, exec_lo, vcc_lo
	s_delay_alu instid0(SALU_CYCLE_1) | instskip(NEXT) | instid1(SALU_CYCLE_1)
	s_or_b32 s37, vcc_lo, s37
	s_and_not1_b32 exec_lo, exec_lo, s37
	s_cbranch_execz .LBB6_3286
.LBB6_3280:                             ;   Parent Loop BB6_51 Depth=1
                                        ;     Parent Loop BB6_3271 Depth=2
                                        ; =>    This Inner Loop Header: Depth=3
	s_sleep 1
	flat_load_b64 v[82:83], v[64:65] glc
	v_and_b32_e32 v11, 64, v30
	s_and_not1_b32 s38, s38, exec_lo
	s_mov_b32 s39, exec_lo
	s_delay_alu instid0(VALU_DEP_1)
	v_cmpx_eq_u32_e32 0, v11
	s_cbranch_execz .LBB6_3279
; %bb.3281:                             ;   in Loop: Header=BB6_3280 Depth=3
	v_add_nc_u32_e32 v11, 1, v10
	s_mov_b32 s41, -1
	s_mov_b32 s40, exec_lo
	v_cmpx_lt_i32_e32 0x270e, v10
	s_cbranch_execz .LBB6_3278
; %bb.3282:                             ;   in Loop: Header=BB6_3280 Depth=3
	s_cbranch_execz .LBB6_3283
; %bb.10281:
	s_getpc_b64 s[48:49]
.Lpost_getpc316:
	s_add_u32 s48, s48, (.LBB6_9647-.Lpost_getpc316)&4294967295
	s_addc_u32 s49, s49, (.LBB6_9647-.Lpost_getpc316)>>32
	s_setpc_b64 s[48:49]
.LBB6_3283:                             ;   in Loop: Header=BB6_3280 Depth=3
	ds_load_b64 v[10:11], v0
	s_mov_b32 s42, exec_lo
	s_waitcnt vmcnt(0) lgkmcnt(0)
	s_waitcnt_vscnt null, 0x0
	flat_load_b32 v10, v[10:11] glc
	s_waitcnt vmcnt(0) lgkmcnt(0)
	buffer_gl1_inv
	buffer_gl0_inv
	v_cmpx_ne_u32_e32 0, v10
	s_cbranch_execz .LBB6_3277
; %bb.3284:                             ;   in Loop: Header=BB6_3280 Depth=3
	ds_store_b32 v0, v10
	s_cbranch_execz .LBB6_3285
; %bb.10283:
	s_getpc_b64 s[48:49]
.Lpost_getpc317:
	s_add_u32 s48, s48, (.LBB6_9701-.Lpost_getpc317)&4294967295
	s_addc_u32 s49, s49, (.LBB6_9701-.Lpost_getpc317)>>32
	s_setpc_b64 s[48:49]
.LBB6_3285:                             ;   in Loop: Header=BB6_3280 Depth=3
	v_or_b32_e32 v30, 64, v30
	s_xor_b32 s41, exec_lo, -1
	s_branch .LBB6_3277
.LBB6_3286:                             ;   in Loop: Header=BB6_3271 Depth=2
	s_or_b32 exec_lo, exec_lo, s37
	v_and_b32_e32 v10, 12, v30
.LBB6_3287:                             ;   in Loop: Header=BB6_3271 Depth=2
	s_or_b32 exec_lo, exec_lo, s17
	s_delay_alu instid0(VALU_DEP_1)
	v_cmp_eq_u32_e32 vcc_lo, 0, v10
	s_mov_b32 s37, s16
	s_mov_b32 s17, s15
	s_mov_b32 s16, s13
	;;#ASMSTART
	s_wakeup
	;;#ASMEND
	s_or_not1_b32 s38, vcc_lo, exec_lo
.LBB6_3288:                             ;   in Loop: Header=BB6_3271 Depth=2
	s_or_b32 exec_lo, exec_lo, s12
	v_sub_nc_u32_e32 v2, v103, v179
	s_xor_b32 s12, s38, -1
	s_delay_alu instid0(VALU_DEP_1)
	v_min_i32_e32 v100, v100, v2
	s_and_saveexec_b32 s15, s12
	s_cbranch_execz .LBB6_3301
; %bb.3289:                             ;   in Loop: Header=BB6_3271 Depth=2
	v_and_b32_e32 v2, 0x108, v30
	s_mov_b32 s12, s37
	s_delay_alu instid0(VALU_DEP_1) | instskip(SKIP_2) | instid1(SALU_CYCLE_1)
	v_cmp_ne_u32_e32 vcc_lo, 0x108, v2
	v_and_b32_e32 v2, 7, v66
	s_and_saveexec_b32 s13, vcc_lo
	s_xor_b32 s13, exec_lo, s13
	s_delay_alu instid0(SALU_CYCLE_1)
	s_and_not1_saveexec_b32 s13, s13
	s_cbranch_execz .LBB6_3291
; %bb.3290:                             ;   in Loop: Header=BB6_3271 Depth=2
	v_mad_u64_u32 v[8:9], null, v2, 24, v[6:7]
	v_ashrrev_i32_e32 v101, 31, v100
	flat_store_b64 v[8:9], v[100:101] offset:8
.LBB6_3291:                             ;   in Loop: Header=BB6_3271 Depth=2
	s_or_b32 exec_lo, exec_lo, s13
	v_and_b32_e32 v8, 0x100, v30
	s_mov_b32 s13, -1
	s_delay_alu instid0(VALU_DEP_1)
	v_cmp_ne_u32_e32 vcc_lo, 0, v8
                                        ; implicit-def: $vgpr8_vgpr9
	s_and_saveexec_b32 s37, vcc_lo
	s_cbranch_execnz .LBB6_3294
; %bb.3292:                             ;   in Loop: Header=BB6_3271 Depth=2
	s_or_b32 exec_lo, exec_lo, s37
	s_and_saveexec_b32 vcc_lo, s13
	s_cbranch_execnz .LBB6_3297
.LBB6_3293:                             ;   in Loop: Header=BB6_3271 Depth=2
	s_or_b32 exec_lo, exec_lo, vcc_lo
	s_cbranch_execz .LBB6_3298
; %bb.10285:
	s_getpc_b64 s[48:49]
.Lpost_getpc318:
	s_add_u32 s48, s48, (.LBB6_9641-.Lpost_getpc318)&4294967295
	s_addc_u32 s49, s49, (.LBB6_9641-.Lpost_getpc318)>>32
	s_setpc_b64 s[48:49]
.LBB6_3294:                             ;   in Loop: Header=BB6_3271 Depth=2
	v_mad_u64_u32 v[10:11], null, v2, 24, v[6:7]
	s_delay_alu instid0(VALU_DEP_1) | instskip(NEXT) | instid1(VALU_DEP_1)
	v_mov_b32_e32 v8, v11
	v_mad_u64_u32 v[11:12], null, v3, 24, v[8:9]
	flat_load_b32 v8, v[10:11]
	s_waitcnt vmcnt(0) lgkmcnt(0)
	v_cmp_ne_u32_e32 vcc_lo, 1, v8
	v_cmp_eq_u32_e64 s13, 1, v8
                                        ; implicit-def: $vgpr8_vgpr9
	s_delay_alu instid0(VALU_DEP_1)
	s_and_saveexec_b32 s38, s13
	s_cbranch_execz .LBB6_3296
; %bb.3295:                             ;   in Loop: Header=BB6_3271 Depth=2
	flat_load_b32 v8, v[10:11] offset:4 glc
	s_waitcnt vmcnt(0) lgkmcnt(0)
	v_ashrrev_i32_e32 v9, 31, v8
.LBB6_3296:                             ;   in Loop: Header=BB6_3271 Depth=2
	s_or_b32 exec_lo, exec_lo, s38
	s_delay_alu instid0(SALU_CYCLE_1)
	s_or_not1_b32 s13, vcc_lo, exec_lo
	s_or_b32 exec_lo, exec_lo, s37
	s_and_saveexec_b32 vcc_lo, s13
	s_cbranch_execz .LBB6_3293
.LBB6_3297:                             ;   in Loop: Header=BB6_3271 Depth=2
	v_mul_lo_u32 v10, v3, v118
	v_mul_lo_u32 v11, v2, v128
	v_mad_u64_u32 v[8:9], null, v2, v118, 0
	s_delay_alu instid0(VALU_DEP_1)
	v_add3_u32 v9, v9, v11, v10
	s_or_b32 exec_lo, exec_lo, vcc_lo
	s_cbranch_execz .LBB6_3298
; %bb.10287:
	s_getpc_b64 s[48:49]
.Lpost_getpc319:
	s_add_u32 s48, s48, (.LBB6_9641-.Lpost_getpc319)&4294967295
	s_addc_u32 s49, s49, (.LBB6_9641-.Lpost_getpc319)>>32
	s_setpc_b64 s[48:49]
.LBB6_3298:                             ;   in Loop: Header=BB6_3271 Depth=2
	s_delay_alu instid0(VALU_DEP_2)
	v_add_co_u32 v8, vcc_lo, v68, v8
	v_and_b32_e32 v2, 0x2000, v30
	v_add_co_ci_u32_e32 v9, vcc_lo, v69, v9, vcc_lo
	s_mov_b32 s13, exec_lo
	ds_store_b64 v0, v[8:9]
	v_cmpx_ne_u32_e32 0, v2
	s_cbranch_execz .LBB6_3300
; %bb.3299:                             ;   in Loop: Header=BB6_3271 Depth=2
	ds_load_b64 v[8:9], v0 offset:584
	s_waitcnt lgkmcnt(0)
	v_add_co_u32 v8, vcc_lo, v8, 1
	v_add_co_ci_u32_e32 v9, vcc_lo, 0, v9, vcc_lo
	ds_store_b64 v0, v[8:9] offset:584
.LBB6_3300:                             ;   in Loop: Header=BB6_3271 Depth=2
	s_or_b32 exec_lo, exec_lo, s13
	v_add_co_u32 v66, vcc_lo, v66, 2
	v_add_co_ci_u32_e32 v67, vcc_lo, 0, v67, vcc_lo
	s_mov_b32 s37, s12
.LBB6_3301:                             ;   in Loop: Header=BB6_3271 Depth=2
	v_writelane_b32 v122, s17, 1
	v_writelane_b32 v122, s16, 2
	;; [unrolled: 1-line block ×8, first 2 shown]
	s_or_b32 exec_lo, exec_lo, s15
	s_and_saveexec_b32 s13, s3
	s_mov_b32 s12, s36
	s_cbranch_execz .LBB6_3323
; %bb.3302:                             ;   in Loop: Header=BB6_3271 Depth=2
	s_and_saveexec_b32 s14, s4
	s_delay_alu instid0(SALU_CYCLE_1)
	s_xor_b32 s14, exec_lo, s14
	s_cbranch_execz .LBB6_3320
; %bb.3303:                             ;   in Loop: Header=BB6_3271 Depth=2
	s_and_saveexec_b32 s15, s1
	s_cbranch_execz .LBB6_3319
; %bb.3304:                             ;   in Loop: Header=BB6_3271 Depth=2
	s_mov_b32 s17, exec_lo
	s_mov_b32 s16, exec_lo
	v_mbcnt_lo_u32_b32 v2, s17, 0
	s_waitcnt lgkmcnt(0)
	s_waitcnt_vscnt null, 0x0
	buffer_gl1_inv
	buffer_gl0_inv
	v_cmpx_eq_u32_e32 0, v2
	s_cbranch_execz .LBB6_3306
; %bb.3305:                             ;   in Loop: Header=BB6_3271 Depth=2
	s_bcnt1_i32_b32 s17, s17
	s_delay_alu instid0(SALU_CYCLE_1)
	v_mov_b32_e32 v2, s17
	ds_add_u64 v0, v[2:3]
	s_cbranch_execz .LBB6_3306
; %bb.10289:
	s_getpc_b64 s[48:49]
.Lpost_getpc320:
	s_add_u32 s48, s48, (.LBB6_9755-.Lpost_getpc320)&4294967295
	s_addc_u32 s49, s49, (.LBB6_9755-.Lpost_getpc320)>>32
	s_setpc_b64 s[48:49]
.LBB6_3306:                             ;   in Loop: Header=BB6_3271 Depth=2
	s_or_b32 exec_lo, exec_lo, s16
	s_cbranch_execz .LBB6_3307
; %bb.10291:
	s_getpc_b64 s[48:49]
.Lpost_getpc321:
	s_add_u32 s48, s48, (.LBB6_9729-.Lpost_getpc321)&4294967295
	s_addc_u32 s49, s49, (.LBB6_9729-.Lpost_getpc321)>>32
	s_setpc_b64 s[48:49]
.LBB6_3307:                             ;   in Loop: Header=BB6_3271 Depth=2
	ds_load_b64 v[8:9], v0
	v_add_co_u32 v80, vcc_lo, v80, v129
	v_add_co_ci_u32_e32 v81, vcc_lo, 0, v81, vcc_lo
	s_mov_b32 s16, exec_lo
	s_waitcnt lgkmcnt(0)
	s_delay_alu instid0(VALU_DEP_1)
	v_cmpx_lt_u64_e64 v[8:9], v[80:81]
	s_cbranch_execz .LBB6_3318
; %bb.3308:                             ;   in Loop: Header=BB6_3271 Depth=2
	s_mov_b32 s17, 0
	s_mov_b32 s34, 0
                                        ; implicit-def: $sgpr30
                                        ; implicit-def: $sgpr31
	s_branch .LBB6_3310
.LBB6_3309:                             ;   in Loop: Header=BB6_3310 Depth=3
	s_or_b32 exec_lo, exec_lo, s36
	s_delay_alu instid0(SALU_CYCLE_1) | instskip(NEXT) | instid1(SALU_CYCLE_1)
	s_and_b32 vcc_lo, exec_lo, vcc_lo
	s_or_b32 s17, vcc_lo, s17
	s_and_not1_b32 vcc_lo, s30, exec_lo
	s_and_b32 s30, s31, exec_lo
	s_delay_alu instid0(SALU_CYCLE_1)
	s_or_b32 s30, vcc_lo, s30
	s_and_not1_b32 exec_lo, exec_lo, s17
	s_cbranch_execz .LBB6_3316
.LBB6_3310:                             ;   Parent Loop BB6_51 Depth=1
                                        ;     Parent Loop BB6_3271 Depth=2
                                        ; =>    This Inner Loop Header: Depth=3
	s_add_i32 s34, s34, 1
                                        ; implicit-def: $sgpr36
	s_delay_alu instid0(SALU_CYCLE_1) | instskip(SKIP_1) | instid1(SALU_CYCLE_1)
	s_cmpk_lg_i32 s34, 0x2710
	s_cselect_b32 s35, -1, 0
	s_and_b32 vcc_lo, exec_lo, s35
	s_cbranch_vccz .LBB6_3314
.LBB6_3311:                             ;   in Loop: Header=BB6_3310 Depth=3
	s_and_not1_b32 s31, s31, exec_lo
	s_and_b32 s36, s36, exec_lo
	s_mov_b32 vcc_lo, -1
	s_or_b32 s31, s31, s36
	s_and_saveexec_b32 s36, s35
	s_cbranch_execz .LBB6_3309
; %bb.3312:                             ;   in Loop: Header=BB6_3310 Depth=3
	s_sleep 1
	s_cbranch_execz .LBB6_3313
; %bb.10293:
	s_getpc_b64 s[48:49]
.Lpost_getpc322:
	s_add_u32 s48, s48, (.LBB6_9803-.Lpost_getpc322)&4294967295
	s_addc_u32 s49, s49, (.LBB6_9803-.Lpost_getpc322)>>32
	s_setpc_b64 s[48:49]
.LBB6_3313:                             ;   in Loop: Header=BB6_3310 Depth=3
	ds_load_b64 v[8:9], v0
	s_and_not1_b32 s31, s31, exec_lo
	s_waitcnt lgkmcnt(0)
	v_cmp_ge_u64_e32 vcc_lo, v[8:9], v[80:81]
	s_or_not1_b32 vcc_lo, vcc_lo, exec_lo
	s_branch .LBB6_3309
.LBB6_3314:                             ;   in Loop: Header=BB6_3310 Depth=3
	s_cbranch_execz .LBB6_3315
; %bb.10295:
	s_getpc_b64 s[48:49]
.Lpost_getpc323:
	s_add_u32 s48, s48, (.LBB6_9817-.Lpost_getpc323)&4294967295
	s_addc_u32 s49, s49, (.LBB6_9817-.Lpost_getpc323)>>32
	s_setpc_b64 s[48:49]
.LBB6_3315:                             ;   in Loop: Header=BB6_3310 Depth=3
	ds_load_b64 v[8:9], v0
	s_and_not1_b32 s35, s35, exec_lo
	s_mov_b32 s34, 0
	s_mov_b32 s36, -1
	s_waitcnt lgkmcnt(0)
	flat_load_b32 v2, v[8:9] glc
	s_waitcnt vmcnt(0) lgkmcnt(0)
	buffer_gl1_inv
	buffer_gl0_inv
	v_cmp_eq_u32_e32 vcc_lo, 0, v2
	s_and_b32 vcc_lo, vcc_lo, exec_lo
	s_delay_alu instid0(SALU_CYCLE_1)
	s_or_b32 s35, s35, vcc_lo
	s_branch .LBB6_3311
.LBB6_3316:                             ;   in Loop: Header=BB6_3271 Depth=2
	s_or_b32 exec_lo, exec_lo, s17
	s_and_saveexec_b32 s17, s30
	s_delay_alu instid0(SALU_CYCLE_1)
	s_xor_b32 s17, exec_lo, s17
	s_cbranch_execz .LBB6_3318
; %bb.3317:                             ;   in Loop: Header=BB6_3271 Depth=2
	ds_store_b32 v0, v176
	s_cbranch_execz .LBB6_3318
; %bb.10297:
	s_getpc_b64 s[48:49]
.Lpost_getpc324:
	s_add_u32 s48, s48, (.LBB6_10009-.Lpost_getpc324)&4294967295
	s_addc_u32 s49, s49, (.LBB6_10009-.Lpost_getpc324)>>32
	s_setpc_b64 s[48:49]
.LBB6_3318:                             ;   in Loop: Header=BB6_3271 Depth=2
	s_or_b32 exec_lo, exec_lo, s16
	;;#ASMSTART
	s_wakeup
	;;#ASMEND
.LBB6_3319:                             ;   in Loop: Header=BB6_3271 Depth=2
	s_or_b32 exec_lo, exec_lo, s15
.LBB6_3320:                             ;   in Loop: Header=BB6_3271 Depth=2
	s_and_not1_saveexec_b32 s14, s14
	s_cbranch_execz .LBB6_3322
; %bb.3321:                             ;   in Loop: Header=BB6_3271 Depth=2
	s_waitcnt lgkmcnt(0)
	s_waitcnt_vscnt null, 0x0
	buffer_gl1_inv
	buffer_gl0_inv
	s_barrier
.LBB6_3322:                             ;   in Loop: Header=BB6_3271 Depth=2
	s_or_b32 exec_lo, exec_lo, s14
.LBB6_3323:                             ;   in Loop: Header=BB6_3271 Depth=2
	s_delay_alu instid0(SALU_CYCLE_1)
	s_or_b32 exec_lo, exec_lo, s13
	s_cbranch_execz .LBB6_3324
; %bb.10299:
	s_getpc_b64 s[48:49]
.Lpost_getpc325:
	s_add_u32 s48, s48, (.LBB6_9627-.Lpost_getpc325)&4294967295
	s_addc_u32 s49, s49, (.LBB6_9627-.Lpost_getpc325)>>32
	s_setpc_b64 s[48:49]
.LBB6_3324:                             ;   in Loop: Header=BB6_3271 Depth=2
	ds_load_b32 v8, v0
	v_and_b32_e32 v2, 0x4000, v30
	s_xor_b32 s13, s2, -1
	s_delay_alu instid0(VALU_DEP_1) | instskip(SKIP_1) | instid1(SALU_CYCLE_1)
	v_cmp_ne_u32_e32 vcc_lo, 0, v2
	s_and_b32 s14, s13, vcc_lo
	s_and_saveexec_b32 s13, s14
	s_cbranch_execz .LBB6_3346
; %bb.3325:                             ;   in Loop: Header=BB6_3271 Depth=2
	s_and_saveexec_b32 s14, s4
	s_delay_alu instid0(SALU_CYCLE_1)
	s_xor_b32 s14, exec_lo, s14
	s_cbranch_execz .LBB6_3343
; %bb.3326:                             ;   in Loop: Header=BB6_3271 Depth=2
	s_and_saveexec_b32 s15, s1
	s_cbranch_execz .LBB6_3342
; %bb.3327:                             ;   in Loop: Header=BB6_3271 Depth=2
	s_mov_b32 s17, exec_lo
	s_mov_b32 s16, exec_lo
	v_mbcnt_lo_u32_b32 v2, s17, 0
	s_waitcnt lgkmcnt(0)
	s_waitcnt_vscnt null, 0x0
	buffer_gl1_inv
	buffer_gl0_inv
	v_cmpx_eq_u32_e32 0, v2
	s_cbranch_execz .LBB6_3329
; %bb.3328:                             ;   in Loop: Header=BB6_3271 Depth=2
	s_bcnt1_i32_b32 s17, s17
	s_delay_alu instid0(SALU_CYCLE_1)
	v_mov_b32_e32 v2, s17
	ds_add_u64 v0, v[2:3]
	s_cbranch_execz .LBB6_3329
; %bb.10301:
	s_getpc_b64 s[48:49]
.Lpost_getpc326:
	s_add_u32 s48, s48, (.LBB6_9795-.Lpost_getpc326)&4294967295
	s_addc_u32 s49, s49, (.LBB6_9795-.Lpost_getpc326)>>32
	s_setpc_b64 s[48:49]
.LBB6_3329:                             ;   in Loop: Header=BB6_3271 Depth=2
	s_or_b32 exec_lo, exec_lo, s16
	s_cbranch_execz .LBB6_3330
; %bb.10303:
	s_getpc_b64 s[48:49]
.Lpost_getpc327:
	s_add_u32 s48, s48, (.LBB6_9765-.Lpost_getpc327)&4294967295
	s_addc_u32 s49, s49, (.LBB6_9765-.Lpost_getpc327)>>32
	s_setpc_b64 s[48:49]
.LBB6_3330:                             ;   in Loop: Header=BB6_3271 Depth=2
	ds_load_b64 v[9:10], v0
	v_add_co_u32 v80, vcc_lo, v80, v129
	v_add_co_ci_u32_e32 v81, vcc_lo, 0, v81, vcc_lo
	s_mov_b32 s16, exec_lo
	s_waitcnt lgkmcnt(0)
	s_delay_alu instid0(VALU_DEP_1)
	v_cmpx_lt_u64_e64 v[9:10], v[80:81]
	s_cbranch_execz .LBB6_3341
; %bb.3331:                             ;   in Loop: Header=BB6_3271 Depth=2
	s_mov_b32 s17, 0
	s_mov_b32 s34, 0
                                        ; implicit-def: $sgpr30
                                        ; implicit-def: $sgpr31
	s_branch .LBB6_3333
.LBB6_3332:                             ;   in Loop: Header=BB6_3333 Depth=3
	s_or_b32 exec_lo, exec_lo, s36
	s_delay_alu instid0(SALU_CYCLE_1) | instskip(NEXT) | instid1(SALU_CYCLE_1)
	s_and_b32 vcc_lo, exec_lo, vcc_lo
	s_or_b32 s17, vcc_lo, s17
	s_and_not1_b32 vcc_lo, s30, exec_lo
	s_and_b32 s30, s31, exec_lo
	s_delay_alu instid0(SALU_CYCLE_1)
	s_or_b32 s30, vcc_lo, s30
	s_and_not1_b32 exec_lo, exec_lo, s17
	s_cbranch_execz .LBB6_3339
.LBB6_3333:                             ;   Parent Loop BB6_51 Depth=1
                                        ;     Parent Loop BB6_3271 Depth=2
                                        ; =>    This Inner Loop Header: Depth=3
	s_add_i32 s34, s34, 1
                                        ; implicit-def: $sgpr36
	s_delay_alu instid0(SALU_CYCLE_1) | instskip(SKIP_1) | instid1(SALU_CYCLE_1)
	s_cmpk_lg_i32 s34, 0x2710
	s_cselect_b32 s35, -1, 0
	s_and_b32 vcc_lo, exec_lo, s35
	s_cbranch_vccz .LBB6_3337
.LBB6_3334:                             ;   in Loop: Header=BB6_3333 Depth=3
	s_and_not1_b32 s31, s31, exec_lo
	s_and_b32 s36, s36, exec_lo
	s_mov_b32 vcc_lo, -1
	s_or_b32 s31, s31, s36
	s_and_saveexec_b32 s36, s35
	s_cbranch_execz .LBB6_3332
; %bb.3335:                             ;   in Loop: Header=BB6_3333 Depth=3
	s_sleep 1
	s_cbranch_execz .LBB6_3336
; %bb.10305:
	s_getpc_b64 s[48:49]
.Lpost_getpc328:
	s_add_u32 s48, s48, (.LBB6_9855-.Lpost_getpc328)&4294967295
	s_addc_u32 s49, s49, (.LBB6_9855-.Lpost_getpc328)>>32
	s_setpc_b64 s[48:49]
.LBB6_3336:                             ;   in Loop: Header=BB6_3333 Depth=3
	ds_load_b64 v[9:10], v0
	s_and_not1_b32 s31, s31, exec_lo
	s_waitcnt lgkmcnt(0)
	v_cmp_ge_u64_e32 vcc_lo, v[9:10], v[80:81]
	s_or_not1_b32 vcc_lo, vcc_lo, exec_lo
	s_branch .LBB6_3332
.LBB6_3337:                             ;   in Loop: Header=BB6_3333 Depth=3
	s_cbranch_execz .LBB6_3338
; %bb.10307:
	s_getpc_b64 s[48:49]
.Lpost_getpc329:
	s_add_u32 s48, s48, (.LBB6_9871-.Lpost_getpc329)&4294967295
	s_addc_u32 s49, s49, (.LBB6_9871-.Lpost_getpc329)>>32
	s_setpc_b64 s[48:49]
.LBB6_3338:                             ;   in Loop: Header=BB6_3333 Depth=3
	ds_load_b64 v[9:10], v0
	s_and_not1_b32 s35, s35, exec_lo
	s_mov_b32 s34, 0
	s_mov_b32 s36, -1
	s_waitcnt lgkmcnt(0)
	flat_load_b32 v2, v[9:10] glc
	s_waitcnt vmcnt(0) lgkmcnt(0)
	buffer_gl1_inv
	buffer_gl0_inv
	v_cmp_eq_u32_e32 vcc_lo, 0, v2
	s_and_b32 vcc_lo, vcc_lo, exec_lo
	s_delay_alu instid0(SALU_CYCLE_1)
	s_or_b32 s35, s35, vcc_lo
	s_branch .LBB6_3334
.LBB6_3339:                             ;   in Loop: Header=BB6_3271 Depth=2
	s_or_b32 exec_lo, exec_lo, s17
	s_and_saveexec_b32 s17, s30
	s_delay_alu instid0(SALU_CYCLE_1)
	s_xor_b32 s17, exec_lo, s17
	s_cbranch_execz .LBB6_3341
; %bb.3340:                             ;   in Loop: Header=BB6_3271 Depth=2
	ds_store_b32 v0, v176
	s_cbranch_execz .LBB6_3341
; %bb.10309:
	s_getpc_b64 s[48:49]
.Lpost_getpc330:
	s_add_u32 s48, s48, (.LBB6_10033-.Lpost_getpc330)&4294967295
	s_addc_u32 s49, s49, (.LBB6_10033-.Lpost_getpc330)>>32
	s_setpc_b64 s[48:49]
.LBB6_3341:                             ;   in Loop: Header=BB6_3271 Depth=2
	s_or_b32 exec_lo, exec_lo, s16
	;;#ASMSTART
	s_wakeup
	;;#ASMEND
.LBB6_3342:                             ;   in Loop: Header=BB6_3271 Depth=2
	s_or_b32 exec_lo, exec_lo, s15
.LBB6_3343:                             ;   in Loop: Header=BB6_3271 Depth=2
	s_and_not1_saveexec_b32 s14, s14
	s_cbranch_execz .LBB6_3345
; %bb.3344:                             ;   in Loop: Header=BB6_3271 Depth=2
	s_waitcnt lgkmcnt(0)
	s_waitcnt_vscnt null, 0x0
	buffer_gl1_inv
	buffer_gl0_inv
	s_barrier
.LBB6_3345:                             ;   in Loop: Header=BB6_3271 Depth=2
	s_or_b32 exec_lo, exec_lo, s14
.LBB6_3346:                             ;   in Loop: Header=BB6_3271 Depth=2
	s_delay_alu instid0(SALU_CYCLE_1)
	s_or_b32 exec_lo, exec_lo, s13
	s_cbranch_execz .LBB6_3347
; %bb.10311:
	s_getpc_b64 s[48:49]
.Lpost_getpc331:
	s_add_u32 s48, s48, (.LBB6_9661-.Lpost_getpc331)&4294967295
	s_addc_u32 s49, s49, (.LBB6_9661-.Lpost_getpc331)>>32
	s_setpc_b64 s[48:49]
.LBB6_3347:                             ;   in Loop: Header=BB6_3271 Depth=2
	ds_load_b64 v[9:10], v0
	v_mov_b32_e32 v182, 0
	s_waitcnt lgkmcnt(0)
	v_cmp_eq_u64_e32 vcc_lo, 0, v[9:10]
	s_or_b32 s13, vcc_lo, vcc_lo
	s_delay_alu instid0(SALU_CYCLE_1)
	s_and_b32 vcc_lo, exec_lo, s13
	s_cbranch_vccz .LBB6_3348
; %bb.10313:                            ;   in Loop: Header=BB6_3271 Depth=2
	s_getpc_b64 s[48:49]
.Lpost_getpc332:
	s_add_u32 s48, s48, (.LBB6_8846-.Lpost_getpc332)&4294967295
	s_addc_u32 s49, s49, (.LBB6_8846-.Lpost_getpc332)>>32
	s_setpc_b64 s[48:49]
.LBB6_3348:                             ;   in Loop: Header=BB6_3271 Depth=2
	v_cmp_eq_u32_e32 vcc_lo, 0, v8
	s_cbranch_execz .LBB6_3349
; %bb.10315:
	s_getpc_b64 s[48:49]
.Lpost_getpc333:
	s_add_u32 s48, s48, (.LBB6_9721-.Lpost_getpc333)&4294967295
	s_addc_u32 s49, s49, (.LBB6_9721-.Lpost_getpc333)>>32
	s_setpc_b64 s[48:49]
.LBB6_3349:                             ;   in Loop: Header=BB6_3271 Depth=2
	ds_load_b64 v[8:9], v0
	v_cndmask_b32_e32 v182, 0, v100, vcc_lo
	s_waitcnt lgkmcnt(0)
	v_cmp_ne_u64_e64 s13, 0, v[8:9]
	s_delay_alu instid0(VALU_DEP_1)
	s_and_b32 vcc_lo, exec_lo, s13
	s_cbranch_vccz .LBB6_4895
; %bb.3350:                             ;   in Loop: Header=BB6_3271 Depth=2
	s_mov_b32 s13, -1
	s_and_saveexec_b32 s14, s12
	s_cbranch_execz .LBB6_3352
; %bb.3351:                             ;   in Loop: Header=BB6_3271 Depth=2
	ds_load_b32 v2, v0 offset:720
	s_waitcnt lgkmcnt(0)
	v_and_b32_e32 v2, 15, v2
	s_delay_alu instid0(VALU_DEP_1)
	v_cmp_eq_u32_e32 vcc_lo, 0, v2
	s_or_not1_b32 s13, vcc_lo, exec_lo
.LBB6_3352:                             ;   in Loop: Header=BB6_3271 Depth=2
	s_or_b32 exec_lo, exec_lo, s14
	s_and_saveexec_b32 s14, s12
	s_cbranch_execz .LBB6_3354
; %bb.3353:                             ;   in Loop: Header=BB6_3271 Depth=2
	ds_load_b32 v2, v0 offset:784
	s_waitcnt lgkmcnt(0)
	v_and_b32_e32 v2, 15, v2
	s_delay_alu instid0(VALU_DEP_1) | instskip(SKIP_3) | instid1(SALU_CYCLE_1)
	v_cmp_eq_u32_e32 vcc_lo, 0, v2
	s_and_b32 s15, s13, vcc_lo
	s_and_not1_b32 s13, s13, exec_lo
	s_and_b32 s15, s15, exec_lo
	s_or_b32 s13, s13, s15
.LBB6_3354:                             ;   in Loop: Header=BB6_3271 Depth=2
	s_or_b32 exec_lo, exec_lo, s14
	s_xor_b32 s13, s13, -1
	v_dual_mov_b32 v16, 0 :: v_dual_mov_b32 v17, v182
	v_cndmask_b32_e64 v2, 0, 1, s13
	;;#ASMSTART
	;;#ASMEND
	s_delay_alu instid0(VALU_DEP_1)
	v_cmp_ne_u32_e32 vcc_lo, 0, v2
	v_mov_b32_e32 v18, v0
	v_mov_b32_e32 v8, v130
	s_mov_b32 s13, -1
	s_cbranch_vccnz .LBB6_5293
; %bb.3355:                             ;   in Loop: Header=BB6_3271 Depth=2
	v_ashrrev_i32_e32 v2, 31, v182
	s_mov_b32 s14, exec_lo
	s_delay_alu instid0(VALU_DEP_1) | instskip(NEXT) | instid1(VALU_DEP_1)
	v_lshrrev_b32_e32 v2, 21, v2
	v_add_nc_u32_e32 v2, v182, v2
	s_delay_alu instid0(VALU_DEP_1) | instskip(NEXT) | instid1(VALU_DEP_1)
	v_ashrrev_i32_e32 v183, 11, v2
	v_sub_nc_u32_e32 v2, v183, v130
	s_delay_alu instid0(VALU_DEP_1)
	v_cmpx_lt_i32_e32 0, v2
	s_cbranch_execz .LBB6_4897
; %bb.3356:                             ;   in Loop: Header=BB6_3271 Depth=2
	s_cbranch_execz .LBB6_3357
; %bb.10317:
	s_getpc_b64 s[48:49]
.Lpost_getpc334:
	s_add_u32 s48, s48, (.LBB6_9891-.Lpost_getpc334)&4294967295
	s_addc_u32 s49, s49, (.LBB6_9891-.Lpost_getpc334)>>32
	s_setpc_b64 s[48:49]
.LBB6_3357:                             ;   in Loop: Header=BB6_3271 Depth=2
	ds_load_b128 v[8:11], v0
	s_mov_b32 s15, 0
	s_waitcnt lgkmcnt(0)
	v_add_co_u32 v101, vcc_lo, v8, v164
	v_add_co_ci_u32_e32 v102, vcc_lo, v9, v165, vcc_lo
	v_add_co_u32 v112, vcc_lo, v10, v164
	v_add_co_ci_u32_e32 v113, vcc_lo, v11, v165, vcc_lo
	s_delay_alu instid0(VALU_DEP_3) | instskip(NEXT) | instid1(VALU_DEP_2)
	v_dual_mov_b32 v115, v102 :: v_dual_mov_b32 v114, v101
	v_dual_mov_b32 v117, v113 :: v_dual_mov_b32 v116, v112
	s_branch .LBB6_3361
.LBB6_3358:                             ;   in Loop: Header=BB6_3361 Depth=3
	s_or_b32 exec_lo, exec_lo, s13
	s_delay_alu instid0(VALU_DEP_1) | instskip(NEXT) | instid1(VALU_DEP_2)
	v_lshrrev_b32_e32 v105, 20, v105
	v_cmp_gt_i32_e32 vcc_lo, 16, v11
	v_min_i32_e32 v106, 15, v11
	v_lshrrev_b32_e32 v15, 24, v15
	s_delay_alu instid0(VALU_DEP_2) | instskip(NEXT) | instid1(VALU_DEP_2)
	v_dual_cndmask_b32 v105, 7, v105 :: v_dual_lshlrev_b32 v106, 3, v106
	v_and_b32_e32 v15, 0x80, v15
	s_delay_alu instid0(VALU_DEP_2) | instskip(SKIP_1) | instid1(VALU_DEP_2)
	v_or_b32_e32 v11, v11, v105
	v_and_b32_e32 v107, 7, v105
	v_cmp_ne_u32_e32 vcc_lo, 0, v11
	v_and_b32_e32 v106, 0xf8, v106
	s_delay_alu instid0(VALU_DEP_1) | instskip(NEXT) | instid1(VALU_DEP_1)
	v_or3_b32 v15, v15, v106, v107
	v_lshlrev_b32_e32 v15, 8, v15
	s_delay_alu instid0(VALU_DEP_1)
	v_cndmask_b32_e32 v11, 0, v15, vcc_lo
.LBB6_3359:                             ;   in Loop: Header=BB6_3361 Depth=3
	s_or_b32 exec_lo, exec_lo, s17
.LBB6_3360:                             ;   in Loop: Header=BB6_3361 Depth=3
	s_delay_alu instid0(SALU_CYCLE_1)
	s_or_b32 exec_lo, exec_lo, s16
	v_or_b32_e32 v15, v17, v76
	v_and_b32_e32 v17, 0xff, v74
	v_lshlrev_b32_e32 v74, 24, v16
	v_lshlrev_b32_e32 v16, 8, v73
	v_and_b32_e32 v73, 0xff, v78
	v_lshlrev_b32_e32 v76, 8, v77
	v_and_b32_e32 v20, 0xff, v20
	v_lshlrev_b32_e32 v15, 16, v15
	v_perm_b32 v35, v16, v35, 0xc0c0500
	v_or_b32_e32 v16, v19, v88
	v_lshlrev_b32_e32 v17, 16, v17
	v_lshlrev_b32_e32 v18, 24, v18
	;; [unrolled: 1-line block ×3, first 2 shown]
	v_perm_b32 v21, v76, v21, 0xc0c0500
	v_and_b32_e32 v22, 0xff, v22
	v_lshlrev_b32_e32 v73, 16, v16
	v_or3_b32 v16, v75, v20, v15
	v_or_b32_e32 v20, v25, v60
	v_or3_b32 v15, v74, v17, v35
	v_or3_b32 v17, v18, v19, v21
	;; [unrolled: 1-line block ×3, first 2 shown]
	v_and_b32_e32 v21, 0xff, v58
	v_lshlrev_b32_e32 v22, 8, v57
	v_and_b32_e32 v19, 0xff, v32
	v_lshlrev_b32_e32 v20, 16, v20
	v_lshlrev_b32_e32 v24, 24, v24
	v_and_b32_e32 v25, 0xff, v62
	v_lshlrev_b32_e32 v32, 8, v61
	v_lshlrev_b32_e32 v21, 16, v21
	v_perm_b32 v22, v22, v51, 0xc0c0500
	v_lshlrev_b32_e32 v26, 24, v26
	v_lshlrev_b32_e32 v25, 16, v25
	v_perm_b32 v32, v32, v33, 0xc0c0500
	v_or3_b32 v20, v59, v19, v20
	v_or_b32_e32 v27, v27, v72
	v_or3_b32 v19, v24, v21, v22
	v_or_b32_e32 v22, v37, v44
	v_or3_b32 v21, v26, v25, v32
	v_and_b32_e32 v24, 0xff, v34
	v_lshlrev_b32_e32 v25, 16, v27
	v_lshlrev_b32_e32 v32, 8, v41
	;; [unrolled: 1-line block ×3, first 2 shown]
	v_and_b32_e32 v22, 0xff, v42
	v_and_b32_e32 v34, 0xff, v46
	v_lshlrev_b32_e32 v35, 8, v45
	v_and_b32_e32 v26, 0xff, v48
	v_lshlrev_b32_e32 v33, 24, v36
	v_lshlrev_b32_e32 v36, 16, v22
	v_perm_b32 v32, v32, v40, 0xc0c0500
	v_lshlrev_b32_e32 v37, 24, v38
	v_lshlrev_b32_e32 v34, 16, v34
	v_perm_b32 v35, v35, v49, 0xc0c0500
	v_or3_b32 v22, v63, v24, v25
	v_or3_b32 v25, v43, v26, v27
	v_or_b32_e32 v27, v39, v56
	v_or3_b32 v24, v33, v36, v32
	v_or3_b32 v26, v37, v34, v35
	v_or_b32_e32 v9, v9, v92
	v_and_b32_e32 v33, 0xff, v90
	v_lshlrev_b32_e32 v34, 8, v89
	v_and_b32_e32 v35, 0xff, v94
	v_lshlrev_b32_e32 v36, 8, v93
	v_or_b32_e32 v11, v11, v104
	v_and_b32_e32 v32, 0xff, v50
	v_lshlrev_b32_e32 v27, 16, v27
	v_and_b32_e32 v12, 0xff, v12
	v_lshlrev_b32_e32 v9, 16, v9
	v_lshlrev_b32_e32 v8, 24, v8
	;; [unrolled: 1-line block ×3, first 2 shown]
	v_perm_b32 v23, v34, v23, 0xc0c0500
	v_lshlrev_b32_e32 v10, 24, v10
	v_lshlrev_b32_e32 v34, 16, v35
	v_perm_b32 v13, v36, v13, 0xc0c0500
	v_and_b32_e32 v14, 0xff, v14
	v_lshlrev_b32_e32 v11, 16, v11
	v_add_co_u32 v101, vcc_lo, v101, v166
	v_or3_b32 v27, v47, v32, v27
	v_add_co_ci_u32_e32 v102, vcc_lo, v102, v167, vcc_lo
	v_add_co_u32 v112, vcc_lo, v112, v166
	v_or3_b32 v9, v91, v12, v9
	v_or3_b32 v8, v8, v33, v23
	v_or3_b32 v10, v10, v34, v13
	v_or3_b32 v11, v95, v14, v11
	v_sub_nc_u32_e32 v2, v2, v129
	v_add_co_ci_u32_e32 v113, vcc_lo, v113, v167, vcc_lo
	s_clause 0x3
	global_store_b128 v[114:115], v[24:27], off glc slc dlc
	global_store_b128 v[114:115], v[19:22], off offset:512 glc slc dlc
	global_store_b128 v[114:115], v[15:18], off offset:1024 glc slc dlc
	;; [unrolled: 1-line block ×3, first 2 shown]
	s_clause 0x3
	global_store_b128 v[116:117], v[24:27], off glc slc dlc
	global_store_b128 v[116:117], v[19:22], off offset:512 glc slc dlc
	global_store_b128 v[116:117], v[15:18], off offset:1024 glc slc dlc
	;; [unrolled: 1-line block ×3, first 2 shown]
	v_add_co_u32 v114, vcc_lo, v114, v166
	v_add_co_ci_u32_e32 v115, vcc_lo, v115, v167, vcc_lo
	v_cmp_gt_i32_e32 vcc_lo, 1, v2
	v_add_co_u32 v116, s13, v116, v166
	s_delay_alu instid0(VALU_DEP_1) | instskip(SKIP_1) | instid1(SALU_CYCLE_1)
	v_add_co_ci_u32_e64 v117, s13, v117, v167, s13
	s_or_b32 s15, vcc_lo, s15
	s_and_not1_b32 exec_lo, exec_lo, s15
	s_cbranch_execz .LBB6_4896
.LBB6_3361:                             ;   Parent Loop BB6_51 Depth=1
                                        ;     Parent Loop BB6_3271 Depth=2
                                        ; =>    This Inner Loop Header: Depth=3
	s_clause 0x3
	global_load_b128 v[48:51], v[101:102], off slc dlc
	global_load_b128 v[32:35], v[101:102], off offset:512 slc dlc
	global_load_b128 v[20:23], v[101:102], off offset:1024 slc dlc
	;; [unrolled: 1-line block ×3, first 2 shown]
	s_clause 0x3
	global_load_b128 v[36:39], v[112:113], off slc dlc
	global_load_b128 v[24:27], v[112:113], off offset:512 slc dlc
	global_load_b128 v[16:19], v[112:113], off offset:1024 slc dlc
	global_load_b128 v[8:11], v[112:113], off offset:1536 slc dlc
	s_mov_b32 s13, 0
	s_mov_b32 s17, exec_lo
                                        ; implicit-def: $sgpr16
	s_waitcnt vmcnt(7)
	v_and_b32_e32 v41, 0xff, v48
	s_delay_alu instid0(VALU_DEP_1)
	v_cmpx_lt_i16_e32 0x7f, v41
	s_xor_b32 s17, exec_lo, s17
	s_cbranch_execnz .LBB6_4383
; %bb.3362:                             ;   in Loop: Header=BB6_3361 Depth=3
	s_or_saveexec_b32 s17, s17
	v_mov_b32_e32 v40, s16
	s_xor_b32 exec_lo, exec_lo, s17
	s_cbranch_execnz .LBB6_4386
.LBB6_3363:                             ;   in Loop: Header=BB6_3361 Depth=3
	s_or_b32 exec_lo, exec_lo, s17
	s_and_saveexec_b32 s16, s13
	s_cbranch_execz .LBB6_3365
.LBB6_3364:                             ;   in Loop: Header=BB6_3361 Depth=3
	v_bfe_u32 v43, v48, 3, 4
	v_lshlrev_b32_e32 v44, 24, v48
	s_delay_alu instid0(VALU_DEP_2) | instskip(SKIP_1) | instid1(VALU_DEP_1)
	v_cmp_eq_u32_e32 vcc_lo, 0, v43
	v_and_b32_e32 v40, 7, v48
	v_clz_i32_u32_e32 v41, v40
	s_delay_alu instid0(VALU_DEP_1) | instskip(NEXT) | instid1(VALU_DEP_1)
	v_min_u32_e32 v41, 32, v41
	v_subrev_nc_u32_e32 v42, 28, v41
	v_sub_nc_u32_e32 v41, 29, v41
	s_delay_alu instid0(VALU_DEP_1) | instskip(NEXT) | instid1(VALU_DEP_1)
	v_dual_cndmask_b32 v41, v43, v41 :: v_dual_lshlrev_b32 v42, v42, v48
	v_and_b32_e32 v42, 7, v42
	s_delay_alu instid0(VALU_DEP_2) | instskip(NEXT) | instid1(VALU_DEP_2)
	v_lshl_add_u32 v41, v41, 23, 0x3b800000
	v_cndmask_b32_e32 v40, v40, v42, vcc_lo
	v_and_b32_e32 v42, 0x80000000, v44
	s_delay_alu instid0(VALU_DEP_2) | instskip(NEXT) | instid1(VALU_DEP_1)
	v_lshlrev_b32_e32 v40, 20, v40
	v_or3_b32 v40, v42, v41, v40
.LBB6_3365:                             ;   in Loop: Header=BB6_3361 Depth=3
	s_or_b32 exec_lo, exec_lo, s16
	s_waitcnt vmcnt(3)
	v_and_b32_e32 v42, 0xff, v36
	s_mov_b32 s13, 0
	s_mov_b32 s17, exec_lo
                                        ; implicit-def: $sgpr16
	s_delay_alu instid0(VALU_DEP_1)
	v_cmpx_lt_i16_e32 0x7f, v42
	s_xor_b32 s17, exec_lo, s17
	s_cbranch_execnz .LBB6_4387
; %bb.3366:                             ;   in Loop: Header=BB6_3361 Depth=3
	s_or_saveexec_b32 s17, s17
	v_mov_b32_e32 v41, s16
	s_xor_b32 exec_lo, exec_lo, s17
	s_cbranch_execnz .LBB6_4390
.LBB6_3367:                             ;   in Loop: Header=BB6_3361 Depth=3
	s_or_b32 exec_lo, exec_lo, s17
	s_and_saveexec_b32 s16, s13
	s_cbranch_execz .LBB6_3369
.LBB6_3368:                             ;   in Loop: Header=BB6_3361 Depth=3
	v_bfe_u32 v44, v36, 3, 4
	v_lshlrev_b32_e32 v45, 24, v36
	s_delay_alu instid0(VALU_DEP_2) | instskip(SKIP_1) | instid1(VALU_DEP_1)
	v_cmp_eq_u32_e32 vcc_lo, 0, v44
	v_and_b32_e32 v41, 7, v36
	v_clz_i32_u32_e32 v42, v41
	s_delay_alu instid0(VALU_DEP_1) | instskip(NEXT) | instid1(VALU_DEP_1)
	v_min_u32_e32 v42, 32, v42
	v_subrev_nc_u32_e32 v43, 28, v42
	v_sub_nc_u32_e32 v42, 29, v42
	s_delay_alu instid0(VALU_DEP_1) | instskip(NEXT) | instid1(VALU_DEP_1)
	v_dual_cndmask_b32 v42, v44, v42 :: v_dual_lshlrev_b32 v43, v43, v36
	v_and_b32_e32 v43, 7, v43
	s_delay_alu instid0(VALU_DEP_2) | instskip(NEXT) | instid1(VALU_DEP_2)
	v_lshl_add_u32 v42, v42, 23, 0x3b800000
	v_cndmask_b32_e32 v41, v41, v43, vcc_lo
	v_and_b32_e32 v43, 0x80000000, v45
	s_delay_alu instid0(VALU_DEP_2) | instskip(NEXT) | instid1(VALU_DEP_1)
	v_lshlrev_b32_e32 v41, 20, v41
	v_or3_b32 v41, v43, v42, v41
.LBB6_3369:                             ;   in Loop: Header=BB6_3361 Depth=3
	s_or_b32 exec_lo, exec_lo, s16
	s_delay_alu instid0(VALU_DEP_1) | instskip(NEXT) | instid1(VALU_DEP_1)
	v_add_f32_e32 v41, v40, v41
	v_and_b32_e32 v40, 0x7f800000, v41
	s_delay_alu instid0(VALU_DEP_1)
	v_cmp_ne_u32_e32 vcc_lo, 0x7f800000, v40
	v_mov_b32_e32 v40, 0x80
	s_and_saveexec_b32 s16, vcc_lo
	s_cbranch_execz .LBB6_3377
; %bb.3370:                             ;   in Loop: Header=BB6_3361 Depth=3
	v_mov_b32_e32 v40, 0
	s_mov_b32 s17, exec_lo
	v_cmpx_ne_u32_e32 0, v41
	s_cbranch_execz .LBB6_3376
; %bb.3371:                             ;   in Loop: Header=BB6_3361 Depth=3
	v_bfe_u32 v40, v41, 23, 8
	s_delay_alu instid0(VALU_DEP_1) | instskip(SKIP_1) | instid1(VALU_DEP_2)
	v_sub_nc_u32_e32 v43, 0x78, v40
	v_cmp_gt_u32_e32 vcc_lo, 0x79, v40
	v_dual_cndmask_b32 v43, 0, v43 :: v_dual_and_b32 v42, 0x7fffff, v41
	s_delay_alu instid0(VALU_DEP_1) | instskip(SKIP_2) | instid1(VALU_DEP_4)
	v_or_b32_e32 v44, 0x800000, v42
	v_cmp_eq_u32_e32 vcc_lo, 0, v40
	v_add_nc_u32_e32 v40, 0xffffff89, v40
	v_cndmask_b32_e64 v43, v43, 0x77, vcc_lo
	s_delay_alu instid0(VALU_DEP_2) | instskip(SKIP_1) | instid1(VALU_DEP_3)
	v_cndmask_b32_e64 v40, v40, 0xffffff8a, vcc_lo
	v_cndmask_b32_e32 v42, v44, v42, vcc_lo
	v_lshl_add_u32 v44, 0x100000, v43, -1
	v_lshlrev_b32_e64 v47, v43, 0x80000
	s_delay_alu instid0(VALU_DEP_3) | instskip(SKIP_1) | instid1(VALU_DEP_4)
	v_lshrrev_b32_e32 v45, v43, v42
	v_add_nc_u32_e32 v43, v43, v40
	v_and_b32_e32 v42, v44, v42
	s_delay_alu instid0(VALU_DEP_3) | instskip(NEXT) | instid1(VALU_DEP_2)
	v_bfe_u32 v46, v45, 20, 1
	v_cmp_eq_u32_e64 s13, v42, v47
	s_delay_alu instid0(VALU_DEP_2) | instskip(NEXT) | instid1(VALU_DEP_1)
	v_add_nc_u32_e32 v44, -1, v46
	v_cndmask_b32_e64 v42, 0, v44, s13
	v_lshrrev_b32_e32 v44, 23, v45
	s_mov_b32 s13, exec_lo
	s_delay_alu instid0(VALU_DEP_2) | instskip(NEXT) | instid1(VALU_DEP_2)
	v_add_nc_u32_e32 v42, v42, v45
	v_xor_b32_e32 v44, 1, v44
	s_delay_alu instid0(VALU_DEP_2) | instskip(NEXT) | instid1(VALU_DEP_1)
	v_and_b32_e32 v40, 0xfffff, v42
	v_add_nc_u32_e32 v42, v40, v45
                                        ; implicit-def: $vgpr40
	s_delay_alu instid0(VALU_DEP_3)
	v_cmpx_ne_u32_e64 v43, v44
	s_xor_b32 s13, exec_lo, s13
; %bb.3372:                             ;   in Loop: Header=BB6_3361 Depth=3
	s_delay_alu instid0(VALU_DEP_2) | instskip(SKIP_2) | instid1(VALU_DEP_2)
	v_cmp_lt_u32_e32 vcc_lo, 0xffffff, v42
	v_sub_nc_u32_e32 v40, v43, v44
	v_cndmask_b32_e64 v43, 0, 1, vcc_lo
	v_add_co_ci_u32_e32 v40, vcc_lo, 0, v40, vcc_lo
	s_delay_alu instid0(VALU_DEP_2)
	v_lshrrev_b32_e32 v42, v43, v42
; %bb.3373:                             ;   in Loop: Header=BB6_3361 Depth=3
	s_and_not1_saveexec_b32 s13, s13
; %bb.3374:                             ;   in Loop: Header=BB6_3361 Depth=3
	s_delay_alu instid0(VALU_DEP_1)
	v_bfe_u32 v40, v42, 23, 1
; %bb.3375:                             ;   in Loop: Header=BB6_3361 Depth=3
	s_or_b32 exec_lo, exec_lo, s13
	v_lshrrev_b32_e32 v42, 20, v42
	s_delay_alu instid0(VALU_DEP_2) | instskip(SKIP_2) | instid1(VALU_DEP_2)
	v_cmp_gt_i32_e32 vcc_lo, 16, v40
	v_lshrrev_b32_e32 v41, 24, v41
	v_min_i32_e32 v43, 15, v40
	v_dual_cndmask_b32 v42, 7, v42 :: v_dual_and_b32 v41, 0x80, v41
	s_delay_alu instid0(VALU_DEP_1) | instskip(SKIP_1) | instid1(VALU_DEP_2)
	v_or_b32_e32 v40, v40, v42
	v_and_b32_e32 v44, 7, v42
	v_cmp_ne_u32_e32 vcc_lo, 0, v40
	v_lshlrev_b32_e32 v43, 3, v43
	s_delay_alu instid0(VALU_DEP_1) | instskip(NEXT) | instid1(VALU_DEP_1)
	v_or3_b32 v41, v43, v41, v44
	v_cndmask_b32_e32 v40, 0, v41, vcc_lo
.LBB6_3376:                             ;   in Loop: Header=BB6_3361 Depth=3
	s_or_b32 exec_lo, exec_lo, s17
.LBB6_3377:                             ;   in Loop: Header=BB6_3361 Depth=3
	s_delay_alu instid0(SALU_CYCLE_1) | instskip(SKIP_3) | instid1(VALU_DEP_1)
	s_or_b32 exec_lo, exec_lo, s16
	v_lshrrev_b16 v42, 8, v48
	s_mov_b32 s13, 0
	s_mov_b32 s17, exec_lo
                                        ; implicit-def: $sgpr16
	v_cmpx_lt_i16_e32 0x7f, v42
	s_xor_b32 s17, exec_lo, s17
	s_cbranch_execnz .LBB6_4391
; %bb.3378:                             ;   in Loop: Header=BB6_3361 Depth=3
	s_or_saveexec_b32 s17, s17
	v_mov_b32_e32 v41, s16
	s_xor_b32 exec_lo, exec_lo, s17
	s_cbranch_execnz .LBB6_4394
.LBB6_3379:                             ;   in Loop: Header=BB6_3361 Depth=3
	s_or_b32 exec_lo, exec_lo, s17
	s_and_saveexec_b32 s16, s13
	s_cbranch_execz .LBB6_3381
.LBB6_3380:                             ;   in Loop: Header=BB6_3361 Depth=3
	v_and_b32_e32 v41, 0xffff, v42
	s_delay_alu instid0(VALU_DEP_1) | instskip(NEXT) | instid1(VALU_DEP_1)
	v_and_b32_e32 v43, 7, v41
	v_clz_i32_u32_e32 v44, v43
	s_delay_alu instid0(VALU_DEP_1) | instskip(NEXT) | instid1(VALU_DEP_1)
	v_min_u32_e32 v44, 32, v44
	v_subrev_nc_u32_e32 v45, 28, v44
	v_sub_nc_u32_e32 v44, 29, v44
	s_delay_alu instid0(VALU_DEP_2) | instskip(SKIP_1) | instid1(VALU_DEP_2)
	v_lshlrev_b32_e32 v45, v45, v41
	v_bfe_u32 v41, v41, 3, 4
	v_and_b32_e32 v45, 7, v45
	s_delay_alu instid0(VALU_DEP_2) | instskip(SKIP_1) | instid1(VALU_DEP_1)
	v_cmp_eq_u32_e32 vcc_lo, 0, v41
	v_dual_cndmask_b32 v41, v41, v44 :: v_dual_lshlrev_b32 v42, 24, v42
	v_dual_cndmask_b32 v43, v43, v45 :: v_dual_and_b32 v42, 0x80000000, v42
	s_delay_alu instid0(VALU_DEP_2) | instskip(NEXT) | instid1(VALU_DEP_2)
	v_lshl_add_u32 v41, v41, 23, 0x3b800000
	v_lshlrev_b32_e32 v43, 20, v43
	s_delay_alu instid0(VALU_DEP_1)
	v_or3_b32 v41, v42, v41, v43
.LBB6_3381:                             ;   in Loop: Header=BB6_3361 Depth=3
	s_or_b32 exec_lo, exec_lo, s16
	v_lshrrev_b16 v42, 8, v36
	s_mov_b32 s13, 0
	s_mov_b32 s17, exec_lo
                                        ; implicit-def: $sgpr16
	s_delay_alu instid0(VALU_DEP_1)
	v_cmpx_lt_i16_e32 0x7f, v42
	s_xor_b32 s17, exec_lo, s17
	s_cbranch_execnz .LBB6_4395
; %bb.3382:                             ;   in Loop: Header=BB6_3361 Depth=3
	s_or_saveexec_b32 s17, s17
	v_mov_b32_e32 v43, s16
	s_xor_b32 exec_lo, exec_lo, s17
	s_cbranch_execnz .LBB6_4398
.LBB6_3383:                             ;   in Loop: Header=BB6_3361 Depth=3
	s_or_b32 exec_lo, exec_lo, s17
	s_and_saveexec_b32 s16, s13
	s_cbranch_execz .LBB6_3385
.LBB6_3384:                             ;   in Loop: Header=BB6_3361 Depth=3
	v_and_b32_e32 v43, 0xffff, v42
	v_lshlrev_b32_e32 v42, 24, v42
	s_delay_alu instid0(VALU_DEP_2) | instskip(NEXT) | instid1(VALU_DEP_2)
	v_and_b32_e32 v44, 7, v43
	v_and_b32_e32 v42, 0x80000000, v42
	s_delay_alu instid0(VALU_DEP_2) | instskip(NEXT) | instid1(VALU_DEP_1)
	v_clz_i32_u32_e32 v45, v44
	v_min_u32_e32 v45, 32, v45
	s_delay_alu instid0(VALU_DEP_1) | instskip(SKIP_1) | instid1(VALU_DEP_2)
	v_subrev_nc_u32_e32 v46, 28, v45
	v_sub_nc_u32_e32 v45, 29, v45
	v_lshlrev_b32_e32 v46, v46, v43
	v_bfe_u32 v43, v43, 3, 4
	s_delay_alu instid0(VALU_DEP_2) | instskip(NEXT) | instid1(VALU_DEP_2)
	v_and_b32_e32 v46, 7, v46
	v_cmp_eq_u32_e32 vcc_lo, 0, v43
	s_delay_alu instid0(VALU_DEP_2) | instskip(NEXT) | instid1(VALU_DEP_1)
	v_dual_cndmask_b32 v43, v43, v45 :: v_dual_cndmask_b32 v44, v44, v46
	v_lshl_add_u32 v43, v43, 23, 0x3b800000
	s_delay_alu instid0(VALU_DEP_2) | instskip(NEXT) | instid1(VALU_DEP_1)
	v_lshlrev_b32_e32 v44, 20, v44
	v_or3_b32 v43, v42, v43, v44
.LBB6_3385:                             ;   in Loop: Header=BB6_3361 Depth=3
	s_or_b32 exec_lo, exec_lo, s16
	s_delay_alu instid0(VALU_DEP_1) | instskip(NEXT) | instid1(VALU_DEP_1)
	v_add_f32_e32 v42, v41, v43
	v_and_b32_e32 v41, 0x7f800000, v42
	s_delay_alu instid0(VALU_DEP_1)
	v_cmp_ne_u32_e32 vcc_lo, 0x7f800000, v41
	v_mov_b32_e32 v41, 0x80
	s_and_saveexec_b32 s16, vcc_lo
	s_cbranch_execz .LBB6_3393
; %bb.3386:                             ;   in Loop: Header=BB6_3361 Depth=3
	v_mov_b32_e32 v41, 0
	s_mov_b32 s17, exec_lo
	v_cmpx_ne_u32_e32 0, v42
	s_cbranch_execz .LBB6_3392
; %bb.3387:                             ;   in Loop: Header=BB6_3361 Depth=3
	v_bfe_u32 v41, v42, 23, 8
	s_delay_alu instid0(VALU_DEP_1) | instskip(SKIP_1) | instid1(VALU_DEP_2)
	v_sub_nc_u32_e32 v44, 0x78, v41
	v_cmp_gt_u32_e32 vcc_lo, 0x79, v41
	v_dual_cndmask_b32 v44, 0, v44 :: v_dual_and_b32 v43, 0x7fffff, v42
	s_delay_alu instid0(VALU_DEP_1) | instskip(SKIP_2) | instid1(VALU_DEP_4)
	v_or_b32_e32 v45, 0x800000, v43
	v_cmp_eq_u32_e32 vcc_lo, 0, v41
	v_add_nc_u32_e32 v41, 0xffffff89, v41
	v_cndmask_b32_e64 v44, v44, 0x77, vcc_lo
	s_delay_alu instid0(VALU_DEP_2) | instskip(SKIP_1) | instid1(VALU_DEP_3)
	v_cndmask_b32_e64 v41, v41, 0xffffff8a, vcc_lo
	v_cndmask_b32_e32 v43, v45, v43, vcc_lo
	v_lshl_add_u32 v45, 0x100000, v44, -1
	v_lshlrev_b32_e64 v56, v44, 0x80000
	s_delay_alu instid0(VALU_DEP_3) | instskip(SKIP_1) | instid1(VALU_DEP_4)
	v_lshrrev_b32_e32 v46, v44, v43
	v_add_nc_u32_e32 v44, v44, v41
	v_and_b32_e32 v43, v45, v43
	s_delay_alu instid0(VALU_DEP_3) | instskip(NEXT) | instid1(VALU_DEP_2)
	v_bfe_u32 v47, v46, 20, 1
	v_cmp_eq_u32_e64 s13, v43, v56
	s_delay_alu instid0(VALU_DEP_2) | instskip(NEXT) | instid1(VALU_DEP_1)
	v_add_nc_u32_e32 v45, -1, v47
	v_cndmask_b32_e64 v43, 0, v45, s13
	v_lshrrev_b32_e32 v45, 23, v46
	s_mov_b32 s13, exec_lo
	s_delay_alu instid0(VALU_DEP_2) | instskip(NEXT) | instid1(VALU_DEP_2)
	v_add_nc_u32_e32 v43, v43, v46
	v_xor_b32_e32 v45, 1, v45
	s_delay_alu instid0(VALU_DEP_2) | instskip(NEXT) | instid1(VALU_DEP_1)
	v_and_b32_e32 v41, 0xfffff, v43
	v_add_nc_u32_e32 v43, v41, v46
                                        ; implicit-def: $vgpr41
	s_delay_alu instid0(VALU_DEP_3)
	v_cmpx_ne_u32_e64 v44, v45
	s_xor_b32 s13, exec_lo, s13
; %bb.3388:                             ;   in Loop: Header=BB6_3361 Depth=3
	s_delay_alu instid0(VALU_DEP_2) | instskip(SKIP_2) | instid1(VALU_DEP_2)
	v_cmp_lt_u32_e32 vcc_lo, 0xffffff, v43
	v_sub_nc_u32_e32 v41, v44, v45
	v_cndmask_b32_e64 v44, 0, 1, vcc_lo
	v_add_co_ci_u32_e32 v41, vcc_lo, 0, v41, vcc_lo
	s_delay_alu instid0(VALU_DEP_2)
	v_lshrrev_b32_e32 v43, v44, v43
; %bb.3389:                             ;   in Loop: Header=BB6_3361 Depth=3
	s_and_not1_saveexec_b32 s13, s13
; %bb.3390:                             ;   in Loop: Header=BB6_3361 Depth=3
	s_delay_alu instid0(VALU_DEP_1)
	v_bfe_u32 v41, v43, 23, 1
; %bb.3391:                             ;   in Loop: Header=BB6_3361 Depth=3
	s_or_b32 exec_lo, exec_lo, s13
	v_lshrrev_b32_e32 v43, 20, v43
	s_delay_alu instid0(VALU_DEP_2) | instskip(SKIP_2) | instid1(VALU_DEP_2)
	v_cmp_gt_i32_e32 vcc_lo, 16, v41
	v_lshrrev_b32_e32 v42, 24, v42
	v_min_i32_e32 v44, 15, v41
	v_dual_cndmask_b32 v43, 7, v43 :: v_dual_and_b32 v42, 0x80, v42
	s_delay_alu instid0(VALU_DEP_1) | instskip(SKIP_1) | instid1(VALU_DEP_2)
	v_or_b32_e32 v41, v41, v43
	v_and_b32_e32 v45, 7, v43
	v_cmp_ne_u32_e32 vcc_lo, 0, v41
	v_lshlrev_b32_e32 v44, 3, v44
	s_delay_alu instid0(VALU_DEP_1) | instskip(NEXT) | instid1(VALU_DEP_1)
	v_or3_b32 v42, v44, v42, v45
	v_cndmask_b32_e32 v41, 0, v42, vcc_lo
.LBB6_3392:                             ;   in Loop: Header=BB6_3361 Depth=3
	s_or_b32 exec_lo, exec_lo, s17
.LBB6_3393:                             ;   in Loop: Header=BB6_3361 Depth=3
	s_delay_alu instid0(SALU_CYCLE_1) | instskip(SKIP_3) | instid1(VALU_DEP_1)
	s_or_b32 exec_lo, exec_lo, s16
	v_lshrrev_b32_e32 v43, 16, v48
	s_mov_b32 s13, 0
	s_mov_b32 s17, exec_lo
                                        ; implicit-def: $sgpr16
	v_and_b32_e32 v44, 0xff, v43
	s_delay_alu instid0(VALU_DEP_1)
	v_cmpx_lt_i16_e32 0x7f, v44
	s_xor_b32 s17, exec_lo, s17
	s_cbranch_execnz .LBB6_4399
; %bb.3394:                             ;   in Loop: Header=BB6_3361 Depth=3
	s_or_saveexec_b32 s17, s17
	v_mov_b32_e32 v42, s16
	s_xor_b32 exec_lo, exec_lo, s17
	s_cbranch_execnz .LBB6_4402
.LBB6_3395:                             ;   in Loop: Header=BB6_3361 Depth=3
	s_or_b32 exec_lo, exec_lo, s17
	s_and_saveexec_b32 s16, s13
	s_cbranch_execz .LBB6_3397
.LBB6_3396:                             ;   in Loop: Header=BB6_3361 Depth=3
	v_bfe_u32 v42, v48, 16, 3
	v_lshlrev_b32_e32 v46, 8, v48
	s_delay_alu instid0(VALU_DEP_2) | instskip(NEXT) | instid1(VALU_DEP_1)
	v_clz_i32_u32_e32 v44, v42
	v_min_u32_e32 v44, 32, v44
	s_delay_alu instid0(VALU_DEP_1) | instskip(SKIP_1) | instid1(VALU_DEP_2)
	v_subrev_nc_u32_e32 v45, 28, v44
	v_sub_nc_u32_e32 v44, 29, v44
	v_lshlrev_b32_e32 v43, v45, v43
	v_bfe_u32 v45, v48, 19, 4
	s_delay_alu instid0(VALU_DEP_1) | instskip(NEXT) | instid1(VALU_DEP_3)
	v_cmp_eq_u32_e32 vcc_lo, 0, v45
	v_dual_cndmask_b32 v44, v45, v44 :: v_dual_and_b32 v43, 7, v43
	s_delay_alu instid0(VALU_DEP_1) | instskip(NEXT) | instid1(VALU_DEP_2)
	v_dual_cndmask_b32 v42, v42, v43 :: v_dual_and_b32 v43, 0x80000000, v46
	v_lshl_add_u32 v44, v44, 23, 0x3b800000
	s_delay_alu instid0(VALU_DEP_2) | instskip(NEXT) | instid1(VALU_DEP_1)
	v_lshlrev_b32_e32 v42, 20, v42
	v_or3_b32 v42, v43, v44, v42
.LBB6_3397:                             ;   in Loop: Header=BB6_3361 Depth=3
	s_or_b32 exec_lo, exec_lo, s16
	v_lshrrev_b32_e32 v43, 16, v36
	s_mov_b32 s13, 0
	s_mov_b32 s17, exec_lo
                                        ; implicit-def: $sgpr16
	s_delay_alu instid0(VALU_DEP_1) | instskip(NEXT) | instid1(VALU_DEP_1)
	v_and_b32_e32 v45, 0xff, v43
	v_cmpx_lt_i16_e32 0x7f, v45
	s_xor_b32 s17, exec_lo, s17
	s_cbranch_execnz .LBB6_4403
; %bb.3398:                             ;   in Loop: Header=BB6_3361 Depth=3
	s_or_saveexec_b32 s17, s17
	v_mov_b32_e32 v44, s16
	s_xor_b32 exec_lo, exec_lo, s17
	s_cbranch_execnz .LBB6_4406
.LBB6_3399:                             ;   in Loop: Header=BB6_3361 Depth=3
	s_or_b32 exec_lo, exec_lo, s17
	s_and_saveexec_b32 s16, s13
	s_cbranch_execz .LBB6_3401
.LBB6_3400:                             ;   in Loop: Header=BB6_3361 Depth=3
	v_bfe_u32 v44, v36, 16, 3
	v_lshlrev_b32_e32 v47, 8, v36
	s_delay_alu instid0(VALU_DEP_2) | instskip(NEXT) | instid1(VALU_DEP_1)
	v_clz_i32_u32_e32 v45, v44
	v_min_u32_e32 v45, 32, v45
	s_delay_alu instid0(VALU_DEP_1) | instskip(SKIP_1) | instid1(VALU_DEP_2)
	v_subrev_nc_u32_e32 v46, 28, v45
	v_sub_nc_u32_e32 v45, 29, v45
	v_lshlrev_b32_e32 v43, v46, v43
	v_bfe_u32 v46, v36, 19, 4
	s_delay_alu instid0(VALU_DEP_2) | instskip(NEXT) | instid1(VALU_DEP_2)
	v_and_b32_e32 v43, 7, v43
	v_cmp_eq_u32_e32 vcc_lo, 0, v46
	v_cndmask_b32_e32 v45, v46, v45, vcc_lo
	s_delay_alu instid0(VALU_DEP_3) | instskip(SKIP_1) | instid1(VALU_DEP_3)
	v_cndmask_b32_e32 v43, v44, v43, vcc_lo
	v_and_b32_e32 v44, 0x80000000, v47
	v_lshl_add_u32 v45, v45, 23, 0x3b800000
	s_delay_alu instid0(VALU_DEP_3) | instskip(NEXT) | instid1(VALU_DEP_1)
	v_lshlrev_b32_e32 v43, 20, v43
	v_or3_b32 v44, v44, v45, v43
.LBB6_3401:                             ;   in Loop: Header=BB6_3361 Depth=3
	s_or_b32 exec_lo, exec_lo, s16
	s_delay_alu instid0(VALU_DEP_1) | instskip(NEXT) | instid1(VALU_DEP_1)
	v_add_f32_e32 v43, v42, v44
	v_and_b32_e32 v42, 0x7f800000, v43
	s_delay_alu instid0(VALU_DEP_1)
	v_cmp_ne_u32_e32 vcc_lo, 0x7f800000, v42
	v_mov_b32_e32 v42, 0x80
	s_and_saveexec_b32 s16, vcc_lo
	s_cbranch_execz .LBB6_3409
; %bb.3402:                             ;   in Loop: Header=BB6_3361 Depth=3
	v_mov_b32_e32 v42, 0
	s_mov_b32 s17, exec_lo
	v_cmpx_ne_u32_e32 0, v43
	s_cbranch_execz .LBB6_3408
; %bb.3403:                             ;   in Loop: Header=BB6_3361 Depth=3
	v_bfe_u32 v42, v43, 23, 8
	s_delay_alu instid0(VALU_DEP_1) | instskip(SKIP_1) | instid1(VALU_DEP_2)
	v_sub_nc_u32_e32 v45, 0x78, v42
	v_cmp_gt_u32_e32 vcc_lo, 0x79, v42
	v_dual_cndmask_b32 v45, 0, v45 :: v_dual_and_b32 v44, 0x7fffff, v43
	s_delay_alu instid0(VALU_DEP_1) | instskip(SKIP_2) | instid1(VALU_DEP_4)
	v_or_b32_e32 v46, 0x800000, v44
	v_cmp_eq_u32_e32 vcc_lo, 0, v42
	v_add_nc_u32_e32 v42, 0xffffff89, v42
	v_cndmask_b32_e64 v45, v45, 0x77, vcc_lo
	s_delay_alu instid0(VALU_DEP_2) | instskip(SKIP_1) | instid1(VALU_DEP_3)
	v_cndmask_b32_e64 v42, v42, 0xffffff8a, vcc_lo
	v_cndmask_b32_e32 v44, v46, v44, vcc_lo
	v_lshl_add_u32 v46, 0x100000, v45, -1
	v_lshlrev_b32_e64 v57, v45, 0x80000
	s_delay_alu instid0(VALU_DEP_3) | instskip(SKIP_1) | instid1(VALU_DEP_4)
	v_lshrrev_b32_e32 v47, v45, v44
	v_add_nc_u32_e32 v45, v45, v42
	v_and_b32_e32 v44, v46, v44
	s_delay_alu instid0(VALU_DEP_3) | instskip(NEXT) | instid1(VALU_DEP_2)
	v_bfe_u32 v56, v47, 20, 1
	v_cmp_eq_u32_e64 s13, v44, v57
	s_delay_alu instid0(VALU_DEP_2) | instskip(NEXT) | instid1(VALU_DEP_1)
	v_add_nc_u32_e32 v46, -1, v56
	v_cndmask_b32_e64 v44, 0, v46, s13
	v_lshrrev_b32_e32 v46, 23, v47
	s_mov_b32 s13, exec_lo
	s_delay_alu instid0(VALU_DEP_2) | instskip(NEXT) | instid1(VALU_DEP_2)
	v_add_nc_u32_e32 v44, v44, v47
	v_xor_b32_e32 v46, 1, v46
	s_delay_alu instid0(VALU_DEP_2) | instskip(NEXT) | instid1(VALU_DEP_1)
	v_and_b32_e32 v42, 0xfffff, v44
	v_add_nc_u32_e32 v44, v42, v47
                                        ; implicit-def: $vgpr42
	s_delay_alu instid0(VALU_DEP_3)
	v_cmpx_ne_u32_e64 v45, v46
	s_xor_b32 s13, exec_lo, s13
; %bb.3404:                             ;   in Loop: Header=BB6_3361 Depth=3
	s_delay_alu instid0(VALU_DEP_2) | instskip(SKIP_2) | instid1(VALU_DEP_2)
	v_cmp_lt_u32_e32 vcc_lo, 0xffffff, v44
	v_sub_nc_u32_e32 v42, v45, v46
	v_cndmask_b32_e64 v45, 0, 1, vcc_lo
	v_add_co_ci_u32_e32 v42, vcc_lo, 0, v42, vcc_lo
	s_delay_alu instid0(VALU_DEP_2)
	v_lshrrev_b32_e32 v44, v45, v44
; %bb.3405:                             ;   in Loop: Header=BB6_3361 Depth=3
	s_and_not1_saveexec_b32 s13, s13
; %bb.3406:                             ;   in Loop: Header=BB6_3361 Depth=3
	s_delay_alu instid0(VALU_DEP_1)
	v_bfe_u32 v42, v44, 23, 1
; %bb.3407:                             ;   in Loop: Header=BB6_3361 Depth=3
	s_or_b32 exec_lo, exec_lo, s13
	v_lshrrev_b32_e32 v44, 20, v44
	s_delay_alu instid0(VALU_DEP_2) | instskip(SKIP_2) | instid1(VALU_DEP_2)
	v_cmp_gt_i32_e32 vcc_lo, 16, v42
	v_lshrrev_b32_e32 v43, 24, v43
	v_min_i32_e32 v45, 15, v42
	v_dual_cndmask_b32 v44, 7, v44 :: v_dual_and_b32 v43, 0x80, v43
	s_delay_alu instid0(VALU_DEP_1) | instskip(SKIP_1) | instid1(VALU_DEP_2)
	v_or_b32_e32 v42, v42, v44
	v_and_b32_e32 v46, 7, v44
	v_cmp_ne_u32_e32 vcc_lo, 0, v42
	v_lshlrev_b32_e32 v45, 3, v45
	s_delay_alu instid0(VALU_DEP_1) | instskip(NEXT) | instid1(VALU_DEP_1)
	v_or3_b32 v43, v45, v43, v46
	v_cndmask_b32_e32 v42, 0, v43, vcc_lo
.LBB6_3408:                             ;   in Loop: Header=BB6_3361 Depth=3
	s_or_b32 exec_lo, exec_lo, s17
.LBB6_3409:                             ;   in Loop: Header=BB6_3361 Depth=3
	s_delay_alu instid0(SALU_CYCLE_1) | instskip(SKIP_3) | instid1(VALU_DEP_1)
	s_or_b32 exec_lo, exec_lo, s16
	v_lshrrev_b32_e32 v44, 24, v48
	s_mov_b32 s13, 0
	s_mov_b32 s17, exec_lo
                                        ; implicit-def: $sgpr16
	v_cmpx_lt_i16_e32 0x7f, v44
	s_xor_b32 s17, exec_lo, s17
	s_cbranch_execnz .LBB6_4407
; %bb.3410:                             ;   in Loop: Header=BB6_3361 Depth=3
	s_or_saveexec_b32 s17, s17
	v_mov_b32_e32 v43, s16
	s_xor_b32 exec_lo, exec_lo, s17
	s_cbranch_execnz .LBB6_4410
.LBB6_3411:                             ;   in Loop: Header=BB6_3361 Depth=3
	s_or_b32 exec_lo, exec_lo, s17
	s_and_saveexec_b32 s16, s13
	s_cbranch_execz .LBB6_3413
.LBB6_3412:                             ;   in Loop: Header=BB6_3361 Depth=3
	v_bfe_u32 v43, v48, 24, 3
	s_delay_alu instid0(VALU_DEP_1) | instskip(NEXT) | instid1(VALU_DEP_1)
	v_clz_i32_u32_e32 v45, v43
	v_min_u32_e32 v45, 32, v45
	s_delay_alu instid0(VALU_DEP_1) | instskip(SKIP_1) | instid1(VALU_DEP_2)
	v_subrev_nc_u32_e32 v46, 28, v45
	v_sub_nc_u32_e32 v45, 29, v45
	v_lshlrev_b32_e32 v44, v46, v44
	v_bfe_u32 v46, v48, 27, 4
	v_and_b32_e32 v48, 0x80000000, v48
	s_delay_alu instid0(VALU_DEP_2) | instskip(NEXT) | instid1(VALU_DEP_4)
	v_cmp_eq_u32_e32 vcc_lo, 0, v46
	v_dual_cndmask_b32 v45, v46, v45 :: v_dual_and_b32 v44, 7, v44
	s_delay_alu instid0(VALU_DEP_1) | instskip(NEXT) | instid1(VALU_DEP_2)
	v_cndmask_b32_e32 v43, v43, v44, vcc_lo
	v_lshl_add_u32 v44, v45, 23, 0x3b800000
	s_delay_alu instid0(VALU_DEP_2) | instskip(NEXT) | instid1(VALU_DEP_1)
	v_lshlrev_b32_e32 v43, 20, v43
	v_or3_b32 v43, v48, v44, v43
.LBB6_3413:                             ;   in Loop: Header=BB6_3361 Depth=3
	s_or_b32 exec_lo, exec_lo, s16
	v_lshrrev_b32_e32 v48, 24, v36
	s_mov_b32 s13, 0
	s_mov_b32 s17, exec_lo
                                        ; implicit-def: $sgpr16
	s_delay_alu instid0(VALU_DEP_1)
	v_cmpx_lt_i16_e32 0x7f, v48
	s_xor_b32 s17, exec_lo, s17
	s_cbranch_execnz .LBB6_4411
; %bb.3414:                             ;   in Loop: Header=BB6_3361 Depth=3
	s_or_saveexec_b32 s17, s17
	v_mov_b32_e32 v44, s16
	s_xor_b32 exec_lo, exec_lo, s17
	s_cbranch_execnz .LBB6_4414
.LBB6_3415:                             ;   in Loop: Header=BB6_3361 Depth=3
	s_or_b32 exec_lo, exec_lo, s17
	s_and_saveexec_b32 s16, s13
	s_cbranch_execz .LBB6_3417
.LBB6_3416:                             ;   in Loop: Header=BB6_3361 Depth=3
	v_bfe_u32 v44, v36, 24, 3
	s_delay_alu instid0(VALU_DEP_1) | instskip(NEXT) | instid1(VALU_DEP_1)
	v_clz_i32_u32_e32 v45, v44
	v_min_u32_e32 v45, 32, v45
	s_delay_alu instid0(VALU_DEP_1) | instskip(SKIP_1) | instid1(VALU_DEP_2)
	v_subrev_nc_u32_e32 v46, 28, v45
	v_sub_nc_u32_e32 v45, 29, v45
	v_lshlrev_b32_e32 v48, v46, v48
	v_bfe_u32 v46, v36, 27, 4
	v_and_b32_e32 v36, 0x80000000, v36
	s_delay_alu instid0(VALU_DEP_2) | instskip(NEXT) | instid1(VALU_DEP_4)
	v_cmp_eq_u32_e32 vcc_lo, 0, v46
	v_dual_cndmask_b32 v45, v46, v45 :: v_dual_and_b32 v48, 7, v48
	s_delay_alu instid0(VALU_DEP_1) | instskip(NEXT) | instid1(VALU_DEP_2)
	v_cndmask_b32_e32 v48, v44, v48, vcc_lo
	v_lshl_add_u32 v44, v45, 23, 0x3b800000
	s_delay_alu instid0(VALU_DEP_2) | instskip(NEXT) | instid1(VALU_DEP_1)
	v_lshlrev_b32_e32 v48, 20, v48
	v_or3_b32 v44, v36, v44, v48
.LBB6_3417:                             ;   in Loop: Header=BB6_3361 Depth=3
	s_or_b32 exec_lo, exec_lo, s16
	s_delay_alu instid0(VALU_DEP_1) | instskip(NEXT) | instid1(VALU_DEP_1)
	v_add_f32_e32 v48, v43, v44
	v_and_b32_e32 v36, 0x7f800000, v48
	s_delay_alu instid0(VALU_DEP_1)
	v_cmp_ne_u32_e32 vcc_lo, 0x7f800000, v36
	v_mov_b32_e32 v36, 0x80
	s_and_saveexec_b32 s16, vcc_lo
	s_cbranch_execz .LBB6_3425
; %bb.3418:                             ;   in Loop: Header=BB6_3361 Depth=3
	v_mov_b32_e32 v36, 0
	s_mov_b32 s17, exec_lo
	v_cmpx_ne_u32_e32 0, v48
	s_cbranch_execz .LBB6_3424
; %bb.3419:                             ;   in Loop: Header=BB6_3361 Depth=3
	v_bfe_u32 v36, v48, 23, 8
	v_and_b32_e32 v43, 0x7fffff, v48
	s_delay_alu instid0(VALU_DEP_2) | instskip(SKIP_1) | instid1(VALU_DEP_3)
	v_sub_nc_u32_e32 v44, 0x78, v36
	v_cmp_gt_u32_e32 vcc_lo, 0x79, v36
	v_or_b32_e32 v45, 0x800000, v43
	s_delay_alu instid0(VALU_DEP_3) | instskip(SKIP_1) | instid1(VALU_DEP_3)
	v_cndmask_b32_e32 v44, 0, v44, vcc_lo
	v_cmp_eq_u32_e32 vcc_lo, 0, v36
	v_dual_cndmask_b32 v43, v45, v43 :: v_dual_add_nc_u32 v36, 0xffffff89, v36
	s_delay_alu instid0(VALU_DEP_3) | instskip(NEXT) | instid1(VALU_DEP_2)
	v_cndmask_b32_e64 v44, v44, 0x77, vcc_lo
	v_cndmask_b32_e64 v36, v36, 0xffffff8a, vcc_lo
	s_delay_alu instid0(VALU_DEP_2) | instskip(SKIP_2) | instid1(VALU_DEP_4)
	v_lshrrev_b32_e32 v46, v44, v43
	v_lshl_add_u32 v45, 0x100000, v44, -1
	v_lshlrev_b32_e64 v56, v44, 0x80000
	v_add_nc_u32_e32 v44, v44, v36
	s_delay_alu instid0(VALU_DEP_4) | instskip(NEXT) | instid1(VALU_DEP_4)
	v_bfe_u32 v47, v46, 20, 1
	v_and_b32_e32 v43, v45, v43
	s_delay_alu instid0(VALU_DEP_2) | instskip(NEXT) | instid1(VALU_DEP_2)
	v_add_nc_u32_e32 v45, -1, v47
	v_cmp_eq_u32_e64 s13, v43, v56
	s_delay_alu instid0(VALU_DEP_1) | instskip(SKIP_2) | instid1(VALU_DEP_2)
	v_cndmask_b32_e64 v43, 0, v45, s13
	v_lshrrev_b32_e32 v45, 23, v46
	s_mov_b32 s13, exec_lo
	v_add_nc_u32_e32 v43, v43, v46
	s_delay_alu instid0(VALU_DEP_2) | instskip(NEXT) | instid1(VALU_DEP_2)
	v_xor_b32_e32 v45, 1, v45
	v_and_b32_e32 v36, 0xfffff, v43
	s_delay_alu instid0(VALU_DEP_1) | instskip(NEXT) | instid1(VALU_DEP_3)
	v_add_nc_u32_e32 v43, v36, v46
                                        ; implicit-def: $vgpr36
	v_cmpx_ne_u32_e64 v44, v45
	s_xor_b32 s13, exec_lo, s13
; %bb.3420:                             ;   in Loop: Header=BB6_3361 Depth=3
	s_delay_alu instid0(VALU_DEP_2) | instskip(SKIP_2) | instid1(VALU_DEP_2)
	v_cmp_lt_u32_e32 vcc_lo, 0xffffff, v43
	v_sub_nc_u32_e32 v36, v44, v45
	v_cndmask_b32_e64 v44, 0, 1, vcc_lo
	v_add_co_ci_u32_e32 v36, vcc_lo, 0, v36, vcc_lo
	s_delay_alu instid0(VALU_DEP_2)
	v_lshrrev_b32_e32 v43, v44, v43
; %bb.3421:                             ;   in Loop: Header=BB6_3361 Depth=3
	s_and_not1_saveexec_b32 s13, s13
; %bb.3422:                             ;   in Loop: Header=BB6_3361 Depth=3
	s_delay_alu instid0(VALU_DEP_1)
	v_bfe_u32 v36, v43, 23, 1
; %bb.3423:                             ;   in Loop: Header=BB6_3361 Depth=3
	s_or_b32 exec_lo, exec_lo, s13
	v_lshrrev_b32_e32 v43, 20, v43
	s_delay_alu instid0(VALU_DEP_2) | instskip(SKIP_2) | instid1(VALU_DEP_2)
	v_cmp_gt_i32_e32 vcc_lo, 16, v36
	v_lshrrev_b32_e32 v48, 24, v48
	v_min_i32_e32 v44, 15, v36
	v_dual_cndmask_b32 v43, 7, v43 :: v_dual_and_b32 v48, 0x80, v48
	s_delay_alu instid0(VALU_DEP_2) | instskip(NEXT) | instid1(VALU_DEP_2)
	v_lshlrev_b32_e32 v44, 3, v44
	v_or_b32_e32 v36, v36, v43
	s_delay_alu instid0(VALU_DEP_1) | instskip(SKIP_1) | instid1(VALU_DEP_1)
	v_cmp_ne_u32_e32 vcc_lo, 0, v36
	v_and_b32_e32 v45, 7, v43
	v_or3_b32 v48, v44, v48, v45
	s_delay_alu instid0(VALU_DEP_1)
	v_cndmask_b32_e32 v36, 0, v48, vcc_lo
.LBB6_3424:                             ;   in Loop: Header=BB6_3361 Depth=3
	s_or_b32 exec_lo, exec_lo, s17
.LBB6_3425:                             ;   in Loop: Header=BB6_3361 Depth=3
	s_delay_alu instid0(SALU_CYCLE_1) | instskip(SKIP_3) | instid1(VALU_DEP_1)
	s_or_b32 exec_lo, exec_lo, s16
	v_and_b32_e32 v43, 0xff, v49
	s_mov_b32 s13, 0
	s_mov_b32 s17, exec_lo
                                        ; implicit-def: $sgpr16
	v_cmpx_lt_i16_e32 0x7f, v43
	s_xor_b32 s17, exec_lo, s17
	s_cbranch_execnz .LBB6_4415
; %bb.3426:                             ;   in Loop: Header=BB6_3361 Depth=3
	s_or_saveexec_b32 s17, s17
	v_mov_b32_e32 v48, s16
	s_xor_b32 exec_lo, exec_lo, s17
	s_cbranch_execnz .LBB6_4418
.LBB6_3427:                             ;   in Loop: Header=BB6_3361 Depth=3
	s_or_b32 exec_lo, exec_lo, s17
	s_and_saveexec_b32 s16, s13
	s_cbranch_execz .LBB6_3429
.LBB6_3428:                             ;   in Loop: Header=BB6_3361 Depth=3
	v_bfe_u32 v45, v49, 3, 4
	v_lshlrev_b32_e32 v46, 24, v49
	s_delay_alu instid0(VALU_DEP_2) | instskip(SKIP_1) | instid1(VALU_DEP_1)
	v_cmp_eq_u32_e32 vcc_lo, 0, v45
	v_and_b32_e32 v48, 7, v49
	v_clz_i32_u32_e32 v43, v48
	s_delay_alu instid0(VALU_DEP_1) | instskip(NEXT) | instid1(VALU_DEP_1)
	v_min_u32_e32 v43, 32, v43
	v_subrev_nc_u32_e32 v44, 28, v43
	v_sub_nc_u32_e32 v43, 29, v43
	s_delay_alu instid0(VALU_DEP_1) | instskip(NEXT) | instid1(VALU_DEP_1)
	v_dual_cndmask_b32 v43, v45, v43 :: v_dual_lshlrev_b32 v44, v44, v49
	v_and_b32_e32 v44, 7, v44
	s_delay_alu instid0(VALU_DEP_2) | instskip(NEXT) | instid1(VALU_DEP_2)
	v_lshl_add_u32 v43, v43, 23, 0x3b800000
	v_cndmask_b32_e32 v48, v48, v44, vcc_lo
	v_and_b32_e32 v44, 0x80000000, v46
	s_delay_alu instid0(VALU_DEP_2) | instskip(NEXT) | instid1(VALU_DEP_1)
	v_lshlrev_b32_e32 v48, 20, v48
	v_or3_b32 v48, v44, v43, v48
.LBB6_3429:                             ;   in Loop: Header=BB6_3361 Depth=3
	s_or_b32 exec_lo, exec_lo, s16
	v_and_b32_e32 v44, 0xff, v37
	s_mov_b32 s13, 0
	s_mov_b32 s17, exec_lo
                                        ; implicit-def: $sgpr16
	s_delay_alu instid0(VALU_DEP_1)
	v_cmpx_lt_i16_e32 0x7f, v44
	s_xor_b32 s17, exec_lo, s17
	s_cbranch_execnz .LBB6_4419
; %bb.3430:                             ;   in Loop: Header=BB6_3361 Depth=3
	s_or_saveexec_b32 s17, s17
	v_mov_b32_e32 v43, s16
	s_xor_b32 exec_lo, exec_lo, s17
	s_cbranch_execnz .LBB6_4422
.LBB6_3431:                             ;   in Loop: Header=BB6_3361 Depth=3
	s_or_b32 exec_lo, exec_lo, s17
	s_and_saveexec_b32 s16, s13
	s_cbranch_execz .LBB6_3433
.LBB6_3432:                             ;   in Loop: Header=BB6_3361 Depth=3
	v_bfe_u32 v46, v37, 3, 4
	v_lshlrev_b32_e32 v47, 24, v37
	s_delay_alu instid0(VALU_DEP_2) | instskip(SKIP_1) | instid1(VALU_DEP_1)
	v_cmp_eq_u32_e32 vcc_lo, 0, v46
	v_and_b32_e32 v43, 7, v37
	v_clz_i32_u32_e32 v44, v43
	s_delay_alu instid0(VALU_DEP_1) | instskip(NEXT) | instid1(VALU_DEP_1)
	v_min_u32_e32 v44, 32, v44
	v_subrev_nc_u32_e32 v45, 28, v44
	v_sub_nc_u32_e32 v44, 29, v44
	s_delay_alu instid0(VALU_DEP_1) | instskip(NEXT) | instid1(VALU_DEP_1)
	v_dual_cndmask_b32 v44, v46, v44 :: v_dual_lshlrev_b32 v45, v45, v37
	v_and_b32_e32 v45, 7, v45
	s_delay_alu instid0(VALU_DEP_2) | instskip(NEXT) | instid1(VALU_DEP_2)
	v_lshl_add_u32 v44, v44, 23, 0x3b800000
	v_cndmask_b32_e32 v43, v43, v45, vcc_lo
	v_and_b32_e32 v45, 0x80000000, v47
	s_delay_alu instid0(VALU_DEP_2) | instskip(NEXT) | instid1(VALU_DEP_1)
	v_lshlrev_b32_e32 v43, 20, v43
	v_or3_b32 v43, v45, v44, v43
.LBB6_3433:                             ;   in Loop: Header=BB6_3361 Depth=3
	s_or_b32 exec_lo, exec_lo, s16
	s_delay_alu instid0(VALU_DEP_1) | instskip(NEXT) | instid1(VALU_DEP_1)
	v_add_f32_e32 v43, v48, v43
	v_and_b32_e32 v48, 0x7f800000, v43
	s_delay_alu instid0(VALU_DEP_1)
	v_cmp_ne_u32_e32 vcc_lo, 0x7f800000, v48
	v_mov_b32_e32 v48, 0x80
	s_and_saveexec_b32 s16, vcc_lo
	s_cbranch_execz .LBB6_3441
; %bb.3434:                             ;   in Loop: Header=BB6_3361 Depth=3
	v_mov_b32_e32 v48, 0
	s_mov_b32 s17, exec_lo
	v_cmpx_ne_u32_e32 0, v43
	s_cbranch_execz .LBB6_3440
; %bb.3435:                             ;   in Loop: Header=BB6_3361 Depth=3
	v_bfe_u32 v48, v43, 23, 8
	s_delay_alu instid0(VALU_DEP_1) | instskip(SKIP_1) | instid1(VALU_DEP_2)
	v_sub_nc_u32_e32 v45, 0x78, v48
	v_cmp_gt_u32_e32 vcc_lo, 0x79, v48
	v_dual_cndmask_b32 v45, 0, v45 :: v_dual_and_b32 v44, 0x7fffff, v43
	s_delay_alu instid0(VALU_DEP_1) | instskip(SKIP_2) | instid1(VALU_DEP_4)
	v_or_b32_e32 v46, 0x800000, v44
	v_cmp_eq_u32_e32 vcc_lo, 0, v48
	v_add_nc_u32_e32 v48, 0xffffff89, v48
	v_cndmask_b32_e64 v45, v45, 0x77, vcc_lo
	s_delay_alu instid0(VALU_DEP_4) | instskip(NEXT) | instid1(VALU_DEP_3)
	v_cndmask_b32_e32 v44, v46, v44, vcc_lo
	v_cndmask_b32_e64 v48, v48, 0xffffff8a, vcc_lo
	s_delay_alu instid0(VALU_DEP_3) | instskip(NEXT) | instid1(VALU_DEP_3)
	v_lshl_add_u32 v46, 0x100000, v45, -1
	v_lshrrev_b32_e32 v47, v45, v44
	v_lshlrev_b32_e64 v57, v45, 0x80000
	s_delay_alu instid0(VALU_DEP_4) | instskip(NEXT) | instid1(VALU_DEP_4)
	v_add_nc_u32_e32 v45, v45, v48
	v_and_b32_e32 v44, v46, v44
	s_delay_alu instid0(VALU_DEP_4) | instskip(NEXT) | instid1(VALU_DEP_2)
	v_bfe_u32 v56, v47, 20, 1
	v_cmp_eq_u32_e64 s13, v44, v57
	s_delay_alu instid0(VALU_DEP_2) | instskip(NEXT) | instid1(VALU_DEP_1)
	v_add_nc_u32_e32 v46, -1, v56
	v_cndmask_b32_e64 v44, 0, v46, s13
	v_lshrrev_b32_e32 v46, 23, v47
	s_mov_b32 s13, exec_lo
	s_delay_alu instid0(VALU_DEP_2) | instskip(NEXT) | instid1(VALU_DEP_2)
	v_add_nc_u32_e32 v44, v44, v47
	v_xor_b32_e32 v46, 1, v46
	s_delay_alu instid0(VALU_DEP_2) | instskip(NEXT) | instid1(VALU_DEP_1)
	v_and_b32_e32 v48, 0xfffff, v44
	v_add_nc_u32_e32 v44, v48, v47
                                        ; implicit-def: $vgpr48
	s_delay_alu instid0(VALU_DEP_3)
	v_cmpx_ne_u32_e64 v45, v46
	s_xor_b32 s13, exec_lo, s13
; %bb.3436:                             ;   in Loop: Header=BB6_3361 Depth=3
	s_delay_alu instid0(VALU_DEP_2) | instskip(SKIP_2) | instid1(VALU_DEP_2)
	v_cmp_lt_u32_e32 vcc_lo, 0xffffff, v44
	v_sub_nc_u32_e32 v48, v45, v46
	v_cndmask_b32_e64 v45, 0, 1, vcc_lo
	v_add_co_ci_u32_e32 v48, vcc_lo, 0, v48, vcc_lo
	s_delay_alu instid0(VALU_DEP_2)
	v_lshrrev_b32_e32 v44, v45, v44
; %bb.3437:                             ;   in Loop: Header=BB6_3361 Depth=3
	s_and_not1_saveexec_b32 s13, s13
; %bb.3438:                             ;   in Loop: Header=BB6_3361 Depth=3
	s_delay_alu instid0(VALU_DEP_1)
	v_bfe_u32 v48, v44, 23, 1
; %bb.3439:                             ;   in Loop: Header=BB6_3361 Depth=3
	s_or_b32 exec_lo, exec_lo, s13
	v_lshrrev_b32_e32 v44, 20, v44
	s_delay_alu instid0(VALU_DEP_2) | instskip(SKIP_2) | instid1(VALU_DEP_2)
	v_cmp_gt_i32_e32 vcc_lo, 16, v48
	v_lshrrev_b32_e32 v43, 24, v43
	v_min_i32_e32 v45, 15, v48
	v_dual_cndmask_b32 v44, 7, v44 :: v_dual_and_b32 v43, 0x80, v43
	s_delay_alu instid0(VALU_DEP_1) | instskip(SKIP_1) | instid1(VALU_DEP_2)
	v_or_b32_e32 v48, v48, v44
	v_and_b32_e32 v46, 7, v44
	v_cmp_ne_u32_e32 vcc_lo, 0, v48
	v_lshlrev_b32_e32 v45, 3, v45
	s_delay_alu instid0(VALU_DEP_1) | instskip(NEXT) | instid1(VALU_DEP_1)
	v_or3_b32 v43, v45, v43, v46
	v_cndmask_b32_e32 v48, 0, v43, vcc_lo
.LBB6_3440:                             ;   in Loop: Header=BB6_3361 Depth=3
	s_or_b32 exec_lo, exec_lo, s17
.LBB6_3441:                             ;   in Loop: Header=BB6_3361 Depth=3
	s_delay_alu instid0(SALU_CYCLE_1) | instskip(SKIP_3) | instid1(VALU_DEP_1)
	s_or_b32 exec_lo, exec_lo, s16
	v_lshrrev_b16 v44, 8, v49
	s_mov_b32 s13, 0
	s_mov_b32 s17, exec_lo
                                        ; implicit-def: $sgpr16
	v_cmpx_lt_i16_e32 0x7f, v44
	s_xor_b32 s17, exec_lo, s17
	s_cbranch_execnz .LBB6_4423
; %bb.3442:                             ;   in Loop: Header=BB6_3361 Depth=3
	s_or_saveexec_b32 s17, s17
	v_mov_b32_e32 v43, s16
	s_xor_b32 exec_lo, exec_lo, s17
	s_cbranch_execnz .LBB6_4426
.LBB6_3443:                             ;   in Loop: Header=BB6_3361 Depth=3
	s_or_b32 exec_lo, exec_lo, s17
	s_and_saveexec_b32 s16, s13
	s_cbranch_execz .LBB6_3445
.LBB6_3444:                             ;   in Loop: Header=BB6_3361 Depth=3
	v_and_b32_e32 v43, 0xffff, v44
	s_delay_alu instid0(VALU_DEP_1) | instskip(NEXT) | instid1(VALU_DEP_1)
	v_and_b32_e32 v45, 7, v43
	v_clz_i32_u32_e32 v46, v45
	s_delay_alu instid0(VALU_DEP_1) | instskip(NEXT) | instid1(VALU_DEP_1)
	v_min_u32_e32 v46, 32, v46
	v_subrev_nc_u32_e32 v47, 28, v46
	v_sub_nc_u32_e32 v46, 29, v46
	s_delay_alu instid0(VALU_DEP_2) | instskip(SKIP_1) | instid1(VALU_DEP_2)
	v_lshlrev_b32_e32 v47, v47, v43
	v_bfe_u32 v43, v43, 3, 4
	v_and_b32_e32 v47, 7, v47
	s_delay_alu instid0(VALU_DEP_2) | instskip(SKIP_1) | instid1(VALU_DEP_1)
	v_cmp_eq_u32_e32 vcc_lo, 0, v43
	v_dual_cndmask_b32 v43, v43, v46 :: v_dual_lshlrev_b32 v44, 24, v44
	v_dual_cndmask_b32 v45, v45, v47 :: v_dual_and_b32 v44, 0x80000000, v44
	s_delay_alu instid0(VALU_DEP_2) | instskip(NEXT) | instid1(VALU_DEP_2)
	v_lshl_add_u32 v43, v43, 23, 0x3b800000
	v_lshlrev_b32_e32 v45, 20, v45
	s_delay_alu instid0(VALU_DEP_1)
	v_or3_b32 v43, v44, v43, v45
.LBB6_3445:                             ;   in Loop: Header=BB6_3361 Depth=3
	s_or_b32 exec_lo, exec_lo, s16
	v_lshrrev_b16 v44, 8, v37
	s_mov_b32 s13, 0
	s_mov_b32 s17, exec_lo
                                        ; implicit-def: $sgpr16
	s_delay_alu instid0(VALU_DEP_1)
	v_cmpx_lt_i16_e32 0x7f, v44
	s_xor_b32 s17, exec_lo, s17
	s_cbranch_execnz .LBB6_4427
; %bb.3446:                             ;   in Loop: Header=BB6_3361 Depth=3
	s_or_saveexec_b32 s17, s17
	v_mov_b32_e32 v45, s16
	s_xor_b32 exec_lo, exec_lo, s17
	s_cbranch_execnz .LBB6_4430
.LBB6_3447:                             ;   in Loop: Header=BB6_3361 Depth=3
	s_or_b32 exec_lo, exec_lo, s17
	s_and_saveexec_b32 s16, s13
	s_cbranch_execz .LBB6_3449
.LBB6_3448:                             ;   in Loop: Header=BB6_3361 Depth=3
	v_and_b32_e32 v45, 0xffff, v44
	v_lshlrev_b32_e32 v44, 24, v44
	s_delay_alu instid0(VALU_DEP_2) | instskip(NEXT) | instid1(VALU_DEP_2)
	v_and_b32_e32 v46, 7, v45
	v_and_b32_e32 v44, 0x80000000, v44
	s_delay_alu instid0(VALU_DEP_2) | instskip(NEXT) | instid1(VALU_DEP_1)
	v_clz_i32_u32_e32 v47, v46
	v_min_u32_e32 v47, 32, v47
	s_delay_alu instid0(VALU_DEP_1) | instskip(SKIP_1) | instid1(VALU_DEP_2)
	v_subrev_nc_u32_e32 v56, 28, v47
	v_sub_nc_u32_e32 v47, 29, v47
	v_lshlrev_b32_e32 v56, v56, v45
	v_bfe_u32 v45, v45, 3, 4
	s_delay_alu instid0(VALU_DEP_2) | instskip(NEXT) | instid1(VALU_DEP_2)
	v_and_b32_e32 v56, 7, v56
	v_cmp_eq_u32_e32 vcc_lo, 0, v45
	s_delay_alu instid0(VALU_DEP_2) | instskip(NEXT) | instid1(VALU_DEP_1)
	v_dual_cndmask_b32 v45, v45, v47 :: v_dual_cndmask_b32 v46, v46, v56
	v_lshl_add_u32 v45, v45, 23, 0x3b800000
	s_delay_alu instid0(VALU_DEP_2) | instskip(NEXT) | instid1(VALU_DEP_1)
	v_lshlrev_b32_e32 v46, 20, v46
	v_or3_b32 v45, v44, v45, v46
.LBB6_3449:                             ;   in Loop: Header=BB6_3361 Depth=3
	s_or_b32 exec_lo, exec_lo, s16
	s_delay_alu instid0(VALU_DEP_1) | instskip(NEXT) | instid1(VALU_DEP_1)
	v_add_f32_e32 v44, v43, v45
	v_and_b32_e32 v43, 0x7f800000, v44
	s_delay_alu instid0(VALU_DEP_1)
	v_cmp_ne_u32_e32 vcc_lo, 0x7f800000, v43
	v_mov_b32_e32 v43, 0x8000
	s_and_saveexec_b32 s16, vcc_lo
	s_cbranch_execz .LBB6_3457
; %bb.3450:                             ;   in Loop: Header=BB6_3361 Depth=3
	v_mov_b32_e32 v43, 0
	s_mov_b32 s17, exec_lo
	v_cmpx_ne_u32_e32 0, v44
	s_cbranch_execz .LBB6_3456
; %bb.3451:                             ;   in Loop: Header=BB6_3361 Depth=3
	v_bfe_u32 v43, v44, 23, 8
	s_delay_alu instid0(VALU_DEP_1) | instskip(SKIP_1) | instid1(VALU_DEP_2)
	v_sub_nc_u32_e32 v46, 0x78, v43
	v_cmp_gt_u32_e32 vcc_lo, 0x79, v43
	v_dual_cndmask_b32 v46, 0, v46 :: v_dual_and_b32 v45, 0x7fffff, v44
	s_delay_alu instid0(VALU_DEP_1) | instskip(SKIP_2) | instid1(VALU_DEP_4)
	v_or_b32_e32 v47, 0x800000, v45
	v_cmp_eq_u32_e32 vcc_lo, 0, v43
	v_add_nc_u32_e32 v43, 0xffffff89, v43
	v_cndmask_b32_e64 v46, v46, 0x77, vcc_lo
	s_delay_alu instid0(VALU_DEP_2) | instskip(SKIP_1) | instid1(VALU_DEP_3)
	v_cndmask_b32_e64 v43, v43, 0xffffff8a, vcc_lo
	v_cndmask_b32_e32 v45, v47, v45, vcc_lo
	v_lshl_add_u32 v47, 0x100000, v46, -1
	v_lshlrev_b32_e64 v58, v46, 0x80000
	s_delay_alu instid0(VALU_DEP_3) | instskip(SKIP_1) | instid1(VALU_DEP_4)
	v_lshrrev_b32_e32 v56, v46, v45
	v_add_nc_u32_e32 v46, v46, v43
	v_and_b32_e32 v45, v47, v45
	s_delay_alu instid0(VALU_DEP_3) | instskip(NEXT) | instid1(VALU_DEP_2)
	v_bfe_u32 v57, v56, 20, 1
	v_cmp_eq_u32_e64 s13, v45, v58
	s_delay_alu instid0(VALU_DEP_2) | instskip(NEXT) | instid1(VALU_DEP_1)
	v_add_nc_u32_e32 v47, -1, v57
	v_cndmask_b32_e64 v45, 0, v47, s13
	v_lshrrev_b32_e32 v47, 23, v56
	s_mov_b32 s13, exec_lo
	s_delay_alu instid0(VALU_DEP_2) | instskip(NEXT) | instid1(VALU_DEP_2)
	v_add_nc_u32_e32 v45, v45, v56
	v_xor_b32_e32 v47, 1, v47
	s_delay_alu instid0(VALU_DEP_2) | instskip(NEXT) | instid1(VALU_DEP_1)
	v_and_b32_e32 v43, 0xfffff, v45
	v_add_nc_u32_e32 v45, v43, v56
                                        ; implicit-def: $vgpr43
	s_delay_alu instid0(VALU_DEP_3)
	v_cmpx_ne_u32_e64 v46, v47
	s_xor_b32 s13, exec_lo, s13
; %bb.3452:                             ;   in Loop: Header=BB6_3361 Depth=3
	s_delay_alu instid0(VALU_DEP_2) | instskip(SKIP_2) | instid1(VALU_DEP_2)
	v_cmp_lt_u32_e32 vcc_lo, 0xffffff, v45
	v_sub_nc_u32_e32 v43, v46, v47
	v_cndmask_b32_e64 v46, 0, 1, vcc_lo
	v_add_co_ci_u32_e32 v43, vcc_lo, 0, v43, vcc_lo
	s_delay_alu instid0(VALU_DEP_2)
	v_lshrrev_b32_e32 v45, v46, v45
; %bb.3453:                             ;   in Loop: Header=BB6_3361 Depth=3
	s_and_not1_saveexec_b32 s13, s13
; %bb.3454:                             ;   in Loop: Header=BB6_3361 Depth=3
	s_delay_alu instid0(VALU_DEP_1)
	v_bfe_u32 v43, v45, 23, 1
; %bb.3455:                             ;   in Loop: Header=BB6_3361 Depth=3
	s_or_b32 exec_lo, exec_lo, s13
	v_lshrrev_b32_e32 v45, 20, v45
	s_delay_alu instid0(VALU_DEP_2) | instskip(SKIP_2) | instid1(VALU_DEP_2)
	v_cmp_gt_i32_e32 vcc_lo, 16, v43
	v_min_i32_e32 v46, 15, v43
	v_lshrrev_b32_e32 v44, 24, v44
	v_dual_cndmask_b32 v45, 7, v45 :: v_dual_lshlrev_b32 v46, 3, v46
	s_delay_alu instid0(VALU_DEP_2) | instskip(NEXT) | instid1(VALU_DEP_2)
	v_and_b32_e32 v44, 0x80, v44
	v_or_b32_e32 v43, v43, v45
	v_and_b32_e32 v47, 7, v45
	s_delay_alu instid0(VALU_DEP_2) | instskip(SKIP_1) | instid1(VALU_DEP_1)
	v_cmp_ne_u32_e32 vcc_lo, 0, v43
	v_and_b32_e32 v46, 0xf8, v46
	v_or3_b32 v44, v44, v46, v47
	s_delay_alu instid0(VALU_DEP_1) | instskip(NEXT) | instid1(VALU_DEP_1)
	v_lshlrev_b32_e32 v44, 8, v44
	v_cndmask_b32_e32 v43, 0, v44, vcc_lo
.LBB6_3456:                             ;   in Loop: Header=BB6_3361 Depth=3
	s_or_b32 exec_lo, exec_lo, s17
.LBB6_3457:                             ;   in Loop: Header=BB6_3361 Depth=3
	s_delay_alu instid0(SALU_CYCLE_1) | instskip(SKIP_3) | instid1(VALU_DEP_1)
	s_or_b32 exec_lo, exec_lo, s16
	v_lshrrev_b32_e32 v45, 16, v49
	s_mov_b32 s13, 0
	s_mov_b32 s17, exec_lo
                                        ; implicit-def: $sgpr16
	v_and_b32_e32 v46, 0xff, v45
	s_delay_alu instid0(VALU_DEP_1)
	v_cmpx_lt_i16_e32 0x7f, v46
	s_xor_b32 s17, exec_lo, s17
	s_cbranch_execnz .LBB6_4431
; %bb.3458:                             ;   in Loop: Header=BB6_3361 Depth=3
	s_or_saveexec_b32 s17, s17
	v_mov_b32_e32 v44, s16
	s_xor_b32 exec_lo, exec_lo, s17
	s_cbranch_execnz .LBB6_4434
.LBB6_3459:                             ;   in Loop: Header=BB6_3361 Depth=3
	s_or_b32 exec_lo, exec_lo, s17
	s_and_saveexec_b32 s16, s13
	s_cbranch_execz .LBB6_3461
.LBB6_3460:                             ;   in Loop: Header=BB6_3361 Depth=3
	v_bfe_u32 v44, v49, 16, 3
	v_lshlrev_b32_e32 v56, 8, v49
	s_delay_alu instid0(VALU_DEP_2) | instskip(NEXT) | instid1(VALU_DEP_1)
	v_clz_i32_u32_e32 v46, v44
	v_min_u32_e32 v46, 32, v46
	s_delay_alu instid0(VALU_DEP_1) | instskip(SKIP_1) | instid1(VALU_DEP_2)
	v_subrev_nc_u32_e32 v47, 28, v46
	v_sub_nc_u32_e32 v46, 29, v46
	v_lshlrev_b32_e32 v45, v47, v45
	v_bfe_u32 v47, v49, 19, 4
	s_delay_alu instid0(VALU_DEP_1) | instskip(NEXT) | instid1(VALU_DEP_3)
	v_cmp_eq_u32_e32 vcc_lo, 0, v47
	v_dual_cndmask_b32 v46, v47, v46 :: v_dual_and_b32 v45, 7, v45
	s_delay_alu instid0(VALU_DEP_1) | instskip(NEXT) | instid1(VALU_DEP_2)
	v_dual_cndmask_b32 v44, v44, v45 :: v_dual_and_b32 v45, 0x80000000, v56
	v_lshl_add_u32 v46, v46, 23, 0x3b800000
	s_delay_alu instid0(VALU_DEP_2) | instskip(NEXT) | instid1(VALU_DEP_1)
	v_lshlrev_b32_e32 v44, 20, v44
	v_or3_b32 v44, v45, v46, v44
.LBB6_3461:                             ;   in Loop: Header=BB6_3361 Depth=3
	s_or_b32 exec_lo, exec_lo, s16
	v_lshrrev_b32_e32 v45, 16, v37
	s_mov_b32 s13, 0
	s_mov_b32 s17, exec_lo
                                        ; implicit-def: $sgpr16
	s_delay_alu instid0(VALU_DEP_1) | instskip(NEXT) | instid1(VALU_DEP_1)
	v_and_b32_e32 v47, 0xff, v45
	v_cmpx_lt_i16_e32 0x7f, v47
	s_xor_b32 s17, exec_lo, s17
	s_cbranch_execnz .LBB6_4435
; %bb.3462:                             ;   in Loop: Header=BB6_3361 Depth=3
	s_or_saveexec_b32 s17, s17
	v_mov_b32_e32 v46, s16
	s_xor_b32 exec_lo, exec_lo, s17
	s_cbranch_execnz .LBB6_4438
.LBB6_3463:                             ;   in Loop: Header=BB6_3361 Depth=3
	s_or_b32 exec_lo, exec_lo, s17
	s_and_saveexec_b32 s16, s13
	s_cbranch_execz .LBB6_3465
.LBB6_3464:                             ;   in Loop: Header=BB6_3361 Depth=3
	v_bfe_u32 v46, v37, 16, 3
	v_lshlrev_b32_e32 v57, 8, v37
	s_delay_alu instid0(VALU_DEP_2) | instskip(NEXT) | instid1(VALU_DEP_1)
	v_clz_i32_u32_e32 v47, v46
	v_min_u32_e32 v47, 32, v47
	s_delay_alu instid0(VALU_DEP_1) | instskip(SKIP_1) | instid1(VALU_DEP_2)
	v_subrev_nc_u32_e32 v56, 28, v47
	v_sub_nc_u32_e32 v47, 29, v47
	v_lshlrev_b32_e32 v45, v56, v45
	v_bfe_u32 v56, v37, 19, 4
	s_delay_alu instid0(VALU_DEP_2) | instskip(NEXT) | instid1(VALU_DEP_2)
	v_and_b32_e32 v45, 7, v45
	v_cmp_eq_u32_e32 vcc_lo, 0, v56
	v_cndmask_b32_e32 v47, v56, v47, vcc_lo
	s_delay_alu instid0(VALU_DEP_3) | instskip(SKIP_1) | instid1(VALU_DEP_3)
	v_cndmask_b32_e32 v45, v46, v45, vcc_lo
	v_and_b32_e32 v46, 0x80000000, v57
	v_lshl_add_u32 v47, v47, 23, 0x3b800000
	s_delay_alu instid0(VALU_DEP_3) | instskip(NEXT) | instid1(VALU_DEP_1)
	v_lshlrev_b32_e32 v45, 20, v45
	v_or3_b32 v46, v46, v47, v45
.LBB6_3465:                             ;   in Loop: Header=BB6_3361 Depth=3
	s_or_b32 exec_lo, exec_lo, s16
	s_delay_alu instid0(VALU_DEP_1) | instskip(NEXT) | instid1(VALU_DEP_1)
	v_add_f32_e32 v45, v44, v46
	v_and_b32_e32 v44, 0x7f800000, v45
	s_delay_alu instid0(VALU_DEP_1)
	v_cmp_ne_u32_e32 vcc_lo, 0x7f800000, v44
	v_mov_b32_e32 v44, 0x80
	s_and_saveexec_b32 s16, vcc_lo
	s_cbranch_execz .LBB6_3473
; %bb.3466:                             ;   in Loop: Header=BB6_3361 Depth=3
	v_mov_b32_e32 v44, 0
	s_mov_b32 s17, exec_lo
	v_cmpx_ne_u32_e32 0, v45
	s_cbranch_execz .LBB6_3472
; %bb.3467:                             ;   in Loop: Header=BB6_3361 Depth=3
	v_bfe_u32 v44, v45, 23, 8
	s_delay_alu instid0(VALU_DEP_1) | instskip(SKIP_1) | instid1(VALU_DEP_2)
	v_sub_nc_u32_e32 v47, 0x78, v44
	v_cmp_gt_u32_e32 vcc_lo, 0x79, v44
	v_dual_cndmask_b32 v47, 0, v47 :: v_dual_and_b32 v46, 0x7fffff, v45
	s_delay_alu instid0(VALU_DEP_1) | instskip(SKIP_2) | instid1(VALU_DEP_4)
	v_or_b32_e32 v56, 0x800000, v46
	v_cmp_eq_u32_e32 vcc_lo, 0, v44
	v_add_nc_u32_e32 v44, 0xffffff89, v44
	v_cndmask_b32_e64 v47, v47, 0x77, vcc_lo
	s_delay_alu instid0(VALU_DEP_2) | instskip(SKIP_1) | instid1(VALU_DEP_3)
	v_cndmask_b32_e64 v44, v44, 0xffffff8a, vcc_lo
	v_cndmask_b32_e32 v46, v56, v46, vcc_lo
	v_lshl_add_u32 v56, 0x100000, v47, -1
	v_lshlrev_b32_e64 v59, v47, 0x80000
	s_delay_alu instid0(VALU_DEP_3) | instskip(SKIP_1) | instid1(VALU_DEP_4)
	v_lshrrev_b32_e32 v57, v47, v46
	v_add_nc_u32_e32 v47, v47, v44
	v_and_b32_e32 v46, v56, v46
	s_delay_alu instid0(VALU_DEP_3) | instskip(NEXT) | instid1(VALU_DEP_2)
	v_bfe_u32 v58, v57, 20, 1
	v_cmp_eq_u32_e64 s13, v46, v59
	s_delay_alu instid0(VALU_DEP_2) | instskip(NEXT) | instid1(VALU_DEP_1)
	v_add_nc_u32_e32 v56, -1, v58
	v_cndmask_b32_e64 v46, 0, v56, s13
	v_lshrrev_b32_e32 v56, 23, v57
	s_mov_b32 s13, exec_lo
	s_delay_alu instid0(VALU_DEP_2) | instskip(NEXT) | instid1(VALU_DEP_2)
	v_add_nc_u32_e32 v46, v46, v57
	v_xor_b32_e32 v56, 1, v56
	s_delay_alu instid0(VALU_DEP_2) | instskip(NEXT) | instid1(VALU_DEP_1)
	v_and_b32_e32 v44, 0xfffff, v46
	v_add_nc_u32_e32 v46, v44, v57
                                        ; implicit-def: $vgpr44
	s_delay_alu instid0(VALU_DEP_3)
	v_cmpx_ne_u32_e64 v47, v56
	s_xor_b32 s13, exec_lo, s13
; %bb.3468:                             ;   in Loop: Header=BB6_3361 Depth=3
	s_delay_alu instid0(VALU_DEP_2) | instskip(SKIP_2) | instid1(VALU_DEP_2)
	v_cmp_lt_u32_e32 vcc_lo, 0xffffff, v46
	v_sub_nc_u32_e32 v44, v47, v56
	v_cndmask_b32_e64 v47, 0, 1, vcc_lo
	v_add_co_ci_u32_e32 v44, vcc_lo, 0, v44, vcc_lo
	s_delay_alu instid0(VALU_DEP_2)
	v_lshrrev_b32_e32 v46, v47, v46
; %bb.3469:                             ;   in Loop: Header=BB6_3361 Depth=3
	s_and_not1_saveexec_b32 s13, s13
; %bb.3470:                             ;   in Loop: Header=BB6_3361 Depth=3
	s_delay_alu instid0(VALU_DEP_1)
	v_bfe_u32 v44, v46, 23, 1
; %bb.3471:                             ;   in Loop: Header=BB6_3361 Depth=3
	s_or_b32 exec_lo, exec_lo, s13
	v_lshrrev_b32_e32 v46, 20, v46
	s_delay_alu instid0(VALU_DEP_2) | instskip(SKIP_2) | instid1(VALU_DEP_2)
	v_cmp_gt_i32_e32 vcc_lo, 16, v44
	v_min_i32_e32 v47, 15, v44
	v_lshrrev_b32_e32 v45, 24, v45
	v_dual_cndmask_b32 v46, 7, v46 :: v_dual_lshlrev_b32 v47, 3, v47
	s_delay_alu instid0(VALU_DEP_2) | instskip(NEXT) | instid1(VALU_DEP_2)
	v_and_b32_e32 v45, 0x80, v45
	v_or_b32_e32 v44, v44, v46
	v_and_b32_e32 v56, 7, v46
	s_delay_alu instid0(VALU_DEP_2) | instskip(SKIP_1) | instid1(VALU_DEP_1)
	v_cmp_ne_u32_e32 vcc_lo, 0, v44
	v_and_b32_e32 v47, 0xf8, v47
	v_or3_b32 v45, v47, v45, v56
	s_delay_alu instid0(VALU_DEP_1)
	v_cndmask_b32_e32 v44, 0, v45, vcc_lo
.LBB6_3472:                             ;   in Loop: Header=BB6_3361 Depth=3
	s_or_b32 exec_lo, exec_lo, s17
.LBB6_3473:                             ;   in Loop: Header=BB6_3361 Depth=3
	s_delay_alu instid0(SALU_CYCLE_1) | instskip(SKIP_3) | instid1(VALU_DEP_1)
	s_or_b32 exec_lo, exec_lo, s16
	v_lshrrev_b32_e32 v46, 24, v49
	s_mov_b32 s13, 0
	s_mov_b32 s17, exec_lo
                                        ; implicit-def: $sgpr16
	v_cmpx_lt_i16_e32 0x7f, v46
	s_xor_b32 s17, exec_lo, s17
	s_cbranch_execnz .LBB6_4439
; %bb.3474:                             ;   in Loop: Header=BB6_3361 Depth=3
	s_or_saveexec_b32 s17, s17
	v_mov_b32_e32 v45, s16
	s_xor_b32 exec_lo, exec_lo, s17
	s_cbranch_execnz .LBB6_4442
.LBB6_3475:                             ;   in Loop: Header=BB6_3361 Depth=3
	s_or_b32 exec_lo, exec_lo, s17
	s_and_saveexec_b32 s16, s13
	s_cbranch_execz .LBB6_3477
.LBB6_3476:                             ;   in Loop: Header=BB6_3361 Depth=3
	v_bfe_u32 v45, v49, 24, 3
	s_delay_alu instid0(VALU_DEP_1) | instskip(NEXT) | instid1(VALU_DEP_1)
	v_clz_i32_u32_e32 v47, v45
	v_min_u32_e32 v47, 32, v47
	s_delay_alu instid0(VALU_DEP_1) | instskip(SKIP_1) | instid1(VALU_DEP_2)
	v_subrev_nc_u32_e32 v56, 28, v47
	v_sub_nc_u32_e32 v47, 29, v47
	v_lshlrev_b32_e32 v46, v56, v46
	v_bfe_u32 v56, v49, 27, 4
	v_and_b32_e32 v49, 0x80000000, v49
	s_delay_alu instid0(VALU_DEP_2) | instskip(NEXT) | instid1(VALU_DEP_4)
	v_cmp_eq_u32_e32 vcc_lo, 0, v56
	v_dual_cndmask_b32 v47, v56, v47 :: v_dual_and_b32 v46, 7, v46
	s_delay_alu instid0(VALU_DEP_1) | instskip(NEXT) | instid1(VALU_DEP_2)
	v_cndmask_b32_e32 v45, v45, v46, vcc_lo
	v_lshl_add_u32 v46, v47, 23, 0x3b800000
	s_delay_alu instid0(VALU_DEP_2) | instskip(NEXT) | instid1(VALU_DEP_1)
	v_lshlrev_b32_e32 v45, 20, v45
	v_or3_b32 v45, v49, v46, v45
.LBB6_3477:                             ;   in Loop: Header=BB6_3361 Depth=3
	s_or_b32 exec_lo, exec_lo, s16
	v_lshrrev_b32_e32 v49, 24, v37
	s_mov_b32 s13, 0
	s_mov_b32 s17, exec_lo
                                        ; implicit-def: $sgpr16
	s_delay_alu instid0(VALU_DEP_1)
	v_cmpx_lt_i16_e32 0x7f, v49
	s_xor_b32 s17, exec_lo, s17
	s_cbranch_execnz .LBB6_4443
; %bb.3478:                             ;   in Loop: Header=BB6_3361 Depth=3
	s_or_saveexec_b32 s17, s17
	v_mov_b32_e32 v46, s16
	s_xor_b32 exec_lo, exec_lo, s17
	s_cbranch_execnz .LBB6_4446
.LBB6_3479:                             ;   in Loop: Header=BB6_3361 Depth=3
	s_or_b32 exec_lo, exec_lo, s17
	s_and_saveexec_b32 s16, s13
	s_cbranch_execz .LBB6_3481
.LBB6_3480:                             ;   in Loop: Header=BB6_3361 Depth=3
	v_bfe_u32 v46, v37, 24, 3
	s_delay_alu instid0(VALU_DEP_1) | instskip(NEXT) | instid1(VALU_DEP_1)
	v_clz_i32_u32_e32 v47, v46
	v_min_u32_e32 v47, 32, v47
	s_delay_alu instid0(VALU_DEP_1) | instskip(SKIP_1) | instid1(VALU_DEP_2)
	v_subrev_nc_u32_e32 v56, 28, v47
	v_sub_nc_u32_e32 v47, 29, v47
	v_lshlrev_b32_e32 v49, v56, v49
	v_bfe_u32 v56, v37, 27, 4
	v_and_b32_e32 v37, 0x80000000, v37
	s_delay_alu instid0(VALU_DEP_3) | instskip(NEXT) | instid1(VALU_DEP_3)
	v_and_b32_e32 v49, 7, v49
	v_cmp_eq_u32_e32 vcc_lo, 0, v56
	v_cndmask_b32_e32 v47, v56, v47, vcc_lo
	s_delay_alu instid0(VALU_DEP_3) | instskip(NEXT) | instid1(VALU_DEP_2)
	v_cndmask_b32_e32 v49, v46, v49, vcc_lo
	v_lshl_add_u32 v46, v47, 23, 0x3b800000
	s_delay_alu instid0(VALU_DEP_2) | instskip(NEXT) | instid1(VALU_DEP_1)
	v_lshlrev_b32_e32 v49, 20, v49
	v_or3_b32 v46, v37, v46, v49
.LBB6_3481:                             ;   in Loop: Header=BB6_3361 Depth=3
	s_or_b32 exec_lo, exec_lo, s16
	s_delay_alu instid0(VALU_DEP_1) | instskip(NEXT) | instid1(VALU_DEP_1)
	v_add_f32_e32 v49, v45, v46
	v_and_b32_e32 v37, 0x7f800000, v49
	s_delay_alu instid0(VALU_DEP_1)
	v_cmp_ne_u32_e32 vcc_lo, 0x7f800000, v37
	v_mov_b32_e32 v37, 0x8000
	s_and_saveexec_b32 s16, vcc_lo
	s_cbranch_execz .LBB6_3489
; %bb.3482:                             ;   in Loop: Header=BB6_3361 Depth=3
	v_mov_b32_e32 v37, 0
	s_mov_b32 s17, exec_lo
	v_cmpx_ne_u32_e32 0, v49
	s_cbranch_execz .LBB6_3488
; %bb.3483:                             ;   in Loop: Header=BB6_3361 Depth=3
	v_bfe_u32 v37, v49, 23, 8
	s_delay_alu instid0(VALU_DEP_1) | instskip(SKIP_1) | instid1(VALU_DEP_2)
	v_sub_nc_u32_e32 v46, 0x78, v37
	v_cmp_gt_u32_e32 vcc_lo, 0x79, v37
	v_dual_cndmask_b32 v46, 0, v46 :: v_dual_and_b32 v45, 0x7fffff, v49
	s_delay_alu instid0(VALU_DEP_1) | instskip(SKIP_2) | instid1(VALU_DEP_4)
	v_or_b32_e32 v47, 0x800000, v45
	v_cmp_eq_u32_e32 vcc_lo, 0, v37
	v_add_nc_u32_e32 v37, 0xffffff89, v37
	v_cndmask_b32_e64 v46, v46, 0x77, vcc_lo
	s_delay_alu instid0(VALU_DEP_4) | instskip(NEXT) | instid1(VALU_DEP_3)
	v_cndmask_b32_e32 v45, v47, v45, vcc_lo
	v_cndmask_b32_e64 v37, v37, 0xffffff8a, vcc_lo
	s_delay_alu instid0(VALU_DEP_3) | instskip(NEXT) | instid1(VALU_DEP_3)
	v_lshl_add_u32 v47, 0x100000, v46, -1
	v_lshrrev_b32_e32 v56, v46, v45
	v_lshlrev_b32_e64 v58, v46, 0x80000
	s_delay_alu instid0(VALU_DEP_4) | instskip(NEXT) | instid1(VALU_DEP_4)
	v_add_nc_u32_e32 v46, v46, v37
	v_and_b32_e32 v45, v47, v45
	s_delay_alu instid0(VALU_DEP_4) | instskip(NEXT) | instid1(VALU_DEP_2)
	v_bfe_u32 v57, v56, 20, 1
	v_cmp_eq_u32_e64 s13, v45, v58
	s_delay_alu instid0(VALU_DEP_2) | instskip(NEXT) | instid1(VALU_DEP_1)
	v_add_nc_u32_e32 v47, -1, v57
	v_cndmask_b32_e64 v45, 0, v47, s13
	v_lshrrev_b32_e32 v47, 23, v56
	s_mov_b32 s13, exec_lo
	s_delay_alu instid0(VALU_DEP_2) | instskip(NEXT) | instid1(VALU_DEP_2)
	v_add_nc_u32_e32 v45, v45, v56
	v_xor_b32_e32 v47, 1, v47
	s_delay_alu instid0(VALU_DEP_2) | instskip(NEXT) | instid1(VALU_DEP_1)
	v_and_b32_e32 v37, 0xfffff, v45
	v_add_nc_u32_e32 v45, v37, v56
                                        ; implicit-def: $vgpr37
	s_delay_alu instid0(VALU_DEP_3)
	v_cmpx_ne_u32_e64 v46, v47
	s_xor_b32 s13, exec_lo, s13
; %bb.3484:                             ;   in Loop: Header=BB6_3361 Depth=3
	s_delay_alu instid0(VALU_DEP_2) | instskip(SKIP_2) | instid1(VALU_DEP_2)
	v_cmp_lt_u32_e32 vcc_lo, 0xffffff, v45
	v_sub_nc_u32_e32 v37, v46, v47
	v_cndmask_b32_e64 v46, 0, 1, vcc_lo
	v_add_co_ci_u32_e32 v37, vcc_lo, 0, v37, vcc_lo
	s_delay_alu instid0(VALU_DEP_2)
	v_lshrrev_b32_e32 v45, v46, v45
; %bb.3485:                             ;   in Loop: Header=BB6_3361 Depth=3
	s_and_not1_saveexec_b32 s13, s13
; %bb.3486:                             ;   in Loop: Header=BB6_3361 Depth=3
	s_delay_alu instid0(VALU_DEP_1)
	v_bfe_u32 v37, v45, 23, 1
; %bb.3487:                             ;   in Loop: Header=BB6_3361 Depth=3
	s_or_b32 exec_lo, exec_lo, s13
	v_lshrrev_b32_e32 v45, 20, v45
	s_delay_alu instid0(VALU_DEP_2) | instskip(SKIP_2) | instid1(VALU_DEP_2)
	v_cmp_gt_i32_e32 vcc_lo, 16, v37
	v_min_i32_e32 v46, 15, v37
	v_lshrrev_b32_e32 v49, 24, v49
	v_dual_cndmask_b32 v45, 7, v45 :: v_dual_lshlrev_b32 v46, 3, v46
	s_delay_alu instid0(VALU_DEP_2) | instskip(NEXT) | instid1(VALU_DEP_2)
	v_and_b32_e32 v49, 0x80, v49
	v_or_b32_e32 v37, v37, v45
	v_and_b32_e32 v47, 7, v45
	s_delay_alu instid0(VALU_DEP_2) | instskip(SKIP_1) | instid1(VALU_DEP_1)
	v_cmp_ne_u32_e32 vcc_lo, 0, v37
	v_and_b32_e32 v46, 0xf8, v46
	v_or3_b32 v49, v49, v46, v47
	s_delay_alu instid0(VALU_DEP_1) | instskip(NEXT) | instid1(VALU_DEP_1)
	v_lshlrev_b32_e32 v49, 8, v49
	v_cndmask_b32_e32 v37, 0, v49, vcc_lo
.LBB6_3488:                             ;   in Loop: Header=BB6_3361 Depth=3
	s_or_b32 exec_lo, exec_lo, s17
.LBB6_3489:                             ;   in Loop: Header=BB6_3361 Depth=3
	s_delay_alu instid0(SALU_CYCLE_1) | instskip(SKIP_3) | instid1(VALU_DEP_1)
	s_or_b32 exec_lo, exec_lo, s16
	v_and_b32_e32 v45, 0xff, v50
	s_mov_b32 s13, 0
	s_mov_b32 s17, exec_lo
                                        ; implicit-def: $sgpr16
	v_cmpx_lt_i16_e32 0x7f, v45
	s_xor_b32 s17, exec_lo, s17
	s_cbranch_execnz .LBB6_4447
; %bb.3490:                             ;   in Loop: Header=BB6_3361 Depth=3
	s_or_saveexec_b32 s17, s17
	v_mov_b32_e32 v49, s16
	s_xor_b32 exec_lo, exec_lo, s17
	s_cbranch_execnz .LBB6_4450
.LBB6_3491:                             ;   in Loop: Header=BB6_3361 Depth=3
	s_or_b32 exec_lo, exec_lo, s17
	s_and_saveexec_b32 s16, s13
	s_cbranch_execz .LBB6_3493
.LBB6_3492:                             ;   in Loop: Header=BB6_3361 Depth=3
	v_and_b32_e32 v49, 7, v50
	v_bfe_u32 v47, v50, 3, 4
	v_lshlrev_b32_e32 v56, 24, v50
	s_delay_alu instid0(VALU_DEP_3) | instskip(NEXT) | instid1(VALU_DEP_3)
	v_clz_i32_u32_e32 v45, v49
	v_cmp_eq_u32_e32 vcc_lo, 0, v47
	s_delay_alu instid0(VALU_DEP_2) | instskip(NEXT) | instid1(VALU_DEP_1)
	v_min_u32_e32 v45, 32, v45
	v_subrev_nc_u32_e32 v46, 28, v45
	v_sub_nc_u32_e32 v45, 29, v45
	s_delay_alu instid0(VALU_DEP_1) | instskip(NEXT) | instid1(VALU_DEP_1)
	v_dual_cndmask_b32 v45, v47, v45 :: v_dual_lshlrev_b32 v46, v46, v50
	v_and_b32_e32 v46, 7, v46
	s_delay_alu instid0(VALU_DEP_2) | instskip(NEXT) | instid1(VALU_DEP_2)
	v_lshl_add_u32 v45, v45, 23, 0x3b800000
	v_dual_cndmask_b32 v49, v49, v46 :: v_dual_and_b32 v46, 0x80000000, v56
	s_delay_alu instid0(VALU_DEP_1) | instskip(NEXT) | instid1(VALU_DEP_1)
	v_lshlrev_b32_e32 v49, 20, v49
	v_or3_b32 v49, v46, v45, v49
.LBB6_3493:                             ;   in Loop: Header=BB6_3361 Depth=3
	s_or_b32 exec_lo, exec_lo, s16
	v_and_b32_e32 v46, 0xff, v38
	s_mov_b32 s13, 0
	s_mov_b32 s17, exec_lo
                                        ; implicit-def: $sgpr16
	s_delay_alu instid0(VALU_DEP_1)
	v_cmpx_lt_i16_e32 0x7f, v46
	s_xor_b32 s17, exec_lo, s17
	s_cbranch_execnz .LBB6_4451
; %bb.3494:                             ;   in Loop: Header=BB6_3361 Depth=3
	s_or_saveexec_b32 s17, s17
	v_mov_b32_e32 v45, s16
	s_xor_b32 exec_lo, exec_lo, s17
	s_cbranch_execnz .LBB6_4454
.LBB6_3495:                             ;   in Loop: Header=BB6_3361 Depth=3
	s_or_b32 exec_lo, exec_lo, s17
	s_and_saveexec_b32 s16, s13
	s_cbranch_execz .LBB6_3497
.LBB6_3496:                             ;   in Loop: Header=BB6_3361 Depth=3
	v_and_b32_e32 v45, 7, v38
	v_bfe_u32 v56, v38, 3, 4
	v_lshlrev_b32_e32 v57, 24, v38
	s_delay_alu instid0(VALU_DEP_3) | instskip(NEXT) | instid1(VALU_DEP_3)
	v_clz_i32_u32_e32 v46, v45
	v_cmp_eq_u32_e32 vcc_lo, 0, v56
	s_delay_alu instid0(VALU_DEP_2) | instskip(NEXT) | instid1(VALU_DEP_1)
	v_min_u32_e32 v46, 32, v46
	v_subrev_nc_u32_e32 v47, 28, v46
	v_sub_nc_u32_e32 v46, 29, v46
	s_delay_alu instid0(VALU_DEP_2) | instskip(NEXT) | instid1(VALU_DEP_1)
	v_lshlrev_b32_e32 v47, v47, v38
	v_dual_cndmask_b32 v46, v56, v46 :: v_dual_and_b32 v47, 7, v47
	s_delay_alu instid0(VALU_DEP_1) | instskip(NEXT) | instid1(VALU_DEP_2)
	v_lshl_add_u32 v46, v46, 23, 0x3b800000
	v_cndmask_b32_e32 v45, v45, v47, vcc_lo
	v_and_b32_e32 v47, 0x80000000, v57
	s_delay_alu instid0(VALU_DEP_2) | instskip(NEXT) | instid1(VALU_DEP_1)
	v_lshlrev_b32_e32 v45, 20, v45
	v_or3_b32 v45, v47, v46, v45
.LBB6_3497:                             ;   in Loop: Header=BB6_3361 Depth=3
	s_or_b32 exec_lo, exec_lo, s16
	s_delay_alu instid0(VALU_DEP_1) | instskip(NEXT) | instid1(VALU_DEP_1)
	v_add_f32_e32 v45, v49, v45
	v_and_b32_e32 v49, 0x7f800000, v45
	s_delay_alu instid0(VALU_DEP_1)
	v_cmp_ne_u32_e32 vcc_lo, 0x7f800000, v49
	v_mov_b32_e32 v49, 0x80
	s_and_saveexec_b32 s16, vcc_lo
	s_cbranch_execz .LBB6_3505
; %bb.3498:                             ;   in Loop: Header=BB6_3361 Depth=3
	v_mov_b32_e32 v49, 0
	s_mov_b32 s17, exec_lo
	v_cmpx_ne_u32_e32 0, v45
	s_cbranch_execz .LBB6_3504
; %bb.3499:                             ;   in Loop: Header=BB6_3361 Depth=3
	v_bfe_u32 v49, v45, 23, 8
	s_delay_alu instid0(VALU_DEP_1) | instskip(SKIP_1) | instid1(VALU_DEP_2)
	v_sub_nc_u32_e32 v47, 0x78, v49
	v_cmp_gt_u32_e32 vcc_lo, 0x79, v49
	v_dual_cndmask_b32 v47, 0, v47 :: v_dual_and_b32 v46, 0x7fffff, v45
	s_delay_alu instid0(VALU_DEP_1) | instskip(SKIP_2) | instid1(VALU_DEP_4)
	v_or_b32_e32 v56, 0x800000, v46
	v_cmp_eq_u32_e32 vcc_lo, 0, v49
	v_add_nc_u32_e32 v49, 0xffffff89, v49
	v_cndmask_b32_e64 v47, v47, 0x77, vcc_lo
	s_delay_alu instid0(VALU_DEP_4) | instskip(NEXT) | instid1(VALU_DEP_3)
	v_cndmask_b32_e32 v46, v56, v46, vcc_lo
	v_cndmask_b32_e64 v49, v49, 0xffffff8a, vcc_lo
	s_delay_alu instid0(VALU_DEP_3) | instskip(NEXT) | instid1(VALU_DEP_3)
	v_lshl_add_u32 v56, 0x100000, v47, -1
	v_lshrrev_b32_e32 v57, v47, v46
	v_lshlrev_b32_e64 v59, v47, 0x80000
	s_delay_alu instid0(VALU_DEP_4) | instskip(NEXT) | instid1(VALU_DEP_4)
	v_add_nc_u32_e32 v47, v47, v49
	v_and_b32_e32 v46, v56, v46
	s_delay_alu instid0(VALU_DEP_4) | instskip(NEXT) | instid1(VALU_DEP_2)
	v_bfe_u32 v58, v57, 20, 1
	v_cmp_eq_u32_e64 s13, v46, v59
	s_delay_alu instid0(VALU_DEP_2) | instskip(NEXT) | instid1(VALU_DEP_1)
	v_add_nc_u32_e32 v56, -1, v58
	v_cndmask_b32_e64 v46, 0, v56, s13
	v_lshrrev_b32_e32 v56, 23, v57
	s_mov_b32 s13, exec_lo
	s_delay_alu instid0(VALU_DEP_2) | instskip(NEXT) | instid1(VALU_DEP_2)
	v_add_nc_u32_e32 v46, v46, v57
	v_xor_b32_e32 v56, 1, v56
	s_delay_alu instid0(VALU_DEP_2) | instskip(NEXT) | instid1(VALU_DEP_1)
	v_and_b32_e32 v49, 0xfffff, v46
	v_add_nc_u32_e32 v46, v49, v57
                                        ; implicit-def: $vgpr49
	s_delay_alu instid0(VALU_DEP_3)
	v_cmpx_ne_u32_e64 v47, v56
	s_xor_b32 s13, exec_lo, s13
; %bb.3500:                             ;   in Loop: Header=BB6_3361 Depth=3
	s_delay_alu instid0(VALU_DEP_2) | instskip(SKIP_2) | instid1(VALU_DEP_2)
	v_cmp_lt_u32_e32 vcc_lo, 0xffffff, v46
	v_sub_nc_u32_e32 v49, v47, v56
	v_cndmask_b32_e64 v47, 0, 1, vcc_lo
	v_add_co_ci_u32_e32 v49, vcc_lo, 0, v49, vcc_lo
	s_delay_alu instid0(VALU_DEP_2)
	v_lshrrev_b32_e32 v46, v47, v46
; %bb.3501:                             ;   in Loop: Header=BB6_3361 Depth=3
	s_and_not1_saveexec_b32 s13, s13
; %bb.3502:                             ;   in Loop: Header=BB6_3361 Depth=3
	s_delay_alu instid0(VALU_DEP_1)
	v_bfe_u32 v49, v46, 23, 1
; %bb.3503:                             ;   in Loop: Header=BB6_3361 Depth=3
	s_or_b32 exec_lo, exec_lo, s13
	v_lshrrev_b32_e32 v46, 20, v46
	s_delay_alu instid0(VALU_DEP_2) | instskip(SKIP_2) | instid1(VALU_DEP_2)
	v_cmp_gt_i32_e32 vcc_lo, 16, v49
	v_lshrrev_b32_e32 v45, 24, v45
	v_min_i32_e32 v47, 15, v49
	v_dual_cndmask_b32 v46, 7, v46 :: v_dual_and_b32 v45, 0x80, v45
	s_delay_alu instid0(VALU_DEP_2) | instskip(NEXT) | instid1(VALU_DEP_2)
	v_lshlrev_b32_e32 v47, 3, v47
	v_or_b32_e32 v49, v49, v46
	s_delay_alu instid0(VALU_DEP_1) | instskip(SKIP_1) | instid1(VALU_DEP_1)
	v_cmp_ne_u32_e32 vcc_lo, 0, v49
	v_and_b32_e32 v56, 7, v46
	v_or3_b32 v45, v47, v45, v56
	s_delay_alu instid0(VALU_DEP_1)
	v_cndmask_b32_e32 v49, 0, v45, vcc_lo
.LBB6_3504:                             ;   in Loop: Header=BB6_3361 Depth=3
	s_or_b32 exec_lo, exec_lo, s17
.LBB6_3505:                             ;   in Loop: Header=BB6_3361 Depth=3
	s_delay_alu instid0(SALU_CYCLE_1) | instskip(SKIP_3) | instid1(VALU_DEP_1)
	s_or_b32 exec_lo, exec_lo, s16
	v_lshrrev_b16 v46, 8, v50
	s_mov_b32 s13, 0
	s_mov_b32 s17, exec_lo
                                        ; implicit-def: $sgpr16
	v_cmpx_lt_i16_e32 0x7f, v46
	s_xor_b32 s17, exec_lo, s17
	s_cbranch_execnz .LBB6_4455
; %bb.3506:                             ;   in Loop: Header=BB6_3361 Depth=3
	s_or_saveexec_b32 s17, s17
	v_mov_b32_e32 v45, s16
	s_xor_b32 exec_lo, exec_lo, s17
	s_cbranch_execnz .LBB6_4458
.LBB6_3507:                             ;   in Loop: Header=BB6_3361 Depth=3
	s_or_b32 exec_lo, exec_lo, s17
	s_and_saveexec_b32 s16, s13
	s_cbranch_execz .LBB6_3509
.LBB6_3508:                             ;   in Loop: Header=BB6_3361 Depth=3
	v_and_b32_e32 v45, 0xffff, v46
	s_delay_alu instid0(VALU_DEP_1) | instskip(NEXT) | instid1(VALU_DEP_1)
	v_and_b32_e32 v47, 7, v45
	v_clz_i32_u32_e32 v56, v47
	s_delay_alu instid0(VALU_DEP_1) | instskip(NEXT) | instid1(VALU_DEP_1)
	v_min_u32_e32 v56, 32, v56
	v_subrev_nc_u32_e32 v57, 28, v56
	v_sub_nc_u32_e32 v56, 29, v56
	s_delay_alu instid0(VALU_DEP_2) | instskip(SKIP_1) | instid1(VALU_DEP_2)
	v_lshlrev_b32_e32 v57, v57, v45
	v_bfe_u32 v45, v45, 3, 4
	v_and_b32_e32 v57, 7, v57
	s_delay_alu instid0(VALU_DEP_2) | instskip(SKIP_1) | instid1(VALU_DEP_1)
	v_cmp_eq_u32_e32 vcc_lo, 0, v45
	v_dual_cndmask_b32 v45, v45, v56 :: v_dual_lshlrev_b32 v46, 24, v46
	v_dual_cndmask_b32 v47, v47, v57 :: v_dual_and_b32 v46, 0x80000000, v46
	s_delay_alu instid0(VALU_DEP_2) | instskip(NEXT) | instid1(VALU_DEP_2)
	v_lshl_add_u32 v45, v45, 23, 0x3b800000
	v_lshlrev_b32_e32 v47, 20, v47
	s_delay_alu instid0(VALU_DEP_1)
	v_or3_b32 v45, v46, v45, v47
.LBB6_3509:                             ;   in Loop: Header=BB6_3361 Depth=3
	s_or_b32 exec_lo, exec_lo, s16
	v_lshrrev_b16 v46, 8, v38
	s_mov_b32 s13, 0
	s_mov_b32 s17, exec_lo
                                        ; implicit-def: $sgpr16
	s_delay_alu instid0(VALU_DEP_1)
	v_cmpx_lt_i16_e32 0x7f, v46
	s_xor_b32 s17, exec_lo, s17
	s_cbranch_execnz .LBB6_4459
; %bb.3510:                             ;   in Loop: Header=BB6_3361 Depth=3
	s_or_saveexec_b32 s17, s17
	v_mov_b32_e32 v47, s16
	s_xor_b32 exec_lo, exec_lo, s17
	s_cbranch_execnz .LBB6_4462
.LBB6_3511:                             ;   in Loop: Header=BB6_3361 Depth=3
	s_or_b32 exec_lo, exec_lo, s17
	s_and_saveexec_b32 s16, s13
	s_cbranch_execz .LBB6_3513
.LBB6_3512:                             ;   in Loop: Header=BB6_3361 Depth=3
	v_and_b32_e32 v47, 0xffff, v46
	v_lshlrev_b32_e32 v46, 24, v46
	s_delay_alu instid0(VALU_DEP_2) | instskip(NEXT) | instid1(VALU_DEP_2)
	v_and_b32_e32 v56, 7, v47
	v_and_b32_e32 v46, 0x80000000, v46
	s_delay_alu instid0(VALU_DEP_2) | instskip(NEXT) | instid1(VALU_DEP_1)
	v_clz_i32_u32_e32 v57, v56
	v_min_u32_e32 v57, 32, v57
	s_delay_alu instid0(VALU_DEP_1) | instskip(SKIP_1) | instid1(VALU_DEP_2)
	v_subrev_nc_u32_e32 v58, 28, v57
	v_sub_nc_u32_e32 v57, 29, v57
	v_lshlrev_b32_e32 v58, v58, v47
	v_bfe_u32 v47, v47, 3, 4
	s_delay_alu instid0(VALU_DEP_2) | instskip(NEXT) | instid1(VALU_DEP_2)
	v_and_b32_e32 v58, 7, v58
	v_cmp_eq_u32_e32 vcc_lo, 0, v47
	s_delay_alu instid0(VALU_DEP_2) | instskip(NEXT) | instid1(VALU_DEP_1)
	v_dual_cndmask_b32 v47, v47, v57 :: v_dual_cndmask_b32 v56, v56, v58
	v_lshl_add_u32 v47, v47, 23, 0x3b800000
	s_delay_alu instid0(VALU_DEP_2) | instskip(NEXT) | instid1(VALU_DEP_1)
	v_lshlrev_b32_e32 v56, 20, v56
	v_or3_b32 v47, v46, v47, v56
.LBB6_3513:                             ;   in Loop: Header=BB6_3361 Depth=3
	s_or_b32 exec_lo, exec_lo, s16
	s_delay_alu instid0(VALU_DEP_1) | instskip(NEXT) | instid1(VALU_DEP_1)
	v_add_f32_e32 v46, v45, v47
	v_and_b32_e32 v45, 0x7f800000, v46
	s_delay_alu instid0(VALU_DEP_1)
	v_cmp_ne_u32_e32 vcc_lo, 0x7f800000, v45
	v_mov_b32_e32 v45, 0x80
	s_and_saveexec_b32 s16, vcc_lo
	s_cbranch_execz .LBB6_3521
; %bb.3514:                             ;   in Loop: Header=BB6_3361 Depth=3
	v_mov_b32_e32 v45, 0
	s_mov_b32 s17, exec_lo
	v_cmpx_ne_u32_e32 0, v46
	s_cbranch_execz .LBB6_3520
; %bb.3515:                             ;   in Loop: Header=BB6_3361 Depth=3
	v_bfe_u32 v45, v46, 23, 8
	s_delay_alu instid0(VALU_DEP_1) | instskip(SKIP_1) | instid1(VALU_DEP_2)
	v_sub_nc_u32_e32 v56, 0x78, v45
	v_cmp_gt_u32_e32 vcc_lo, 0x79, v45
	v_dual_cndmask_b32 v56, 0, v56 :: v_dual_and_b32 v47, 0x7fffff, v46
	s_delay_alu instid0(VALU_DEP_1) | instskip(SKIP_2) | instid1(VALU_DEP_4)
	v_or_b32_e32 v57, 0x800000, v47
	v_cmp_eq_u32_e32 vcc_lo, 0, v45
	v_add_nc_u32_e32 v45, 0xffffff89, v45
	v_cndmask_b32_e64 v56, v56, 0x77, vcc_lo
	s_delay_alu instid0(VALU_DEP_2) | instskip(SKIP_1) | instid1(VALU_DEP_3)
	v_cndmask_b32_e64 v45, v45, 0xffffff8a, vcc_lo
	v_cndmask_b32_e32 v47, v57, v47, vcc_lo
	v_lshl_add_u32 v57, 0x100000, v56, -1
	v_lshlrev_b32_e64 v60, v56, 0x80000
	s_delay_alu instid0(VALU_DEP_3) | instskip(SKIP_1) | instid1(VALU_DEP_4)
	v_lshrrev_b32_e32 v58, v56, v47
	v_add_nc_u32_e32 v56, v56, v45
	v_and_b32_e32 v47, v57, v47
	s_delay_alu instid0(VALU_DEP_3) | instskip(NEXT) | instid1(VALU_DEP_2)
	v_bfe_u32 v59, v58, 20, 1
	v_cmp_eq_u32_e64 s13, v47, v60
	s_delay_alu instid0(VALU_DEP_2) | instskip(NEXT) | instid1(VALU_DEP_1)
	v_add_nc_u32_e32 v57, -1, v59
	v_cndmask_b32_e64 v47, 0, v57, s13
	v_lshrrev_b32_e32 v57, 23, v58
	s_mov_b32 s13, exec_lo
	s_delay_alu instid0(VALU_DEP_2) | instskip(NEXT) | instid1(VALU_DEP_2)
	v_add_nc_u32_e32 v47, v47, v58
	v_xor_b32_e32 v57, 1, v57
	s_delay_alu instid0(VALU_DEP_2) | instskip(NEXT) | instid1(VALU_DEP_1)
	v_and_b32_e32 v45, 0xfffff, v47
	v_add_nc_u32_e32 v47, v45, v58
                                        ; implicit-def: $vgpr45
	s_delay_alu instid0(VALU_DEP_3)
	v_cmpx_ne_u32_e64 v56, v57
	s_xor_b32 s13, exec_lo, s13
; %bb.3516:                             ;   in Loop: Header=BB6_3361 Depth=3
	s_delay_alu instid0(VALU_DEP_2) | instskip(SKIP_2) | instid1(VALU_DEP_2)
	v_cmp_lt_u32_e32 vcc_lo, 0xffffff, v47
	v_sub_nc_u32_e32 v45, v56, v57
	v_cndmask_b32_e64 v56, 0, 1, vcc_lo
	v_add_co_ci_u32_e32 v45, vcc_lo, 0, v45, vcc_lo
	s_delay_alu instid0(VALU_DEP_2)
	v_lshrrev_b32_e32 v47, v56, v47
; %bb.3517:                             ;   in Loop: Header=BB6_3361 Depth=3
	s_and_not1_saveexec_b32 s13, s13
; %bb.3518:                             ;   in Loop: Header=BB6_3361 Depth=3
	s_delay_alu instid0(VALU_DEP_1)
	v_bfe_u32 v45, v47, 23, 1
; %bb.3519:                             ;   in Loop: Header=BB6_3361 Depth=3
	s_or_b32 exec_lo, exec_lo, s13
	v_lshrrev_b32_e32 v47, 20, v47
	s_delay_alu instid0(VALU_DEP_2) | instskip(SKIP_2) | instid1(VALU_DEP_2)
	v_cmp_gt_i32_e32 vcc_lo, 16, v45
	v_lshrrev_b32_e32 v46, 24, v46
	v_min_i32_e32 v56, 15, v45
	v_dual_cndmask_b32 v47, 7, v47 :: v_dual_and_b32 v46, 0x80, v46
	s_delay_alu instid0(VALU_DEP_1) | instskip(SKIP_1) | instid1(VALU_DEP_2)
	v_or_b32_e32 v45, v45, v47
	v_and_b32_e32 v57, 7, v47
	v_cmp_ne_u32_e32 vcc_lo, 0, v45
	v_lshlrev_b32_e32 v56, 3, v56
	s_delay_alu instid0(VALU_DEP_1) | instskip(NEXT) | instid1(VALU_DEP_1)
	v_or3_b32 v46, v56, v46, v57
	v_cndmask_b32_e32 v45, 0, v46, vcc_lo
.LBB6_3520:                             ;   in Loop: Header=BB6_3361 Depth=3
	s_or_b32 exec_lo, exec_lo, s17
.LBB6_3521:                             ;   in Loop: Header=BB6_3361 Depth=3
	s_delay_alu instid0(SALU_CYCLE_1) | instskip(SKIP_3) | instid1(VALU_DEP_1)
	s_or_b32 exec_lo, exec_lo, s16
	v_lshrrev_b32_e32 v47, 16, v50
	s_mov_b32 s13, 0
	s_mov_b32 s17, exec_lo
                                        ; implicit-def: $sgpr16
	v_and_b32_e32 v56, 0xff, v47
	s_delay_alu instid0(VALU_DEP_1)
	v_cmpx_lt_i16_e32 0x7f, v56
	s_xor_b32 s17, exec_lo, s17
	s_cbranch_execnz .LBB6_4463
; %bb.3522:                             ;   in Loop: Header=BB6_3361 Depth=3
	s_or_saveexec_b32 s17, s17
	v_mov_b32_e32 v46, s16
	s_xor_b32 exec_lo, exec_lo, s17
	s_cbranch_execnz .LBB6_4466
.LBB6_3523:                             ;   in Loop: Header=BB6_3361 Depth=3
	s_or_b32 exec_lo, exec_lo, s17
	s_and_saveexec_b32 s16, s13
	s_cbranch_execz .LBB6_3525
.LBB6_3524:                             ;   in Loop: Header=BB6_3361 Depth=3
	v_bfe_u32 v46, v50, 16, 3
	v_lshlrev_b32_e32 v58, 8, v50
	s_delay_alu instid0(VALU_DEP_2) | instskip(NEXT) | instid1(VALU_DEP_1)
	v_clz_i32_u32_e32 v56, v46
	v_min_u32_e32 v56, 32, v56
	s_delay_alu instid0(VALU_DEP_1) | instskip(SKIP_1) | instid1(VALU_DEP_2)
	v_subrev_nc_u32_e32 v57, 28, v56
	v_sub_nc_u32_e32 v56, 29, v56
	v_lshlrev_b32_e32 v47, v57, v47
	v_bfe_u32 v57, v50, 19, 4
	s_delay_alu instid0(VALU_DEP_1) | instskip(NEXT) | instid1(VALU_DEP_3)
	v_cmp_eq_u32_e32 vcc_lo, 0, v57
	v_dual_cndmask_b32 v56, v57, v56 :: v_dual_and_b32 v47, 7, v47
	s_delay_alu instid0(VALU_DEP_1) | instskip(NEXT) | instid1(VALU_DEP_2)
	v_dual_cndmask_b32 v46, v46, v47 :: v_dual_and_b32 v47, 0x80000000, v58
	v_lshl_add_u32 v56, v56, 23, 0x3b800000
	s_delay_alu instid0(VALU_DEP_2) | instskip(NEXT) | instid1(VALU_DEP_1)
	v_lshlrev_b32_e32 v46, 20, v46
	v_or3_b32 v46, v47, v56, v46
.LBB6_3525:                             ;   in Loop: Header=BB6_3361 Depth=3
	s_or_b32 exec_lo, exec_lo, s16
	v_lshrrev_b32_e32 v47, 16, v38
	s_mov_b32 s13, 0
	s_mov_b32 s17, exec_lo
                                        ; implicit-def: $sgpr16
	s_delay_alu instid0(VALU_DEP_1) | instskip(NEXT) | instid1(VALU_DEP_1)
	v_and_b32_e32 v57, 0xff, v47
	v_cmpx_lt_i16_e32 0x7f, v57
	s_xor_b32 s17, exec_lo, s17
	s_cbranch_execnz .LBB6_4467
; %bb.3526:                             ;   in Loop: Header=BB6_3361 Depth=3
	s_or_saveexec_b32 s17, s17
	v_mov_b32_e32 v56, s16
	s_xor_b32 exec_lo, exec_lo, s17
	s_cbranch_execnz .LBB6_4470
.LBB6_3527:                             ;   in Loop: Header=BB6_3361 Depth=3
	s_or_b32 exec_lo, exec_lo, s17
	s_and_saveexec_b32 s16, s13
	s_cbranch_execz .LBB6_3529
.LBB6_3528:                             ;   in Loop: Header=BB6_3361 Depth=3
	v_bfe_u32 v56, v38, 16, 3
	v_lshlrev_b32_e32 v59, 8, v38
	s_delay_alu instid0(VALU_DEP_2) | instskip(NEXT) | instid1(VALU_DEP_1)
	v_clz_i32_u32_e32 v57, v56
	v_min_u32_e32 v57, 32, v57
	s_delay_alu instid0(VALU_DEP_1) | instskip(SKIP_1) | instid1(VALU_DEP_2)
	v_subrev_nc_u32_e32 v58, 28, v57
	v_sub_nc_u32_e32 v57, 29, v57
	v_lshlrev_b32_e32 v47, v58, v47
	v_bfe_u32 v58, v38, 19, 4
	s_delay_alu instid0(VALU_DEP_2) | instskip(NEXT) | instid1(VALU_DEP_2)
	v_and_b32_e32 v47, 7, v47
	v_cmp_eq_u32_e32 vcc_lo, 0, v58
	v_cndmask_b32_e32 v57, v58, v57, vcc_lo
	s_delay_alu instid0(VALU_DEP_3) | instskip(SKIP_1) | instid1(VALU_DEP_3)
	v_cndmask_b32_e32 v47, v56, v47, vcc_lo
	v_and_b32_e32 v56, 0x80000000, v59
	v_lshl_add_u32 v57, v57, 23, 0x3b800000
	s_delay_alu instid0(VALU_DEP_3) | instskip(NEXT) | instid1(VALU_DEP_1)
	v_lshlrev_b32_e32 v47, 20, v47
	v_or3_b32 v56, v56, v57, v47
.LBB6_3529:                             ;   in Loop: Header=BB6_3361 Depth=3
	s_or_b32 exec_lo, exec_lo, s16
	s_delay_alu instid0(VALU_DEP_1) | instskip(NEXT) | instid1(VALU_DEP_1)
	v_add_f32_e32 v47, v46, v56
	v_and_b32_e32 v46, 0x7f800000, v47
	s_delay_alu instid0(VALU_DEP_1)
	v_cmp_ne_u32_e32 vcc_lo, 0x7f800000, v46
	v_mov_b32_e32 v46, 0x80
	s_and_saveexec_b32 s16, vcc_lo
	s_cbranch_execz .LBB6_3537
; %bb.3530:                             ;   in Loop: Header=BB6_3361 Depth=3
	v_mov_b32_e32 v46, 0
	s_mov_b32 s17, exec_lo
	v_cmpx_ne_u32_e32 0, v47
	s_cbranch_execz .LBB6_3536
; %bb.3531:                             ;   in Loop: Header=BB6_3361 Depth=3
	v_bfe_u32 v46, v47, 23, 8
	s_delay_alu instid0(VALU_DEP_1) | instskip(SKIP_1) | instid1(VALU_DEP_2)
	v_sub_nc_u32_e32 v57, 0x78, v46
	v_cmp_gt_u32_e32 vcc_lo, 0x79, v46
	v_dual_cndmask_b32 v57, 0, v57 :: v_dual_and_b32 v56, 0x7fffff, v47
	s_delay_alu instid0(VALU_DEP_1) | instskip(SKIP_2) | instid1(VALU_DEP_4)
	v_or_b32_e32 v58, 0x800000, v56
	v_cmp_eq_u32_e32 vcc_lo, 0, v46
	v_add_nc_u32_e32 v46, 0xffffff89, v46
	v_cndmask_b32_e64 v57, v57, 0x77, vcc_lo
	s_delay_alu instid0(VALU_DEP_2) | instskip(SKIP_1) | instid1(VALU_DEP_3)
	v_cndmask_b32_e64 v46, v46, 0xffffff8a, vcc_lo
	v_cndmask_b32_e32 v56, v58, v56, vcc_lo
	v_lshl_add_u32 v58, 0x100000, v57, -1
	v_lshlrev_b32_e64 v61, v57, 0x80000
	s_delay_alu instid0(VALU_DEP_3) | instskip(SKIP_1) | instid1(VALU_DEP_4)
	v_lshrrev_b32_e32 v59, v57, v56
	v_add_nc_u32_e32 v57, v57, v46
	v_and_b32_e32 v56, v58, v56
	s_delay_alu instid0(VALU_DEP_3) | instskip(NEXT) | instid1(VALU_DEP_2)
	v_bfe_u32 v60, v59, 20, 1
	v_cmp_eq_u32_e64 s13, v56, v61
	s_delay_alu instid0(VALU_DEP_2) | instskip(NEXT) | instid1(VALU_DEP_1)
	v_add_nc_u32_e32 v58, -1, v60
	v_cndmask_b32_e64 v56, 0, v58, s13
	v_lshrrev_b32_e32 v58, 23, v59
	s_mov_b32 s13, exec_lo
	s_delay_alu instid0(VALU_DEP_2) | instskip(NEXT) | instid1(VALU_DEP_2)
	v_add_nc_u32_e32 v56, v56, v59
	v_xor_b32_e32 v58, 1, v58
	s_delay_alu instid0(VALU_DEP_2) | instskip(NEXT) | instid1(VALU_DEP_1)
	v_and_b32_e32 v46, 0xfffff, v56
	v_add_nc_u32_e32 v56, v46, v59
                                        ; implicit-def: $vgpr46
	s_delay_alu instid0(VALU_DEP_3)
	v_cmpx_ne_u32_e64 v57, v58
	s_xor_b32 s13, exec_lo, s13
; %bb.3532:                             ;   in Loop: Header=BB6_3361 Depth=3
	s_delay_alu instid0(VALU_DEP_2) | instskip(SKIP_2) | instid1(VALU_DEP_2)
	v_cmp_lt_u32_e32 vcc_lo, 0xffffff, v56
	v_sub_nc_u32_e32 v46, v57, v58
	v_cndmask_b32_e64 v57, 0, 1, vcc_lo
	v_add_co_ci_u32_e32 v46, vcc_lo, 0, v46, vcc_lo
	s_delay_alu instid0(VALU_DEP_2)
	v_lshrrev_b32_e32 v56, v57, v56
; %bb.3533:                             ;   in Loop: Header=BB6_3361 Depth=3
	s_and_not1_saveexec_b32 s13, s13
; %bb.3534:                             ;   in Loop: Header=BB6_3361 Depth=3
	s_delay_alu instid0(VALU_DEP_1)
	v_bfe_u32 v46, v56, 23, 1
; %bb.3535:                             ;   in Loop: Header=BB6_3361 Depth=3
	s_or_b32 exec_lo, exec_lo, s13
	v_lshrrev_b32_e32 v56, 20, v56
	s_delay_alu instid0(VALU_DEP_2) | instskip(SKIP_2) | instid1(VALU_DEP_2)
	v_cmp_gt_i32_e32 vcc_lo, 16, v46
	v_lshrrev_b32_e32 v47, 24, v47
	v_min_i32_e32 v57, 15, v46
	v_dual_cndmask_b32 v56, 7, v56 :: v_dual_and_b32 v47, 0x80, v47
	s_delay_alu instid0(VALU_DEP_1) | instskip(SKIP_1) | instid1(VALU_DEP_2)
	v_or_b32_e32 v46, v46, v56
	v_and_b32_e32 v58, 7, v56
	v_cmp_ne_u32_e32 vcc_lo, 0, v46
	v_lshlrev_b32_e32 v57, 3, v57
	s_delay_alu instid0(VALU_DEP_1) | instskip(NEXT) | instid1(VALU_DEP_1)
	v_or3_b32 v47, v57, v47, v58
	v_cndmask_b32_e32 v46, 0, v47, vcc_lo
.LBB6_3536:                             ;   in Loop: Header=BB6_3361 Depth=3
	s_or_b32 exec_lo, exec_lo, s17
.LBB6_3537:                             ;   in Loop: Header=BB6_3361 Depth=3
	s_delay_alu instid0(SALU_CYCLE_1) | instskip(SKIP_3) | instid1(VALU_DEP_1)
	s_or_b32 exec_lo, exec_lo, s16
	v_lshrrev_b32_e32 v56, 24, v50
	s_mov_b32 s13, 0
	s_mov_b32 s17, exec_lo
                                        ; implicit-def: $sgpr16
	v_cmpx_lt_i16_e32 0x7f, v56
	s_xor_b32 s17, exec_lo, s17
	s_cbranch_execnz .LBB6_4471
; %bb.3538:                             ;   in Loop: Header=BB6_3361 Depth=3
	s_or_saveexec_b32 s17, s17
	v_mov_b32_e32 v47, s16
	s_xor_b32 exec_lo, exec_lo, s17
	s_cbranch_execnz .LBB6_4474
.LBB6_3539:                             ;   in Loop: Header=BB6_3361 Depth=3
	s_or_b32 exec_lo, exec_lo, s17
	s_and_saveexec_b32 s16, s13
	s_cbranch_execz .LBB6_3541
.LBB6_3540:                             ;   in Loop: Header=BB6_3361 Depth=3
	v_bfe_u32 v47, v50, 24, 3
	s_delay_alu instid0(VALU_DEP_1) | instskip(NEXT) | instid1(VALU_DEP_1)
	v_clz_i32_u32_e32 v57, v47
	v_min_u32_e32 v57, 32, v57
	s_delay_alu instid0(VALU_DEP_1) | instskip(SKIP_1) | instid1(VALU_DEP_2)
	v_subrev_nc_u32_e32 v58, 28, v57
	v_sub_nc_u32_e32 v57, 29, v57
	v_lshlrev_b32_e32 v56, v58, v56
	v_bfe_u32 v58, v50, 27, 4
	v_and_b32_e32 v50, 0x80000000, v50
	s_delay_alu instid0(VALU_DEP_2) | instskip(NEXT) | instid1(VALU_DEP_4)
	v_cmp_eq_u32_e32 vcc_lo, 0, v58
	v_dual_cndmask_b32 v57, v58, v57 :: v_dual_and_b32 v56, 7, v56
	s_delay_alu instid0(VALU_DEP_1) | instskip(NEXT) | instid1(VALU_DEP_2)
	v_cndmask_b32_e32 v47, v47, v56, vcc_lo
	v_lshl_add_u32 v56, v57, 23, 0x3b800000
	s_delay_alu instid0(VALU_DEP_2) | instskip(NEXT) | instid1(VALU_DEP_1)
	v_lshlrev_b32_e32 v47, 20, v47
	v_or3_b32 v47, v50, v56, v47
.LBB6_3541:                             ;   in Loop: Header=BB6_3361 Depth=3
	s_or_b32 exec_lo, exec_lo, s16
	v_lshrrev_b32_e32 v50, 24, v38
	s_mov_b32 s13, 0
	s_mov_b32 s17, exec_lo
                                        ; implicit-def: $sgpr16
	s_delay_alu instid0(VALU_DEP_1)
	v_cmpx_lt_i16_e32 0x7f, v50
	s_xor_b32 s17, exec_lo, s17
	s_cbranch_execnz .LBB6_4475
; %bb.3542:                             ;   in Loop: Header=BB6_3361 Depth=3
	s_or_saveexec_b32 s17, s17
	v_mov_b32_e32 v56, s16
	s_xor_b32 exec_lo, exec_lo, s17
	s_cbranch_execnz .LBB6_4478
.LBB6_3543:                             ;   in Loop: Header=BB6_3361 Depth=3
	s_or_b32 exec_lo, exec_lo, s17
	s_and_saveexec_b32 s16, s13
	s_cbranch_execz .LBB6_3545
.LBB6_3544:                             ;   in Loop: Header=BB6_3361 Depth=3
	v_bfe_u32 v56, v38, 24, 3
	s_delay_alu instid0(VALU_DEP_1) | instskip(NEXT) | instid1(VALU_DEP_1)
	v_clz_i32_u32_e32 v57, v56
	v_min_u32_e32 v57, 32, v57
	s_delay_alu instid0(VALU_DEP_1) | instskip(SKIP_1) | instid1(VALU_DEP_2)
	v_subrev_nc_u32_e32 v58, 28, v57
	v_sub_nc_u32_e32 v57, 29, v57
	v_lshlrev_b32_e32 v50, v58, v50
	v_bfe_u32 v58, v38, 27, 4
	v_and_b32_e32 v38, 0x80000000, v38
	s_delay_alu instid0(VALU_DEP_2) | instskip(NEXT) | instid1(VALU_DEP_4)
	v_cmp_eq_u32_e32 vcc_lo, 0, v58
	v_dual_cndmask_b32 v57, v58, v57 :: v_dual_and_b32 v50, 7, v50
	s_delay_alu instid0(VALU_DEP_1) | instskip(NEXT) | instid1(VALU_DEP_2)
	v_cndmask_b32_e32 v50, v56, v50, vcc_lo
	v_lshl_add_u32 v56, v57, 23, 0x3b800000
	s_delay_alu instid0(VALU_DEP_2) | instskip(NEXT) | instid1(VALU_DEP_1)
	v_lshlrev_b32_e32 v50, 20, v50
	v_or3_b32 v56, v38, v56, v50
.LBB6_3545:                             ;   in Loop: Header=BB6_3361 Depth=3
	s_or_b32 exec_lo, exec_lo, s16
	s_delay_alu instid0(VALU_DEP_1) | instskip(NEXT) | instid1(VALU_DEP_1)
	v_add_f32_e32 v50, v47, v56
	v_and_b32_e32 v38, 0x7f800000, v50
	s_delay_alu instid0(VALU_DEP_1)
	v_cmp_ne_u32_e32 vcc_lo, 0x7f800000, v38
	v_mov_b32_e32 v38, 0x80
	s_and_saveexec_b32 s16, vcc_lo
	s_cbranch_execz .LBB6_3553
; %bb.3546:                             ;   in Loop: Header=BB6_3361 Depth=3
	v_mov_b32_e32 v38, 0
	s_mov_b32 s17, exec_lo
	v_cmpx_ne_u32_e32 0, v50
	s_cbranch_execz .LBB6_3552
; %bb.3547:                             ;   in Loop: Header=BB6_3361 Depth=3
	v_bfe_u32 v38, v50, 23, 8
	s_delay_alu instid0(VALU_DEP_1) | instskip(SKIP_1) | instid1(VALU_DEP_2)
	v_sub_nc_u32_e32 v56, 0x78, v38
	v_cmp_gt_u32_e32 vcc_lo, 0x79, v38
	v_dual_cndmask_b32 v56, 0, v56 :: v_dual_and_b32 v47, 0x7fffff, v50
	s_delay_alu instid0(VALU_DEP_1) | instskip(SKIP_2) | instid1(VALU_DEP_4)
	v_or_b32_e32 v57, 0x800000, v47
	v_cmp_eq_u32_e32 vcc_lo, 0, v38
	v_add_nc_u32_e32 v38, 0xffffff89, v38
	v_cndmask_b32_e64 v56, v56, 0x77, vcc_lo
	s_delay_alu instid0(VALU_DEP_4) | instskip(NEXT) | instid1(VALU_DEP_3)
	v_cndmask_b32_e32 v47, v57, v47, vcc_lo
	v_cndmask_b32_e64 v38, v38, 0xffffff8a, vcc_lo
	s_delay_alu instid0(VALU_DEP_3) | instskip(NEXT) | instid1(VALU_DEP_3)
	v_lshl_add_u32 v57, 0x100000, v56, -1
	v_lshrrev_b32_e32 v58, v56, v47
	v_lshlrev_b32_e64 v60, v56, 0x80000
	s_delay_alu instid0(VALU_DEP_4) | instskip(NEXT) | instid1(VALU_DEP_4)
	v_add_nc_u32_e32 v56, v56, v38
	v_and_b32_e32 v47, v57, v47
	s_delay_alu instid0(VALU_DEP_4) | instskip(NEXT) | instid1(VALU_DEP_2)
	v_bfe_u32 v59, v58, 20, 1
	v_cmp_eq_u32_e64 s13, v47, v60
	s_delay_alu instid0(VALU_DEP_2) | instskip(NEXT) | instid1(VALU_DEP_1)
	v_add_nc_u32_e32 v57, -1, v59
	v_cndmask_b32_e64 v47, 0, v57, s13
	v_lshrrev_b32_e32 v57, 23, v58
	s_mov_b32 s13, exec_lo
	s_delay_alu instid0(VALU_DEP_2) | instskip(NEXT) | instid1(VALU_DEP_2)
	v_add_nc_u32_e32 v47, v47, v58
	v_xor_b32_e32 v57, 1, v57
	s_delay_alu instid0(VALU_DEP_2) | instskip(NEXT) | instid1(VALU_DEP_1)
	v_and_b32_e32 v38, 0xfffff, v47
	v_add_nc_u32_e32 v47, v38, v58
                                        ; implicit-def: $vgpr38
	s_delay_alu instid0(VALU_DEP_3)
	v_cmpx_ne_u32_e64 v56, v57
	s_xor_b32 s13, exec_lo, s13
; %bb.3548:                             ;   in Loop: Header=BB6_3361 Depth=3
	s_delay_alu instid0(VALU_DEP_2) | instskip(SKIP_2) | instid1(VALU_DEP_2)
	v_cmp_lt_u32_e32 vcc_lo, 0xffffff, v47
	v_sub_nc_u32_e32 v38, v56, v57
	v_cndmask_b32_e64 v56, 0, 1, vcc_lo
	v_add_co_ci_u32_e32 v38, vcc_lo, 0, v38, vcc_lo
	s_delay_alu instid0(VALU_DEP_2)
	v_lshrrev_b32_e32 v47, v56, v47
; %bb.3549:                             ;   in Loop: Header=BB6_3361 Depth=3
	s_and_not1_saveexec_b32 s13, s13
; %bb.3550:                             ;   in Loop: Header=BB6_3361 Depth=3
	s_delay_alu instid0(VALU_DEP_1)
	v_bfe_u32 v38, v47, 23, 1
; %bb.3551:                             ;   in Loop: Header=BB6_3361 Depth=3
	s_or_b32 exec_lo, exec_lo, s13
	v_lshrrev_b32_e32 v47, 20, v47
	s_delay_alu instid0(VALU_DEP_2) | instskip(SKIP_2) | instid1(VALU_DEP_2)
	v_cmp_gt_i32_e32 vcc_lo, 16, v38
	v_lshrrev_b32_e32 v50, 24, v50
	v_min_i32_e32 v56, 15, v38
	v_dual_cndmask_b32 v47, 7, v47 :: v_dual_and_b32 v50, 0x80, v50
	s_delay_alu instid0(VALU_DEP_2) | instskip(NEXT) | instid1(VALU_DEP_2)
	v_lshlrev_b32_e32 v56, 3, v56
	v_or_b32_e32 v38, v38, v47
	s_delay_alu instid0(VALU_DEP_1) | instskip(SKIP_1) | instid1(VALU_DEP_1)
	v_cmp_ne_u32_e32 vcc_lo, 0, v38
	v_and_b32_e32 v57, 7, v47
	v_or3_b32 v50, v56, v50, v57
	s_delay_alu instid0(VALU_DEP_1)
	v_cndmask_b32_e32 v38, 0, v50, vcc_lo
.LBB6_3552:                             ;   in Loop: Header=BB6_3361 Depth=3
	s_or_b32 exec_lo, exec_lo, s17
.LBB6_3553:                             ;   in Loop: Header=BB6_3361 Depth=3
	s_delay_alu instid0(SALU_CYCLE_1) | instskip(SKIP_3) | instid1(VALU_DEP_1)
	s_or_b32 exec_lo, exec_lo, s16
	v_and_b32_e32 v47, 0xff, v51
	s_mov_b32 s13, 0
	s_mov_b32 s17, exec_lo
                                        ; implicit-def: $sgpr16
	v_cmpx_lt_i16_e32 0x7f, v47
	s_xor_b32 s17, exec_lo, s17
	s_cbranch_execnz .LBB6_4479
; %bb.3554:                             ;   in Loop: Header=BB6_3361 Depth=3
	s_or_saveexec_b32 s17, s17
	v_mov_b32_e32 v50, s16
	s_xor_b32 exec_lo, exec_lo, s17
	s_cbranch_execnz .LBB6_4482
.LBB6_3555:                             ;   in Loop: Header=BB6_3361 Depth=3
	s_or_b32 exec_lo, exec_lo, s17
	s_and_saveexec_b32 s16, s13
	s_cbranch_execz .LBB6_3557
.LBB6_3556:                             ;   in Loop: Header=BB6_3361 Depth=3
	v_and_b32_e32 v50, 7, v51
	v_bfe_u32 v57, v51, 3, 4
	v_lshlrev_b32_e32 v58, 24, v51
	s_delay_alu instid0(VALU_DEP_3) | instskip(NEXT) | instid1(VALU_DEP_3)
	v_clz_i32_u32_e32 v47, v50
	v_cmp_eq_u32_e32 vcc_lo, 0, v57
	s_delay_alu instid0(VALU_DEP_2) | instskip(NEXT) | instid1(VALU_DEP_1)
	v_min_u32_e32 v47, 32, v47
	v_subrev_nc_u32_e32 v56, 28, v47
	v_sub_nc_u32_e32 v47, 29, v47
	s_delay_alu instid0(VALU_DEP_2) | instskip(NEXT) | instid1(VALU_DEP_1)
	v_lshlrev_b32_e32 v56, v56, v51
	v_dual_cndmask_b32 v47, v57, v47 :: v_dual_and_b32 v56, 7, v56
	s_delay_alu instid0(VALU_DEP_1) | instskip(NEXT) | instid1(VALU_DEP_2)
	v_lshl_add_u32 v47, v47, 23, 0x3b800000
	v_cndmask_b32_e32 v50, v50, v56, vcc_lo
	v_and_b32_e32 v56, 0x80000000, v58
	s_delay_alu instid0(VALU_DEP_2) | instskip(NEXT) | instid1(VALU_DEP_1)
	v_lshlrev_b32_e32 v50, 20, v50
	v_or3_b32 v50, v56, v47, v50
.LBB6_3557:                             ;   in Loop: Header=BB6_3361 Depth=3
	s_or_b32 exec_lo, exec_lo, s16
	v_and_b32_e32 v56, 0xff, v39
	s_mov_b32 s13, 0
	s_mov_b32 s17, exec_lo
                                        ; implicit-def: $sgpr16
	s_delay_alu instid0(VALU_DEP_1)
	v_cmpx_lt_i16_e32 0x7f, v56
	s_xor_b32 s17, exec_lo, s17
	s_cbranch_execnz .LBB6_4483
; %bb.3558:                             ;   in Loop: Header=BB6_3361 Depth=3
	s_or_saveexec_b32 s17, s17
	v_mov_b32_e32 v47, s16
	s_xor_b32 exec_lo, exec_lo, s17
	s_cbranch_execnz .LBB6_4486
.LBB6_3559:                             ;   in Loop: Header=BB6_3361 Depth=3
	s_or_b32 exec_lo, exec_lo, s17
	s_and_saveexec_b32 s16, s13
	s_cbranch_execz .LBB6_3561
.LBB6_3560:                             ;   in Loop: Header=BB6_3361 Depth=3
	v_bfe_u32 v58, v39, 3, 4
	v_lshlrev_b32_e32 v59, 24, v39
	s_delay_alu instid0(VALU_DEP_2) | instskip(SKIP_1) | instid1(VALU_DEP_1)
	v_cmp_eq_u32_e32 vcc_lo, 0, v58
	v_and_b32_e32 v47, 7, v39
	v_clz_i32_u32_e32 v56, v47
	s_delay_alu instid0(VALU_DEP_1) | instskip(NEXT) | instid1(VALU_DEP_1)
	v_min_u32_e32 v56, 32, v56
	v_subrev_nc_u32_e32 v57, 28, v56
	v_sub_nc_u32_e32 v56, 29, v56
	s_delay_alu instid0(VALU_DEP_1) | instskip(NEXT) | instid1(VALU_DEP_1)
	v_dual_cndmask_b32 v56, v58, v56 :: v_dual_lshlrev_b32 v57, v57, v39
	v_and_b32_e32 v57, 7, v57
	s_delay_alu instid0(VALU_DEP_2) | instskip(NEXT) | instid1(VALU_DEP_2)
	v_lshl_add_u32 v56, v56, 23, 0x3b800000
	v_cndmask_b32_e32 v47, v47, v57, vcc_lo
	v_and_b32_e32 v57, 0x80000000, v59
	s_delay_alu instid0(VALU_DEP_2) | instskip(NEXT) | instid1(VALU_DEP_1)
	v_lshlrev_b32_e32 v47, 20, v47
	v_or3_b32 v47, v57, v56, v47
.LBB6_3561:                             ;   in Loop: Header=BB6_3361 Depth=3
	s_or_b32 exec_lo, exec_lo, s16
	s_delay_alu instid0(VALU_DEP_1) | instskip(NEXT) | instid1(VALU_DEP_1)
	v_add_f32_e32 v47, v50, v47
	v_and_b32_e32 v50, 0x7f800000, v47
	s_delay_alu instid0(VALU_DEP_1)
	v_cmp_ne_u32_e32 vcc_lo, 0x7f800000, v50
	v_mov_b32_e32 v50, 0x80
	s_and_saveexec_b32 s16, vcc_lo
	s_cbranch_execz .LBB6_3569
; %bb.3562:                             ;   in Loop: Header=BB6_3361 Depth=3
	v_mov_b32_e32 v50, 0
	s_mov_b32 s17, exec_lo
	v_cmpx_ne_u32_e32 0, v47
	s_cbranch_execz .LBB6_3568
; %bb.3563:                             ;   in Loop: Header=BB6_3361 Depth=3
	v_bfe_u32 v50, v47, 23, 8
	s_delay_alu instid0(VALU_DEP_1) | instskip(SKIP_1) | instid1(VALU_DEP_2)
	v_sub_nc_u32_e32 v57, 0x78, v50
	v_cmp_gt_u32_e32 vcc_lo, 0x79, v50
	v_dual_cndmask_b32 v57, 0, v57 :: v_dual_and_b32 v56, 0x7fffff, v47
	s_delay_alu instid0(VALU_DEP_1) | instskip(SKIP_2) | instid1(VALU_DEP_4)
	v_or_b32_e32 v58, 0x800000, v56
	v_cmp_eq_u32_e32 vcc_lo, 0, v50
	v_add_nc_u32_e32 v50, 0xffffff89, v50
	v_cndmask_b32_e64 v57, v57, 0x77, vcc_lo
	s_delay_alu instid0(VALU_DEP_2) | instskip(SKIP_1) | instid1(VALU_DEP_3)
	v_cndmask_b32_e64 v50, v50, 0xffffff8a, vcc_lo
	v_cndmask_b32_e32 v56, v58, v56, vcc_lo
	v_lshl_add_u32 v58, 0x100000, v57, -1
	v_lshlrev_b32_e64 v61, v57, 0x80000
	s_delay_alu instid0(VALU_DEP_3) | instskip(SKIP_1) | instid1(VALU_DEP_4)
	v_lshrrev_b32_e32 v59, v57, v56
	v_add_nc_u32_e32 v57, v57, v50
	v_and_b32_e32 v56, v58, v56
	s_delay_alu instid0(VALU_DEP_3) | instskip(NEXT) | instid1(VALU_DEP_2)
	v_bfe_u32 v60, v59, 20, 1
	v_cmp_eq_u32_e64 s13, v56, v61
	s_delay_alu instid0(VALU_DEP_2) | instskip(NEXT) | instid1(VALU_DEP_1)
	v_add_nc_u32_e32 v58, -1, v60
	v_cndmask_b32_e64 v56, 0, v58, s13
	v_lshrrev_b32_e32 v58, 23, v59
	s_mov_b32 s13, exec_lo
	s_delay_alu instid0(VALU_DEP_2) | instskip(NEXT) | instid1(VALU_DEP_2)
	v_add_nc_u32_e32 v56, v56, v59
	v_xor_b32_e32 v58, 1, v58
	s_delay_alu instid0(VALU_DEP_2) | instskip(NEXT) | instid1(VALU_DEP_1)
	v_and_b32_e32 v50, 0xfffff, v56
	v_add_nc_u32_e32 v56, v50, v59
                                        ; implicit-def: $vgpr50
	s_delay_alu instid0(VALU_DEP_3)
	v_cmpx_ne_u32_e64 v57, v58
	s_xor_b32 s13, exec_lo, s13
; %bb.3564:                             ;   in Loop: Header=BB6_3361 Depth=3
	s_delay_alu instid0(VALU_DEP_2) | instskip(SKIP_2) | instid1(VALU_DEP_2)
	v_cmp_lt_u32_e32 vcc_lo, 0xffffff, v56
	v_sub_nc_u32_e32 v50, v57, v58
	v_cndmask_b32_e64 v57, 0, 1, vcc_lo
	v_add_co_ci_u32_e32 v50, vcc_lo, 0, v50, vcc_lo
	s_delay_alu instid0(VALU_DEP_2)
	v_lshrrev_b32_e32 v56, v57, v56
; %bb.3565:                             ;   in Loop: Header=BB6_3361 Depth=3
	s_and_not1_saveexec_b32 s13, s13
; %bb.3566:                             ;   in Loop: Header=BB6_3361 Depth=3
	s_delay_alu instid0(VALU_DEP_1)
	v_bfe_u32 v50, v56, 23, 1
; %bb.3567:                             ;   in Loop: Header=BB6_3361 Depth=3
	s_or_b32 exec_lo, exec_lo, s13
	v_lshrrev_b32_e32 v56, 20, v56
	s_delay_alu instid0(VALU_DEP_2) | instskip(SKIP_2) | instid1(VALU_DEP_2)
	v_cmp_gt_i32_e32 vcc_lo, 16, v50
	v_lshrrev_b32_e32 v47, 24, v47
	v_min_i32_e32 v57, 15, v50
	v_dual_cndmask_b32 v56, 7, v56 :: v_dual_and_b32 v47, 0x80, v47
	s_delay_alu instid0(VALU_DEP_1) | instskip(SKIP_1) | instid1(VALU_DEP_2)
	v_or_b32_e32 v50, v50, v56
	v_and_b32_e32 v58, 7, v56
	v_cmp_ne_u32_e32 vcc_lo, 0, v50
	v_lshlrev_b32_e32 v57, 3, v57
	s_delay_alu instid0(VALU_DEP_1) | instskip(NEXT) | instid1(VALU_DEP_1)
	v_or3_b32 v47, v57, v47, v58
	v_cndmask_b32_e32 v50, 0, v47, vcc_lo
.LBB6_3568:                             ;   in Loop: Header=BB6_3361 Depth=3
	s_or_b32 exec_lo, exec_lo, s17
.LBB6_3569:                             ;   in Loop: Header=BB6_3361 Depth=3
	s_delay_alu instid0(SALU_CYCLE_1) | instskip(SKIP_3) | instid1(VALU_DEP_1)
	s_or_b32 exec_lo, exec_lo, s16
	v_lshrrev_b16 v56, 8, v51
	s_mov_b32 s13, 0
	s_mov_b32 s17, exec_lo
                                        ; implicit-def: $sgpr16
	v_cmpx_lt_i16_e32 0x7f, v56
	s_xor_b32 s17, exec_lo, s17
	s_cbranch_execnz .LBB6_4487
; %bb.3570:                             ;   in Loop: Header=BB6_3361 Depth=3
	s_or_saveexec_b32 s17, s17
	v_mov_b32_e32 v47, s16
	s_xor_b32 exec_lo, exec_lo, s17
	s_cbranch_execnz .LBB6_4490
.LBB6_3571:                             ;   in Loop: Header=BB6_3361 Depth=3
	s_or_b32 exec_lo, exec_lo, s17
	s_and_saveexec_b32 s16, s13
	s_cbranch_execz .LBB6_3573
.LBB6_3572:                             ;   in Loop: Header=BB6_3361 Depth=3
	v_and_b32_e32 v47, 0xffff, v56
	s_delay_alu instid0(VALU_DEP_1) | instskip(NEXT) | instid1(VALU_DEP_1)
	v_and_b32_e32 v57, 7, v47
	v_clz_i32_u32_e32 v58, v57
	s_delay_alu instid0(VALU_DEP_1) | instskip(NEXT) | instid1(VALU_DEP_1)
	v_min_u32_e32 v58, 32, v58
	v_subrev_nc_u32_e32 v59, 28, v58
	v_sub_nc_u32_e32 v58, 29, v58
	s_delay_alu instid0(VALU_DEP_2) | instskip(SKIP_1) | instid1(VALU_DEP_2)
	v_lshlrev_b32_e32 v59, v59, v47
	v_bfe_u32 v47, v47, 3, 4
	v_and_b32_e32 v59, 7, v59
	s_delay_alu instid0(VALU_DEP_2) | instskip(SKIP_1) | instid1(VALU_DEP_1)
	v_cmp_eq_u32_e32 vcc_lo, 0, v47
	v_dual_cndmask_b32 v47, v47, v58 :: v_dual_lshlrev_b32 v56, 24, v56
	v_dual_cndmask_b32 v57, v57, v59 :: v_dual_and_b32 v56, 0x80000000, v56
	s_delay_alu instid0(VALU_DEP_2) | instskip(NEXT) | instid1(VALU_DEP_2)
	v_lshl_add_u32 v47, v47, 23, 0x3b800000
	v_lshlrev_b32_e32 v57, 20, v57
	s_delay_alu instid0(VALU_DEP_1)
	v_or3_b32 v47, v56, v47, v57
.LBB6_3573:                             ;   in Loop: Header=BB6_3361 Depth=3
	s_or_b32 exec_lo, exec_lo, s16
	v_lshrrev_b16 v56, 8, v39
	s_mov_b32 s13, 0
	s_mov_b32 s17, exec_lo
                                        ; implicit-def: $sgpr16
	s_delay_alu instid0(VALU_DEP_1)
	v_cmpx_lt_i16_e32 0x7f, v56
	s_xor_b32 s17, exec_lo, s17
	s_cbranch_execnz .LBB6_4491
; %bb.3574:                             ;   in Loop: Header=BB6_3361 Depth=3
	s_or_saveexec_b32 s17, s17
	v_mov_b32_e32 v57, s16
	s_xor_b32 exec_lo, exec_lo, s17
	s_cbranch_execnz .LBB6_4494
.LBB6_3575:                             ;   in Loop: Header=BB6_3361 Depth=3
	s_or_b32 exec_lo, exec_lo, s17
	s_and_saveexec_b32 s16, s13
	s_cbranch_execz .LBB6_3577
.LBB6_3576:                             ;   in Loop: Header=BB6_3361 Depth=3
	v_and_b32_e32 v57, 0xffff, v56
	v_lshlrev_b32_e32 v56, 24, v56
	s_delay_alu instid0(VALU_DEP_2) | instskip(NEXT) | instid1(VALU_DEP_2)
	v_and_b32_e32 v58, 7, v57
	v_and_b32_e32 v56, 0x80000000, v56
	s_delay_alu instid0(VALU_DEP_2) | instskip(NEXT) | instid1(VALU_DEP_1)
	v_clz_i32_u32_e32 v59, v58
	v_min_u32_e32 v59, 32, v59
	s_delay_alu instid0(VALU_DEP_1) | instskip(SKIP_1) | instid1(VALU_DEP_2)
	v_subrev_nc_u32_e32 v60, 28, v59
	v_sub_nc_u32_e32 v59, 29, v59
	v_lshlrev_b32_e32 v60, v60, v57
	v_bfe_u32 v57, v57, 3, 4
	s_delay_alu instid0(VALU_DEP_2) | instskip(NEXT) | instid1(VALU_DEP_2)
	v_and_b32_e32 v60, 7, v60
	v_cmp_eq_u32_e32 vcc_lo, 0, v57
	s_delay_alu instid0(VALU_DEP_2) | instskip(NEXT) | instid1(VALU_DEP_1)
	v_dual_cndmask_b32 v57, v57, v59 :: v_dual_cndmask_b32 v58, v58, v60
	v_lshl_add_u32 v57, v57, 23, 0x3b800000
	s_delay_alu instid0(VALU_DEP_2) | instskip(NEXT) | instid1(VALU_DEP_1)
	v_lshlrev_b32_e32 v58, 20, v58
	v_or3_b32 v57, v56, v57, v58
.LBB6_3577:                             ;   in Loop: Header=BB6_3361 Depth=3
	s_or_b32 exec_lo, exec_lo, s16
	s_delay_alu instid0(VALU_DEP_1) | instskip(NEXT) | instid1(VALU_DEP_1)
	v_add_f32_e32 v56, v47, v57
	v_and_b32_e32 v47, 0x7f800000, v56
	s_delay_alu instid0(VALU_DEP_1)
	v_cmp_ne_u32_e32 vcc_lo, 0x7f800000, v47
	v_mov_b32_e32 v47, 0x8000
	s_and_saveexec_b32 s16, vcc_lo
	s_cbranch_execz .LBB6_3585
; %bb.3578:                             ;   in Loop: Header=BB6_3361 Depth=3
	v_mov_b32_e32 v47, 0
	s_mov_b32 s17, exec_lo
	v_cmpx_ne_u32_e32 0, v56
	s_cbranch_execz .LBB6_3584
; %bb.3579:                             ;   in Loop: Header=BB6_3361 Depth=3
	v_bfe_u32 v47, v56, 23, 8
	s_delay_alu instid0(VALU_DEP_1) | instskip(SKIP_1) | instid1(VALU_DEP_2)
	v_sub_nc_u32_e32 v58, 0x78, v47
	v_cmp_gt_u32_e32 vcc_lo, 0x79, v47
	v_dual_cndmask_b32 v58, 0, v58 :: v_dual_and_b32 v57, 0x7fffff, v56
	s_delay_alu instid0(VALU_DEP_1) | instskip(SKIP_2) | instid1(VALU_DEP_4)
	v_or_b32_e32 v59, 0x800000, v57
	v_cmp_eq_u32_e32 vcc_lo, 0, v47
	v_add_nc_u32_e32 v47, 0xffffff89, v47
	v_cndmask_b32_e64 v58, v58, 0x77, vcc_lo
	s_delay_alu instid0(VALU_DEP_2) | instskip(SKIP_1) | instid1(VALU_DEP_3)
	v_cndmask_b32_e64 v47, v47, 0xffffff8a, vcc_lo
	v_cndmask_b32_e32 v57, v59, v57, vcc_lo
	v_lshl_add_u32 v59, 0x100000, v58, -1
	v_lshlrev_b32_e64 v62, v58, 0x80000
	s_delay_alu instid0(VALU_DEP_3) | instskip(SKIP_1) | instid1(VALU_DEP_4)
	v_lshrrev_b32_e32 v60, v58, v57
	v_add_nc_u32_e32 v58, v58, v47
	v_and_b32_e32 v57, v59, v57
	s_delay_alu instid0(VALU_DEP_3) | instskip(NEXT) | instid1(VALU_DEP_2)
	v_bfe_u32 v61, v60, 20, 1
	v_cmp_eq_u32_e64 s13, v57, v62
	s_delay_alu instid0(VALU_DEP_2) | instskip(NEXT) | instid1(VALU_DEP_1)
	v_add_nc_u32_e32 v59, -1, v61
	v_cndmask_b32_e64 v57, 0, v59, s13
	v_lshrrev_b32_e32 v59, 23, v60
	s_mov_b32 s13, exec_lo
	s_delay_alu instid0(VALU_DEP_2) | instskip(NEXT) | instid1(VALU_DEP_2)
	v_add_nc_u32_e32 v57, v57, v60
	v_xor_b32_e32 v59, 1, v59
	s_delay_alu instid0(VALU_DEP_2) | instskip(NEXT) | instid1(VALU_DEP_1)
	v_and_b32_e32 v47, 0xfffff, v57
	v_add_nc_u32_e32 v57, v47, v60
                                        ; implicit-def: $vgpr47
	s_delay_alu instid0(VALU_DEP_3)
	v_cmpx_ne_u32_e64 v58, v59
	s_xor_b32 s13, exec_lo, s13
; %bb.3580:                             ;   in Loop: Header=BB6_3361 Depth=3
	s_delay_alu instid0(VALU_DEP_2) | instskip(SKIP_2) | instid1(VALU_DEP_2)
	v_cmp_lt_u32_e32 vcc_lo, 0xffffff, v57
	v_sub_nc_u32_e32 v47, v58, v59
	v_cndmask_b32_e64 v58, 0, 1, vcc_lo
	v_add_co_ci_u32_e32 v47, vcc_lo, 0, v47, vcc_lo
	s_delay_alu instid0(VALU_DEP_2)
	v_lshrrev_b32_e32 v57, v58, v57
; %bb.3581:                             ;   in Loop: Header=BB6_3361 Depth=3
	s_and_not1_saveexec_b32 s13, s13
; %bb.3582:                             ;   in Loop: Header=BB6_3361 Depth=3
	s_delay_alu instid0(VALU_DEP_1)
	v_bfe_u32 v47, v57, 23, 1
; %bb.3583:                             ;   in Loop: Header=BB6_3361 Depth=3
	s_or_b32 exec_lo, exec_lo, s13
	v_lshrrev_b32_e32 v57, 20, v57
	s_delay_alu instid0(VALU_DEP_2) | instskip(SKIP_2) | instid1(VALU_DEP_2)
	v_cmp_gt_i32_e32 vcc_lo, 16, v47
	v_min_i32_e32 v58, 15, v47
	v_lshrrev_b32_e32 v56, 24, v56
	v_dual_cndmask_b32 v57, 7, v57 :: v_dual_lshlrev_b32 v58, 3, v58
	s_delay_alu instid0(VALU_DEP_2) | instskip(NEXT) | instid1(VALU_DEP_2)
	v_and_b32_e32 v56, 0x80, v56
	v_or_b32_e32 v47, v47, v57
	v_and_b32_e32 v59, 7, v57
	s_delay_alu instid0(VALU_DEP_2) | instskip(SKIP_1) | instid1(VALU_DEP_1)
	v_cmp_ne_u32_e32 vcc_lo, 0, v47
	v_and_b32_e32 v58, 0xf8, v58
	v_or3_b32 v56, v56, v58, v59
	s_delay_alu instid0(VALU_DEP_1) | instskip(NEXT) | instid1(VALU_DEP_1)
	v_lshlrev_b32_e32 v56, 8, v56
	v_cndmask_b32_e32 v47, 0, v56, vcc_lo
.LBB6_3584:                             ;   in Loop: Header=BB6_3361 Depth=3
	s_or_b32 exec_lo, exec_lo, s17
.LBB6_3585:                             ;   in Loop: Header=BB6_3361 Depth=3
	s_delay_alu instid0(SALU_CYCLE_1) | instskip(SKIP_3) | instid1(VALU_DEP_1)
	s_or_b32 exec_lo, exec_lo, s16
	v_lshrrev_b32_e32 v57, 16, v51
	s_mov_b32 s13, 0
	s_mov_b32 s17, exec_lo
                                        ; implicit-def: $sgpr16
	v_and_b32_e32 v58, 0xff, v57
	s_delay_alu instid0(VALU_DEP_1)
	v_cmpx_lt_i16_e32 0x7f, v58
	s_xor_b32 s17, exec_lo, s17
	s_cbranch_execnz .LBB6_4495
; %bb.3586:                             ;   in Loop: Header=BB6_3361 Depth=3
	s_or_saveexec_b32 s17, s17
	v_mov_b32_e32 v56, s16
	s_xor_b32 exec_lo, exec_lo, s17
	s_cbranch_execnz .LBB6_4498
.LBB6_3587:                             ;   in Loop: Header=BB6_3361 Depth=3
	s_or_b32 exec_lo, exec_lo, s17
	s_and_saveexec_b32 s16, s13
	s_cbranch_execz .LBB6_3589
.LBB6_3588:                             ;   in Loop: Header=BB6_3361 Depth=3
	v_bfe_u32 v56, v51, 16, 3
	v_lshlrev_b32_e32 v60, 8, v51
	s_delay_alu instid0(VALU_DEP_2) | instskip(NEXT) | instid1(VALU_DEP_1)
	v_clz_i32_u32_e32 v58, v56
	v_min_u32_e32 v58, 32, v58
	s_delay_alu instid0(VALU_DEP_1) | instskip(SKIP_1) | instid1(VALU_DEP_2)
	v_subrev_nc_u32_e32 v59, 28, v58
	v_sub_nc_u32_e32 v58, 29, v58
	v_lshlrev_b32_e32 v57, v59, v57
	v_bfe_u32 v59, v51, 19, 4
	s_delay_alu instid0(VALU_DEP_1) | instskip(NEXT) | instid1(VALU_DEP_3)
	v_cmp_eq_u32_e32 vcc_lo, 0, v59
	v_dual_cndmask_b32 v58, v59, v58 :: v_dual_and_b32 v57, 7, v57
	s_delay_alu instid0(VALU_DEP_1) | instskip(NEXT) | instid1(VALU_DEP_2)
	v_dual_cndmask_b32 v56, v56, v57 :: v_dual_and_b32 v57, 0x80000000, v60
	v_lshl_add_u32 v58, v58, 23, 0x3b800000
	s_delay_alu instid0(VALU_DEP_2) | instskip(NEXT) | instid1(VALU_DEP_1)
	v_lshlrev_b32_e32 v56, 20, v56
	v_or3_b32 v56, v57, v58, v56
.LBB6_3589:                             ;   in Loop: Header=BB6_3361 Depth=3
	s_or_b32 exec_lo, exec_lo, s16
	v_lshrrev_b32_e32 v57, 16, v39
	s_mov_b32 s13, 0
	s_mov_b32 s17, exec_lo
                                        ; implicit-def: $sgpr16
	s_delay_alu instid0(VALU_DEP_1) | instskip(NEXT) | instid1(VALU_DEP_1)
	v_and_b32_e32 v59, 0xff, v57
	v_cmpx_lt_i16_e32 0x7f, v59
	s_xor_b32 s17, exec_lo, s17
	s_cbranch_execnz .LBB6_4499
; %bb.3590:                             ;   in Loop: Header=BB6_3361 Depth=3
	s_or_saveexec_b32 s17, s17
	v_mov_b32_e32 v58, s16
	s_xor_b32 exec_lo, exec_lo, s17
	s_cbranch_execnz .LBB6_4502
.LBB6_3591:                             ;   in Loop: Header=BB6_3361 Depth=3
	s_or_b32 exec_lo, exec_lo, s17
	s_and_saveexec_b32 s16, s13
	s_cbranch_execz .LBB6_3593
.LBB6_3592:                             ;   in Loop: Header=BB6_3361 Depth=3
	v_bfe_u32 v58, v39, 16, 3
	v_lshlrev_b32_e32 v61, 8, v39
	s_delay_alu instid0(VALU_DEP_2) | instskip(NEXT) | instid1(VALU_DEP_1)
	v_clz_i32_u32_e32 v59, v58
	v_min_u32_e32 v59, 32, v59
	s_delay_alu instid0(VALU_DEP_1) | instskip(SKIP_1) | instid1(VALU_DEP_2)
	v_subrev_nc_u32_e32 v60, 28, v59
	v_sub_nc_u32_e32 v59, 29, v59
	v_lshlrev_b32_e32 v57, v60, v57
	v_bfe_u32 v60, v39, 19, 4
	s_delay_alu instid0(VALU_DEP_2) | instskip(NEXT) | instid1(VALU_DEP_2)
	v_and_b32_e32 v57, 7, v57
	v_cmp_eq_u32_e32 vcc_lo, 0, v60
	v_cndmask_b32_e32 v59, v60, v59, vcc_lo
	s_delay_alu instid0(VALU_DEP_3) | instskip(SKIP_1) | instid1(VALU_DEP_3)
	v_cndmask_b32_e32 v57, v58, v57, vcc_lo
	v_and_b32_e32 v58, 0x80000000, v61
	v_lshl_add_u32 v59, v59, 23, 0x3b800000
	s_delay_alu instid0(VALU_DEP_3) | instskip(NEXT) | instid1(VALU_DEP_1)
	v_lshlrev_b32_e32 v57, 20, v57
	v_or3_b32 v58, v58, v59, v57
.LBB6_3593:                             ;   in Loop: Header=BB6_3361 Depth=3
	s_or_b32 exec_lo, exec_lo, s16
	s_delay_alu instid0(VALU_DEP_1) | instskip(NEXT) | instid1(VALU_DEP_1)
	v_add_f32_e32 v57, v56, v58
	v_and_b32_e32 v56, 0x7f800000, v57
	s_delay_alu instid0(VALU_DEP_1)
	v_cmp_ne_u32_e32 vcc_lo, 0x7f800000, v56
	v_mov_b32_e32 v56, 0x80
	s_and_saveexec_b32 s16, vcc_lo
	s_cbranch_execz .LBB6_3601
; %bb.3594:                             ;   in Loop: Header=BB6_3361 Depth=3
	v_mov_b32_e32 v56, 0
	s_mov_b32 s17, exec_lo
	v_cmpx_ne_u32_e32 0, v57
	s_cbranch_execz .LBB6_3600
; %bb.3595:                             ;   in Loop: Header=BB6_3361 Depth=3
	v_bfe_u32 v56, v57, 23, 8
	s_delay_alu instid0(VALU_DEP_1) | instskip(SKIP_1) | instid1(VALU_DEP_2)
	v_sub_nc_u32_e32 v59, 0x78, v56
	v_cmp_gt_u32_e32 vcc_lo, 0x79, v56
	v_dual_cndmask_b32 v59, 0, v59 :: v_dual_and_b32 v58, 0x7fffff, v57
	s_delay_alu instid0(VALU_DEP_1) | instskip(SKIP_2) | instid1(VALU_DEP_4)
	v_or_b32_e32 v60, 0x800000, v58
	v_cmp_eq_u32_e32 vcc_lo, 0, v56
	v_add_nc_u32_e32 v56, 0xffffff89, v56
	v_cndmask_b32_e64 v59, v59, 0x77, vcc_lo
	s_delay_alu instid0(VALU_DEP_2) | instskip(SKIP_1) | instid1(VALU_DEP_3)
	v_cndmask_b32_e64 v56, v56, 0xffffff8a, vcc_lo
	v_cndmask_b32_e32 v58, v60, v58, vcc_lo
	v_lshl_add_u32 v60, 0x100000, v59, -1
	v_lshlrev_b32_e64 v63, v59, 0x80000
	s_delay_alu instid0(VALU_DEP_3) | instskip(SKIP_1) | instid1(VALU_DEP_4)
	v_lshrrev_b32_e32 v61, v59, v58
	v_add_nc_u32_e32 v59, v59, v56
	v_and_b32_e32 v58, v60, v58
	s_delay_alu instid0(VALU_DEP_3) | instskip(NEXT) | instid1(VALU_DEP_2)
	v_bfe_u32 v62, v61, 20, 1
	v_cmp_eq_u32_e64 s13, v58, v63
	s_delay_alu instid0(VALU_DEP_2) | instskip(NEXT) | instid1(VALU_DEP_1)
	v_add_nc_u32_e32 v60, -1, v62
	v_cndmask_b32_e64 v58, 0, v60, s13
	v_lshrrev_b32_e32 v60, 23, v61
	s_mov_b32 s13, exec_lo
	s_delay_alu instid0(VALU_DEP_2) | instskip(NEXT) | instid1(VALU_DEP_2)
	v_add_nc_u32_e32 v58, v58, v61
	v_xor_b32_e32 v60, 1, v60
	s_delay_alu instid0(VALU_DEP_2) | instskip(NEXT) | instid1(VALU_DEP_1)
	v_and_b32_e32 v56, 0xfffff, v58
	v_add_nc_u32_e32 v58, v56, v61
                                        ; implicit-def: $vgpr56
	s_delay_alu instid0(VALU_DEP_3)
	v_cmpx_ne_u32_e64 v59, v60
	s_xor_b32 s13, exec_lo, s13
; %bb.3596:                             ;   in Loop: Header=BB6_3361 Depth=3
	s_delay_alu instid0(VALU_DEP_2) | instskip(SKIP_2) | instid1(VALU_DEP_2)
	v_cmp_lt_u32_e32 vcc_lo, 0xffffff, v58
	v_sub_nc_u32_e32 v56, v59, v60
	v_cndmask_b32_e64 v59, 0, 1, vcc_lo
	v_add_co_ci_u32_e32 v56, vcc_lo, 0, v56, vcc_lo
	s_delay_alu instid0(VALU_DEP_2)
	v_lshrrev_b32_e32 v58, v59, v58
; %bb.3597:                             ;   in Loop: Header=BB6_3361 Depth=3
	s_and_not1_saveexec_b32 s13, s13
; %bb.3598:                             ;   in Loop: Header=BB6_3361 Depth=3
	s_delay_alu instid0(VALU_DEP_1)
	v_bfe_u32 v56, v58, 23, 1
; %bb.3599:                             ;   in Loop: Header=BB6_3361 Depth=3
	s_or_b32 exec_lo, exec_lo, s13
	v_lshrrev_b32_e32 v58, 20, v58
	s_delay_alu instid0(VALU_DEP_2) | instskip(SKIP_2) | instid1(VALU_DEP_2)
	v_cmp_gt_i32_e32 vcc_lo, 16, v56
	v_min_i32_e32 v59, 15, v56
	v_lshrrev_b32_e32 v57, 24, v57
	v_dual_cndmask_b32 v58, 7, v58 :: v_dual_lshlrev_b32 v59, 3, v59
	s_delay_alu instid0(VALU_DEP_2) | instskip(NEXT) | instid1(VALU_DEP_2)
	v_and_b32_e32 v57, 0x80, v57
	v_or_b32_e32 v56, v56, v58
	v_and_b32_e32 v60, 7, v58
	s_delay_alu instid0(VALU_DEP_2) | instskip(SKIP_1) | instid1(VALU_DEP_1)
	v_cmp_ne_u32_e32 vcc_lo, 0, v56
	v_and_b32_e32 v59, 0xf8, v59
	v_or3_b32 v57, v59, v57, v60
	s_delay_alu instid0(VALU_DEP_1)
	v_cndmask_b32_e32 v56, 0, v57, vcc_lo
.LBB6_3600:                             ;   in Loop: Header=BB6_3361 Depth=3
	s_or_b32 exec_lo, exec_lo, s17
.LBB6_3601:                             ;   in Loop: Header=BB6_3361 Depth=3
	s_delay_alu instid0(SALU_CYCLE_1) | instskip(SKIP_3) | instid1(VALU_DEP_1)
	s_or_b32 exec_lo, exec_lo, s16
	v_lshrrev_b32_e32 v58, 24, v51
	s_mov_b32 s13, 0
	s_mov_b32 s17, exec_lo
                                        ; implicit-def: $sgpr16
	v_cmpx_lt_i16_e32 0x7f, v58
	s_xor_b32 s17, exec_lo, s17
	s_cbranch_execnz .LBB6_4503
; %bb.3602:                             ;   in Loop: Header=BB6_3361 Depth=3
	s_or_saveexec_b32 s17, s17
	v_mov_b32_e32 v57, s16
	s_xor_b32 exec_lo, exec_lo, s17
	s_cbranch_execnz .LBB6_4506
.LBB6_3603:                             ;   in Loop: Header=BB6_3361 Depth=3
	s_or_b32 exec_lo, exec_lo, s17
	s_and_saveexec_b32 s16, s13
	s_cbranch_execz .LBB6_3605
.LBB6_3604:                             ;   in Loop: Header=BB6_3361 Depth=3
	v_bfe_u32 v57, v51, 24, 3
	s_delay_alu instid0(VALU_DEP_1) | instskip(NEXT) | instid1(VALU_DEP_1)
	v_clz_i32_u32_e32 v59, v57
	v_min_u32_e32 v59, 32, v59
	s_delay_alu instid0(VALU_DEP_1) | instskip(SKIP_1) | instid1(VALU_DEP_2)
	v_subrev_nc_u32_e32 v60, 28, v59
	v_sub_nc_u32_e32 v59, 29, v59
	v_lshlrev_b32_e32 v58, v60, v58
	v_bfe_u32 v60, v51, 27, 4
	v_and_b32_e32 v51, 0x80000000, v51
	s_delay_alu instid0(VALU_DEP_2) | instskip(NEXT) | instid1(VALU_DEP_4)
	v_cmp_eq_u32_e32 vcc_lo, 0, v60
	v_dual_cndmask_b32 v59, v60, v59 :: v_dual_and_b32 v58, 7, v58
	s_delay_alu instid0(VALU_DEP_1) | instskip(NEXT) | instid1(VALU_DEP_2)
	v_cndmask_b32_e32 v57, v57, v58, vcc_lo
	v_lshl_add_u32 v58, v59, 23, 0x3b800000
	s_delay_alu instid0(VALU_DEP_2) | instskip(NEXT) | instid1(VALU_DEP_1)
	v_lshlrev_b32_e32 v57, 20, v57
	v_or3_b32 v57, v51, v58, v57
.LBB6_3605:                             ;   in Loop: Header=BB6_3361 Depth=3
	s_or_b32 exec_lo, exec_lo, s16
	v_lshrrev_b32_e32 v51, 24, v39
	s_mov_b32 s13, 0
	s_mov_b32 s17, exec_lo
                                        ; implicit-def: $sgpr16
	s_delay_alu instid0(VALU_DEP_1)
	v_cmpx_lt_i16_e32 0x7f, v51
	s_xor_b32 s17, exec_lo, s17
	s_cbranch_execnz .LBB6_4507
; %bb.3606:                             ;   in Loop: Header=BB6_3361 Depth=3
	s_or_saveexec_b32 s17, s17
	v_mov_b32_e32 v58, s16
	s_xor_b32 exec_lo, exec_lo, s17
	s_cbranch_execnz .LBB6_4510
.LBB6_3607:                             ;   in Loop: Header=BB6_3361 Depth=3
	s_or_b32 exec_lo, exec_lo, s17
	s_and_saveexec_b32 s16, s13
	s_cbranch_execz .LBB6_3609
.LBB6_3608:                             ;   in Loop: Header=BB6_3361 Depth=3
	v_bfe_u32 v58, v39, 24, 3
	s_delay_alu instid0(VALU_DEP_1) | instskip(NEXT) | instid1(VALU_DEP_1)
	v_clz_i32_u32_e32 v59, v58
	v_min_u32_e32 v59, 32, v59
	s_delay_alu instid0(VALU_DEP_1) | instskip(SKIP_1) | instid1(VALU_DEP_2)
	v_subrev_nc_u32_e32 v60, 28, v59
	v_sub_nc_u32_e32 v59, 29, v59
	v_lshlrev_b32_e32 v51, v60, v51
	v_bfe_u32 v60, v39, 27, 4
	v_and_b32_e32 v39, 0x80000000, v39
	s_delay_alu instid0(VALU_DEP_3) | instskip(NEXT) | instid1(VALU_DEP_3)
	v_and_b32_e32 v51, 7, v51
	v_cmp_eq_u32_e32 vcc_lo, 0, v60
	v_cndmask_b32_e32 v59, v60, v59, vcc_lo
	s_delay_alu instid0(VALU_DEP_3) | instskip(NEXT) | instid1(VALU_DEP_2)
	v_cndmask_b32_e32 v51, v58, v51, vcc_lo
	v_lshl_add_u32 v58, v59, 23, 0x3b800000
	s_delay_alu instid0(VALU_DEP_2) | instskip(NEXT) | instid1(VALU_DEP_1)
	v_lshlrev_b32_e32 v51, 20, v51
	v_or3_b32 v58, v39, v58, v51
.LBB6_3609:                             ;   in Loop: Header=BB6_3361 Depth=3
	s_or_b32 exec_lo, exec_lo, s16
	s_delay_alu instid0(VALU_DEP_1) | instskip(NEXT) | instid1(VALU_DEP_1)
	v_add_f32_e32 v51, v57, v58
	v_and_b32_e32 v39, 0x7f800000, v51
	s_delay_alu instid0(VALU_DEP_1)
	v_cmp_ne_u32_e32 vcc_lo, 0x7f800000, v39
	v_mov_b32_e32 v39, 0x8000
	s_and_saveexec_b32 s16, vcc_lo
	s_cbranch_execz .LBB6_3617
; %bb.3610:                             ;   in Loop: Header=BB6_3361 Depth=3
	v_mov_b32_e32 v39, 0
	s_mov_b32 s17, exec_lo
	v_cmpx_ne_u32_e32 0, v51
	s_cbranch_execz .LBB6_3616
; %bb.3611:                             ;   in Loop: Header=BB6_3361 Depth=3
	v_bfe_u32 v39, v51, 23, 8
	s_delay_alu instid0(VALU_DEP_1) | instskip(SKIP_1) | instid1(VALU_DEP_2)
	v_sub_nc_u32_e32 v58, 0x78, v39
	v_cmp_gt_u32_e32 vcc_lo, 0x79, v39
	v_dual_cndmask_b32 v58, 0, v58 :: v_dual_and_b32 v57, 0x7fffff, v51
	s_delay_alu instid0(VALU_DEP_1) | instskip(SKIP_2) | instid1(VALU_DEP_4)
	v_or_b32_e32 v59, 0x800000, v57
	v_cmp_eq_u32_e32 vcc_lo, 0, v39
	v_add_nc_u32_e32 v39, 0xffffff89, v39
	v_cndmask_b32_e64 v58, v58, 0x77, vcc_lo
	s_delay_alu instid0(VALU_DEP_2) | instskip(SKIP_1) | instid1(VALU_DEP_3)
	v_cndmask_b32_e64 v39, v39, 0xffffff8a, vcc_lo
	v_cndmask_b32_e32 v57, v59, v57, vcc_lo
	v_lshl_add_u32 v59, 0x100000, v58, -1
	v_lshlrev_b32_e64 v62, v58, 0x80000
	s_delay_alu instid0(VALU_DEP_3) | instskip(SKIP_1) | instid1(VALU_DEP_4)
	v_lshrrev_b32_e32 v60, v58, v57
	v_add_nc_u32_e32 v58, v58, v39
	v_and_b32_e32 v57, v59, v57
	s_delay_alu instid0(VALU_DEP_3) | instskip(NEXT) | instid1(VALU_DEP_2)
	v_bfe_u32 v61, v60, 20, 1
	v_cmp_eq_u32_e64 s13, v57, v62
	s_delay_alu instid0(VALU_DEP_2) | instskip(NEXT) | instid1(VALU_DEP_1)
	v_add_nc_u32_e32 v59, -1, v61
	v_cndmask_b32_e64 v57, 0, v59, s13
	v_lshrrev_b32_e32 v59, 23, v60
	s_mov_b32 s13, exec_lo
	s_delay_alu instid0(VALU_DEP_2) | instskip(NEXT) | instid1(VALU_DEP_2)
	v_add_nc_u32_e32 v57, v57, v60
	v_xor_b32_e32 v59, 1, v59
	s_delay_alu instid0(VALU_DEP_2) | instskip(NEXT) | instid1(VALU_DEP_1)
	v_and_b32_e32 v39, 0xfffff, v57
	v_add_nc_u32_e32 v57, v39, v60
                                        ; implicit-def: $vgpr39
	s_delay_alu instid0(VALU_DEP_3)
	v_cmpx_ne_u32_e64 v58, v59
	s_xor_b32 s13, exec_lo, s13
; %bb.3612:                             ;   in Loop: Header=BB6_3361 Depth=3
	s_delay_alu instid0(VALU_DEP_2) | instskip(SKIP_2) | instid1(VALU_DEP_2)
	v_cmp_lt_u32_e32 vcc_lo, 0xffffff, v57
	v_sub_nc_u32_e32 v39, v58, v59
	v_cndmask_b32_e64 v58, 0, 1, vcc_lo
	v_add_co_ci_u32_e32 v39, vcc_lo, 0, v39, vcc_lo
	s_delay_alu instid0(VALU_DEP_2)
	v_lshrrev_b32_e32 v57, v58, v57
; %bb.3613:                             ;   in Loop: Header=BB6_3361 Depth=3
	s_and_not1_saveexec_b32 s13, s13
; %bb.3614:                             ;   in Loop: Header=BB6_3361 Depth=3
	s_delay_alu instid0(VALU_DEP_1)
	v_bfe_u32 v39, v57, 23, 1
; %bb.3615:                             ;   in Loop: Header=BB6_3361 Depth=3
	s_or_b32 exec_lo, exec_lo, s13
	v_lshrrev_b32_e32 v57, 20, v57
	s_delay_alu instid0(VALU_DEP_2) | instskip(SKIP_2) | instid1(VALU_DEP_2)
	v_cmp_gt_i32_e32 vcc_lo, 16, v39
	v_min_i32_e32 v58, 15, v39
	v_lshrrev_b32_e32 v51, 24, v51
	v_dual_cndmask_b32 v57, 7, v57 :: v_dual_lshlrev_b32 v58, 3, v58
	s_delay_alu instid0(VALU_DEP_2) | instskip(NEXT) | instid1(VALU_DEP_2)
	v_and_b32_e32 v51, 0x80, v51
	v_or_b32_e32 v39, v39, v57
	v_and_b32_e32 v59, 7, v57
	s_delay_alu instid0(VALU_DEP_2) | instskip(SKIP_1) | instid1(VALU_DEP_1)
	v_cmp_ne_u32_e32 vcc_lo, 0, v39
	v_and_b32_e32 v58, 0xf8, v58
	v_or3_b32 v51, v51, v58, v59
	s_delay_alu instid0(VALU_DEP_1) | instskip(NEXT) | instid1(VALU_DEP_1)
	v_lshlrev_b32_e32 v51, 8, v51
	v_cndmask_b32_e32 v39, 0, v51, vcc_lo
.LBB6_3616:                             ;   in Loop: Header=BB6_3361 Depth=3
	s_or_b32 exec_lo, exec_lo, s17
.LBB6_3617:                             ;   in Loop: Header=BB6_3361 Depth=3
	s_delay_alu instid0(SALU_CYCLE_1) | instskip(SKIP_3) | instid1(VALU_DEP_1)
	s_or_b32 exec_lo, exec_lo, s16
	v_and_b32_e32 v57, 0xff, v32
	s_mov_b32 s13, 0
	s_mov_b32 s17, exec_lo
                                        ; implicit-def: $sgpr16
	v_cmpx_lt_i16_e32 0x7f, v57
	s_xor_b32 s17, exec_lo, s17
	s_cbranch_execnz .LBB6_4511
; %bb.3618:                             ;   in Loop: Header=BB6_3361 Depth=3
	s_or_saveexec_b32 s17, s17
	v_mov_b32_e32 v51, s16
	s_xor_b32 exec_lo, exec_lo, s17
	s_cbranch_execnz .LBB6_4514
.LBB6_3619:                             ;   in Loop: Header=BB6_3361 Depth=3
	s_or_b32 exec_lo, exec_lo, s17
	s_and_saveexec_b32 s16, s13
	s_cbranch_execz .LBB6_3621
.LBB6_3620:                             ;   in Loop: Header=BB6_3361 Depth=3
	v_and_b32_e32 v51, 7, v32
	v_bfe_u32 v59, v32, 3, 4
	s_delay_alu instid0(VALU_DEP_2) | instskip(NEXT) | instid1(VALU_DEP_2)
	v_clz_i32_u32_e32 v57, v51
	v_cmp_eq_u32_e32 vcc_lo, 0, v59
	s_delay_alu instid0(VALU_DEP_2) | instskip(NEXT) | instid1(VALU_DEP_1)
	v_min_u32_e32 v57, 32, v57
	v_subrev_nc_u32_e32 v58, 28, v57
	v_sub_nc_u32_e32 v57, 29, v57
	s_delay_alu instid0(VALU_DEP_1) | instskip(NEXT) | instid1(VALU_DEP_1)
	v_dual_cndmask_b32 v57, v59, v57 :: v_dual_lshlrev_b32 v58, v58, v32
	v_and_b32_e32 v58, 7, v58
	v_lshlrev_b32_e32 v60, 24, v32
	s_delay_alu instid0(VALU_DEP_3) | instskip(NEXT) | instid1(VALU_DEP_2)
	v_lshl_add_u32 v57, v57, 23, 0x3b800000
	v_dual_cndmask_b32 v51, v51, v58 :: v_dual_and_b32 v58, 0x80000000, v60
	s_delay_alu instid0(VALU_DEP_1) | instskip(NEXT) | instid1(VALU_DEP_1)
	v_lshlrev_b32_e32 v51, 20, v51
	v_or3_b32 v51, v58, v57, v51
.LBB6_3621:                             ;   in Loop: Header=BB6_3361 Depth=3
	s_or_b32 exec_lo, exec_lo, s16
	s_waitcnt vmcnt(2)
	v_and_b32_e32 v58, 0xff, v24
	s_mov_b32 s13, 0
	s_mov_b32 s17, exec_lo
                                        ; implicit-def: $sgpr16
	s_delay_alu instid0(VALU_DEP_1)
	v_cmpx_lt_i16_e32 0x7f, v58
	s_xor_b32 s17, exec_lo, s17
	s_cbranch_execnz .LBB6_4515
; %bb.3622:                             ;   in Loop: Header=BB6_3361 Depth=3
	s_or_saveexec_b32 s17, s17
	v_mov_b32_e32 v57, s16
	s_xor_b32 exec_lo, exec_lo, s17
	s_cbranch_execnz .LBB6_4518
.LBB6_3623:                             ;   in Loop: Header=BB6_3361 Depth=3
	s_or_b32 exec_lo, exec_lo, s17
	s_and_saveexec_b32 s16, s13
	s_cbranch_execz .LBB6_3625
.LBB6_3624:                             ;   in Loop: Header=BB6_3361 Depth=3
	v_bfe_u32 v60, v24, 3, 4
	v_lshlrev_b32_e32 v61, 24, v24
	s_delay_alu instid0(VALU_DEP_2) | instskip(SKIP_1) | instid1(VALU_DEP_1)
	v_cmp_eq_u32_e32 vcc_lo, 0, v60
	v_and_b32_e32 v57, 7, v24
	v_clz_i32_u32_e32 v58, v57
	s_delay_alu instid0(VALU_DEP_1) | instskip(NEXT) | instid1(VALU_DEP_1)
	v_min_u32_e32 v58, 32, v58
	v_subrev_nc_u32_e32 v59, 28, v58
	v_sub_nc_u32_e32 v58, 29, v58
	s_delay_alu instid0(VALU_DEP_1) | instskip(NEXT) | instid1(VALU_DEP_1)
	v_dual_cndmask_b32 v58, v60, v58 :: v_dual_lshlrev_b32 v59, v59, v24
	v_and_b32_e32 v59, 7, v59
	s_delay_alu instid0(VALU_DEP_2) | instskip(NEXT) | instid1(VALU_DEP_2)
	v_lshl_add_u32 v58, v58, 23, 0x3b800000
	v_cndmask_b32_e32 v57, v57, v59, vcc_lo
	v_and_b32_e32 v59, 0x80000000, v61
	s_delay_alu instid0(VALU_DEP_2) | instskip(NEXT) | instid1(VALU_DEP_1)
	v_lshlrev_b32_e32 v57, 20, v57
	v_or3_b32 v57, v59, v58, v57
.LBB6_3625:                             ;   in Loop: Header=BB6_3361 Depth=3
	s_or_b32 exec_lo, exec_lo, s16
	s_delay_alu instid0(VALU_DEP_1) | instskip(NEXT) | instid1(VALU_DEP_1)
	v_add_f32_e32 v57, v51, v57
	v_and_b32_e32 v51, 0x7f800000, v57
	s_delay_alu instid0(VALU_DEP_1)
	v_cmp_ne_u32_e32 vcc_lo, 0x7f800000, v51
	v_mov_b32_e32 v51, 0x80
	s_and_saveexec_b32 s16, vcc_lo
	s_cbranch_execz .LBB6_3633
; %bb.3626:                             ;   in Loop: Header=BB6_3361 Depth=3
	v_mov_b32_e32 v51, 0
	s_mov_b32 s17, exec_lo
	v_cmpx_ne_u32_e32 0, v57
	s_cbranch_execz .LBB6_3632
; %bb.3627:                             ;   in Loop: Header=BB6_3361 Depth=3
	v_bfe_u32 v51, v57, 23, 8
	s_delay_alu instid0(VALU_DEP_1) | instskip(SKIP_1) | instid1(VALU_DEP_2)
	v_sub_nc_u32_e32 v59, 0x78, v51
	v_cmp_gt_u32_e32 vcc_lo, 0x79, v51
	v_dual_cndmask_b32 v59, 0, v59 :: v_dual_and_b32 v58, 0x7fffff, v57
	s_delay_alu instid0(VALU_DEP_1) | instskip(SKIP_2) | instid1(VALU_DEP_4)
	v_or_b32_e32 v60, 0x800000, v58
	v_cmp_eq_u32_e32 vcc_lo, 0, v51
	v_add_nc_u32_e32 v51, 0xffffff89, v51
	v_cndmask_b32_e64 v59, v59, 0x77, vcc_lo
	s_delay_alu instid0(VALU_DEP_4) | instskip(NEXT) | instid1(VALU_DEP_3)
	v_cndmask_b32_e32 v58, v60, v58, vcc_lo
	v_cndmask_b32_e64 v51, v51, 0xffffff8a, vcc_lo
	s_delay_alu instid0(VALU_DEP_3) | instskip(NEXT) | instid1(VALU_DEP_3)
	v_lshl_add_u32 v60, 0x100000, v59, -1
	v_lshrrev_b32_e32 v61, v59, v58
	v_lshlrev_b32_e64 v63, v59, 0x80000
	s_delay_alu instid0(VALU_DEP_4) | instskip(NEXT) | instid1(VALU_DEP_4)
	v_add_nc_u32_e32 v59, v59, v51
	v_and_b32_e32 v58, v60, v58
	s_delay_alu instid0(VALU_DEP_4) | instskip(NEXT) | instid1(VALU_DEP_2)
	v_bfe_u32 v62, v61, 20, 1
	v_cmp_eq_u32_e64 s13, v58, v63
	s_delay_alu instid0(VALU_DEP_2) | instskip(NEXT) | instid1(VALU_DEP_1)
	v_add_nc_u32_e32 v60, -1, v62
	v_cndmask_b32_e64 v58, 0, v60, s13
	v_lshrrev_b32_e32 v60, 23, v61
	s_mov_b32 s13, exec_lo
	s_delay_alu instid0(VALU_DEP_2) | instskip(NEXT) | instid1(VALU_DEP_2)
	v_add_nc_u32_e32 v58, v58, v61
	v_xor_b32_e32 v60, 1, v60
	s_delay_alu instid0(VALU_DEP_2) | instskip(NEXT) | instid1(VALU_DEP_1)
	v_and_b32_e32 v51, 0xfffff, v58
	v_add_nc_u32_e32 v58, v51, v61
                                        ; implicit-def: $vgpr51
	s_delay_alu instid0(VALU_DEP_3)
	v_cmpx_ne_u32_e64 v59, v60
	s_xor_b32 s13, exec_lo, s13
; %bb.3628:                             ;   in Loop: Header=BB6_3361 Depth=3
	s_delay_alu instid0(VALU_DEP_2) | instskip(SKIP_2) | instid1(VALU_DEP_2)
	v_cmp_lt_u32_e32 vcc_lo, 0xffffff, v58
	v_sub_nc_u32_e32 v51, v59, v60
	v_cndmask_b32_e64 v59, 0, 1, vcc_lo
	v_add_co_ci_u32_e32 v51, vcc_lo, 0, v51, vcc_lo
	s_delay_alu instid0(VALU_DEP_2)
	v_lshrrev_b32_e32 v58, v59, v58
; %bb.3629:                             ;   in Loop: Header=BB6_3361 Depth=3
	s_and_not1_saveexec_b32 s13, s13
; %bb.3630:                             ;   in Loop: Header=BB6_3361 Depth=3
	s_delay_alu instid0(VALU_DEP_1)
	v_bfe_u32 v51, v58, 23, 1
; %bb.3631:                             ;   in Loop: Header=BB6_3361 Depth=3
	s_or_b32 exec_lo, exec_lo, s13
	v_lshrrev_b32_e32 v58, 20, v58
	s_delay_alu instid0(VALU_DEP_2) | instskip(SKIP_2) | instid1(VALU_DEP_2)
	v_cmp_gt_i32_e32 vcc_lo, 16, v51
	v_lshrrev_b32_e32 v57, 24, v57
	v_min_i32_e32 v59, 15, v51
	v_dual_cndmask_b32 v58, 7, v58 :: v_dual_and_b32 v57, 0x80, v57
	s_delay_alu instid0(VALU_DEP_2) | instskip(NEXT) | instid1(VALU_DEP_2)
	v_lshlrev_b32_e32 v59, 3, v59
	v_or_b32_e32 v51, v51, v58
	s_delay_alu instid0(VALU_DEP_1) | instskip(SKIP_1) | instid1(VALU_DEP_1)
	v_cmp_ne_u32_e32 vcc_lo, 0, v51
	v_and_b32_e32 v60, 7, v58
	v_or3_b32 v57, v59, v57, v60
	s_delay_alu instid0(VALU_DEP_1)
	v_cndmask_b32_e32 v51, 0, v57, vcc_lo
.LBB6_3632:                             ;   in Loop: Header=BB6_3361 Depth=3
	s_or_b32 exec_lo, exec_lo, s17
.LBB6_3633:                             ;   in Loop: Header=BB6_3361 Depth=3
	s_delay_alu instid0(SALU_CYCLE_1) | instskip(SKIP_3) | instid1(VALU_DEP_1)
	s_or_b32 exec_lo, exec_lo, s16
	v_lshrrev_b16 v58, 8, v32
	s_mov_b32 s13, 0
	s_mov_b32 s17, exec_lo
                                        ; implicit-def: $sgpr16
	v_cmpx_lt_i16_e32 0x7f, v58
	s_xor_b32 s17, exec_lo, s17
	s_cbranch_execnz .LBB6_4519
; %bb.3634:                             ;   in Loop: Header=BB6_3361 Depth=3
	s_or_saveexec_b32 s17, s17
	v_mov_b32_e32 v57, s16
	s_xor_b32 exec_lo, exec_lo, s17
	s_cbranch_execnz .LBB6_4522
.LBB6_3635:                             ;   in Loop: Header=BB6_3361 Depth=3
	s_or_b32 exec_lo, exec_lo, s17
	s_and_saveexec_b32 s16, s13
	s_cbranch_execz .LBB6_3637
.LBB6_3636:                             ;   in Loop: Header=BB6_3361 Depth=3
	v_and_b32_e32 v57, 0xffff, v58
	s_delay_alu instid0(VALU_DEP_1) | instskip(NEXT) | instid1(VALU_DEP_1)
	v_and_b32_e32 v59, 7, v57
	v_clz_i32_u32_e32 v60, v59
	s_delay_alu instid0(VALU_DEP_1) | instskip(NEXT) | instid1(VALU_DEP_1)
	v_min_u32_e32 v60, 32, v60
	v_subrev_nc_u32_e32 v61, 28, v60
	v_sub_nc_u32_e32 v60, 29, v60
	s_delay_alu instid0(VALU_DEP_2) | instskip(SKIP_1) | instid1(VALU_DEP_2)
	v_lshlrev_b32_e32 v61, v61, v57
	v_bfe_u32 v57, v57, 3, 4
	v_and_b32_e32 v61, 7, v61
	s_delay_alu instid0(VALU_DEP_2) | instskip(SKIP_1) | instid1(VALU_DEP_1)
	v_cmp_eq_u32_e32 vcc_lo, 0, v57
	v_dual_cndmask_b32 v57, v57, v60 :: v_dual_lshlrev_b32 v58, 24, v58
	v_dual_cndmask_b32 v59, v59, v61 :: v_dual_and_b32 v58, 0x80000000, v58
	s_delay_alu instid0(VALU_DEP_2) | instskip(NEXT) | instid1(VALU_DEP_2)
	v_lshl_add_u32 v57, v57, 23, 0x3b800000
	v_lshlrev_b32_e32 v59, 20, v59
	s_delay_alu instid0(VALU_DEP_1)
	v_or3_b32 v57, v58, v57, v59
.LBB6_3637:                             ;   in Loop: Header=BB6_3361 Depth=3
	s_or_b32 exec_lo, exec_lo, s16
	v_lshrrev_b16 v58, 8, v24
	s_mov_b32 s13, 0
	s_mov_b32 s17, exec_lo
                                        ; implicit-def: $sgpr16
	s_delay_alu instid0(VALU_DEP_1)
	v_cmpx_lt_i16_e32 0x7f, v58
	s_xor_b32 s17, exec_lo, s17
	s_cbranch_execnz .LBB6_4523
; %bb.3638:                             ;   in Loop: Header=BB6_3361 Depth=3
	s_or_saveexec_b32 s17, s17
	v_mov_b32_e32 v59, s16
	s_xor_b32 exec_lo, exec_lo, s17
	s_cbranch_execnz .LBB6_4526
.LBB6_3639:                             ;   in Loop: Header=BB6_3361 Depth=3
	s_or_b32 exec_lo, exec_lo, s17
	s_and_saveexec_b32 s16, s13
	s_cbranch_execz .LBB6_3641
.LBB6_3640:                             ;   in Loop: Header=BB6_3361 Depth=3
	v_and_b32_e32 v59, 0xffff, v58
	v_lshlrev_b32_e32 v58, 24, v58
	s_delay_alu instid0(VALU_DEP_2) | instskip(NEXT) | instid1(VALU_DEP_2)
	v_and_b32_e32 v60, 7, v59
	v_and_b32_e32 v58, 0x80000000, v58
	s_delay_alu instid0(VALU_DEP_2) | instskip(NEXT) | instid1(VALU_DEP_1)
	v_clz_i32_u32_e32 v61, v60
	v_min_u32_e32 v61, 32, v61
	s_delay_alu instid0(VALU_DEP_1) | instskip(SKIP_1) | instid1(VALU_DEP_2)
	v_subrev_nc_u32_e32 v62, 28, v61
	v_sub_nc_u32_e32 v61, 29, v61
	v_lshlrev_b32_e32 v62, v62, v59
	v_bfe_u32 v59, v59, 3, 4
	s_delay_alu instid0(VALU_DEP_2) | instskip(NEXT) | instid1(VALU_DEP_2)
	v_and_b32_e32 v62, 7, v62
	v_cmp_eq_u32_e32 vcc_lo, 0, v59
	s_delay_alu instid0(VALU_DEP_2) | instskip(NEXT) | instid1(VALU_DEP_1)
	v_dual_cndmask_b32 v59, v59, v61 :: v_dual_cndmask_b32 v60, v60, v62
	v_lshl_add_u32 v59, v59, 23, 0x3b800000
	s_delay_alu instid0(VALU_DEP_2) | instskip(NEXT) | instid1(VALU_DEP_1)
	v_lshlrev_b32_e32 v60, 20, v60
	v_or3_b32 v59, v58, v59, v60
.LBB6_3641:                             ;   in Loop: Header=BB6_3361 Depth=3
	s_or_b32 exec_lo, exec_lo, s16
	s_delay_alu instid0(VALU_DEP_1) | instskip(NEXT) | instid1(VALU_DEP_1)
	v_add_f32_e32 v58, v57, v59
	v_and_b32_e32 v57, 0x7f800000, v58
	s_delay_alu instid0(VALU_DEP_1)
	v_cmp_ne_u32_e32 vcc_lo, 0x7f800000, v57
	v_mov_b32_e32 v57, 0x80
	s_and_saveexec_b32 s16, vcc_lo
	s_cbranch_execz .LBB6_3649
; %bb.3642:                             ;   in Loop: Header=BB6_3361 Depth=3
	v_mov_b32_e32 v57, 0
	s_mov_b32 s17, exec_lo
	v_cmpx_ne_u32_e32 0, v58
	s_cbranch_execz .LBB6_3648
; %bb.3643:                             ;   in Loop: Header=BB6_3361 Depth=3
	v_bfe_u32 v57, v58, 23, 8
	s_delay_alu instid0(VALU_DEP_1) | instskip(SKIP_1) | instid1(VALU_DEP_2)
	v_sub_nc_u32_e32 v60, 0x78, v57
	v_cmp_gt_u32_e32 vcc_lo, 0x79, v57
	v_dual_cndmask_b32 v60, 0, v60 :: v_dual_and_b32 v59, 0x7fffff, v58
	s_delay_alu instid0(VALU_DEP_1) | instskip(SKIP_2) | instid1(VALU_DEP_4)
	v_or_b32_e32 v61, 0x800000, v59
	v_cmp_eq_u32_e32 vcc_lo, 0, v57
	v_add_nc_u32_e32 v57, 0xffffff89, v57
	v_cndmask_b32_e64 v60, v60, 0x77, vcc_lo
	s_delay_alu instid0(VALU_DEP_2) | instskip(SKIP_1) | instid1(VALU_DEP_3)
	v_cndmask_b32_e64 v57, v57, 0xffffff8a, vcc_lo
	v_cndmask_b32_e32 v59, v61, v59, vcc_lo
	v_lshl_add_u32 v61, 0x100000, v60, -1
	v_lshlrev_b32_e64 v72, v60, 0x80000
	s_delay_alu instid0(VALU_DEP_3) | instskip(SKIP_1) | instid1(VALU_DEP_4)
	v_lshrrev_b32_e32 v62, v60, v59
	v_add_nc_u32_e32 v60, v60, v57
	v_and_b32_e32 v59, v61, v59
	s_delay_alu instid0(VALU_DEP_3) | instskip(NEXT) | instid1(VALU_DEP_2)
	v_bfe_u32 v63, v62, 20, 1
	v_cmp_eq_u32_e64 s13, v59, v72
	s_delay_alu instid0(VALU_DEP_2) | instskip(NEXT) | instid1(VALU_DEP_1)
	v_add_nc_u32_e32 v61, -1, v63
	v_cndmask_b32_e64 v59, 0, v61, s13
	v_lshrrev_b32_e32 v61, 23, v62
	s_mov_b32 s13, exec_lo
	s_delay_alu instid0(VALU_DEP_2) | instskip(NEXT) | instid1(VALU_DEP_2)
	v_add_nc_u32_e32 v59, v59, v62
	v_xor_b32_e32 v61, 1, v61
	s_delay_alu instid0(VALU_DEP_2) | instskip(NEXT) | instid1(VALU_DEP_1)
	v_and_b32_e32 v57, 0xfffff, v59
	v_add_nc_u32_e32 v59, v57, v62
                                        ; implicit-def: $vgpr57
	s_delay_alu instid0(VALU_DEP_3)
	v_cmpx_ne_u32_e64 v60, v61
	s_xor_b32 s13, exec_lo, s13
; %bb.3644:                             ;   in Loop: Header=BB6_3361 Depth=3
	s_delay_alu instid0(VALU_DEP_2) | instskip(SKIP_2) | instid1(VALU_DEP_2)
	v_cmp_lt_u32_e32 vcc_lo, 0xffffff, v59
	v_sub_nc_u32_e32 v57, v60, v61
	v_cndmask_b32_e64 v60, 0, 1, vcc_lo
	v_add_co_ci_u32_e32 v57, vcc_lo, 0, v57, vcc_lo
	s_delay_alu instid0(VALU_DEP_2)
	v_lshrrev_b32_e32 v59, v60, v59
; %bb.3645:                             ;   in Loop: Header=BB6_3361 Depth=3
	s_and_not1_saveexec_b32 s13, s13
; %bb.3646:                             ;   in Loop: Header=BB6_3361 Depth=3
	s_delay_alu instid0(VALU_DEP_1)
	v_bfe_u32 v57, v59, 23, 1
; %bb.3647:                             ;   in Loop: Header=BB6_3361 Depth=3
	s_or_b32 exec_lo, exec_lo, s13
	v_lshrrev_b32_e32 v59, 20, v59
	s_delay_alu instid0(VALU_DEP_2) | instskip(SKIP_2) | instid1(VALU_DEP_2)
	v_cmp_gt_i32_e32 vcc_lo, 16, v57
	v_lshrrev_b32_e32 v58, 24, v58
	v_min_i32_e32 v60, 15, v57
	v_dual_cndmask_b32 v59, 7, v59 :: v_dual_and_b32 v58, 0x80, v58
	s_delay_alu instid0(VALU_DEP_1) | instskip(SKIP_1) | instid1(VALU_DEP_2)
	v_or_b32_e32 v57, v57, v59
	v_and_b32_e32 v61, 7, v59
	v_cmp_ne_u32_e32 vcc_lo, 0, v57
	v_lshlrev_b32_e32 v60, 3, v60
	s_delay_alu instid0(VALU_DEP_1) | instskip(NEXT) | instid1(VALU_DEP_1)
	v_or3_b32 v58, v60, v58, v61
	v_cndmask_b32_e32 v57, 0, v58, vcc_lo
.LBB6_3648:                             ;   in Loop: Header=BB6_3361 Depth=3
	s_or_b32 exec_lo, exec_lo, s17
.LBB6_3649:                             ;   in Loop: Header=BB6_3361 Depth=3
	s_delay_alu instid0(SALU_CYCLE_1) | instskip(SKIP_3) | instid1(VALU_DEP_1)
	s_or_b32 exec_lo, exec_lo, s16
	v_lshrrev_b32_e32 v59, 16, v32
	s_mov_b32 s13, 0
	s_mov_b32 s17, exec_lo
                                        ; implicit-def: $sgpr16
	v_and_b32_e32 v60, 0xff, v59
	s_delay_alu instid0(VALU_DEP_1)
	v_cmpx_lt_i16_e32 0x7f, v60
	s_xor_b32 s17, exec_lo, s17
	s_cbranch_execnz .LBB6_4527
; %bb.3650:                             ;   in Loop: Header=BB6_3361 Depth=3
	s_or_saveexec_b32 s17, s17
	v_mov_b32_e32 v58, s16
	s_xor_b32 exec_lo, exec_lo, s17
	s_cbranch_execnz .LBB6_4530
.LBB6_3651:                             ;   in Loop: Header=BB6_3361 Depth=3
	s_or_b32 exec_lo, exec_lo, s17
	s_and_saveexec_b32 s16, s13
	s_cbranch_execz .LBB6_3653
.LBB6_3652:                             ;   in Loop: Header=BB6_3361 Depth=3
	v_bfe_u32 v58, v32, 16, 3
	v_lshlrev_b32_e32 v62, 8, v32
	s_delay_alu instid0(VALU_DEP_2) | instskip(NEXT) | instid1(VALU_DEP_1)
	v_clz_i32_u32_e32 v60, v58
	v_min_u32_e32 v60, 32, v60
	s_delay_alu instid0(VALU_DEP_1) | instskip(SKIP_1) | instid1(VALU_DEP_2)
	v_subrev_nc_u32_e32 v61, 28, v60
	v_sub_nc_u32_e32 v60, 29, v60
	v_lshlrev_b32_e32 v59, v61, v59
	v_bfe_u32 v61, v32, 19, 4
	s_delay_alu instid0(VALU_DEP_1) | instskip(NEXT) | instid1(VALU_DEP_3)
	v_cmp_eq_u32_e32 vcc_lo, 0, v61
	v_dual_cndmask_b32 v60, v61, v60 :: v_dual_and_b32 v59, 7, v59
	s_delay_alu instid0(VALU_DEP_1) | instskip(NEXT) | instid1(VALU_DEP_2)
	v_dual_cndmask_b32 v58, v58, v59 :: v_dual_and_b32 v59, 0x80000000, v62
	v_lshl_add_u32 v60, v60, 23, 0x3b800000
	s_delay_alu instid0(VALU_DEP_2) | instskip(NEXT) | instid1(VALU_DEP_1)
	v_lshlrev_b32_e32 v58, 20, v58
	v_or3_b32 v58, v59, v60, v58
.LBB6_3653:                             ;   in Loop: Header=BB6_3361 Depth=3
	s_or_b32 exec_lo, exec_lo, s16
	v_lshrrev_b32_e32 v59, 16, v24
	s_mov_b32 s13, 0
	s_mov_b32 s17, exec_lo
                                        ; implicit-def: $sgpr16
	s_delay_alu instid0(VALU_DEP_1) | instskip(NEXT) | instid1(VALU_DEP_1)
	v_and_b32_e32 v61, 0xff, v59
	v_cmpx_lt_i16_e32 0x7f, v61
	s_xor_b32 s17, exec_lo, s17
	s_cbranch_execnz .LBB6_4531
; %bb.3654:                             ;   in Loop: Header=BB6_3361 Depth=3
	s_or_saveexec_b32 s17, s17
	v_mov_b32_e32 v60, s16
	s_xor_b32 exec_lo, exec_lo, s17
	s_cbranch_execnz .LBB6_4534
.LBB6_3655:                             ;   in Loop: Header=BB6_3361 Depth=3
	s_or_b32 exec_lo, exec_lo, s17
	s_and_saveexec_b32 s16, s13
	s_cbranch_execz .LBB6_3657
.LBB6_3656:                             ;   in Loop: Header=BB6_3361 Depth=3
	v_bfe_u32 v60, v24, 16, 3
	v_lshlrev_b32_e32 v63, 8, v24
	s_delay_alu instid0(VALU_DEP_2) | instskip(NEXT) | instid1(VALU_DEP_1)
	v_clz_i32_u32_e32 v61, v60
	v_min_u32_e32 v61, 32, v61
	s_delay_alu instid0(VALU_DEP_1) | instskip(SKIP_1) | instid1(VALU_DEP_2)
	v_subrev_nc_u32_e32 v62, 28, v61
	v_sub_nc_u32_e32 v61, 29, v61
	v_lshlrev_b32_e32 v59, v62, v59
	v_bfe_u32 v62, v24, 19, 4
	s_delay_alu instid0(VALU_DEP_2) | instskip(NEXT) | instid1(VALU_DEP_2)
	v_and_b32_e32 v59, 7, v59
	v_cmp_eq_u32_e32 vcc_lo, 0, v62
	v_cndmask_b32_e32 v61, v62, v61, vcc_lo
	s_delay_alu instid0(VALU_DEP_3) | instskip(SKIP_1) | instid1(VALU_DEP_3)
	v_cndmask_b32_e32 v59, v60, v59, vcc_lo
	v_and_b32_e32 v60, 0x80000000, v63
	v_lshl_add_u32 v61, v61, 23, 0x3b800000
	s_delay_alu instid0(VALU_DEP_3) | instskip(NEXT) | instid1(VALU_DEP_1)
	v_lshlrev_b32_e32 v59, 20, v59
	v_or3_b32 v60, v60, v61, v59
.LBB6_3657:                             ;   in Loop: Header=BB6_3361 Depth=3
	s_or_b32 exec_lo, exec_lo, s16
	s_delay_alu instid0(VALU_DEP_1) | instskip(NEXT) | instid1(VALU_DEP_1)
	v_add_f32_e32 v59, v58, v60
	v_and_b32_e32 v58, 0x7f800000, v59
	s_delay_alu instid0(VALU_DEP_1)
	v_cmp_ne_u32_e32 vcc_lo, 0x7f800000, v58
	v_mov_b32_e32 v58, 0x80
	s_and_saveexec_b32 s16, vcc_lo
	s_cbranch_execz .LBB6_3665
; %bb.3658:                             ;   in Loop: Header=BB6_3361 Depth=3
	v_mov_b32_e32 v58, 0
	s_mov_b32 s17, exec_lo
	v_cmpx_ne_u32_e32 0, v59
	s_cbranch_execz .LBB6_3664
; %bb.3659:                             ;   in Loop: Header=BB6_3361 Depth=3
	v_bfe_u32 v58, v59, 23, 8
	s_delay_alu instid0(VALU_DEP_1) | instskip(SKIP_1) | instid1(VALU_DEP_2)
	v_sub_nc_u32_e32 v61, 0x78, v58
	v_cmp_gt_u32_e32 vcc_lo, 0x79, v58
	v_dual_cndmask_b32 v61, 0, v61 :: v_dual_and_b32 v60, 0x7fffff, v59
	s_delay_alu instid0(VALU_DEP_1) | instskip(SKIP_2) | instid1(VALU_DEP_4)
	v_or_b32_e32 v62, 0x800000, v60
	v_cmp_eq_u32_e32 vcc_lo, 0, v58
	v_add_nc_u32_e32 v58, 0xffffff89, v58
	v_cndmask_b32_e64 v61, v61, 0x77, vcc_lo
	s_delay_alu instid0(VALU_DEP_2) | instskip(SKIP_1) | instid1(VALU_DEP_3)
	v_cndmask_b32_e64 v58, v58, 0xffffff8a, vcc_lo
	v_cndmask_b32_e32 v60, v62, v60, vcc_lo
	v_lshl_add_u32 v62, 0x100000, v61, -1
	v_lshlrev_b32_e64 v73, v61, 0x80000
	s_delay_alu instid0(VALU_DEP_3) | instskip(SKIP_1) | instid1(VALU_DEP_4)
	v_lshrrev_b32_e32 v63, v61, v60
	v_add_nc_u32_e32 v61, v61, v58
	v_and_b32_e32 v60, v62, v60
	s_delay_alu instid0(VALU_DEP_3) | instskip(NEXT) | instid1(VALU_DEP_2)
	v_bfe_u32 v72, v63, 20, 1
	v_cmp_eq_u32_e64 s13, v60, v73
	s_delay_alu instid0(VALU_DEP_2) | instskip(NEXT) | instid1(VALU_DEP_1)
	v_add_nc_u32_e32 v62, -1, v72
	v_cndmask_b32_e64 v60, 0, v62, s13
	v_lshrrev_b32_e32 v62, 23, v63
	s_mov_b32 s13, exec_lo
	s_delay_alu instid0(VALU_DEP_2) | instskip(NEXT) | instid1(VALU_DEP_2)
	v_add_nc_u32_e32 v60, v60, v63
	v_xor_b32_e32 v62, 1, v62
	s_delay_alu instid0(VALU_DEP_2) | instskip(NEXT) | instid1(VALU_DEP_1)
	v_and_b32_e32 v58, 0xfffff, v60
	v_add_nc_u32_e32 v60, v58, v63
                                        ; implicit-def: $vgpr58
	s_delay_alu instid0(VALU_DEP_3)
	v_cmpx_ne_u32_e64 v61, v62
	s_xor_b32 s13, exec_lo, s13
; %bb.3660:                             ;   in Loop: Header=BB6_3361 Depth=3
	s_delay_alu instid0(VALU_DEP_2) | instskip(SKIP_2) | instid1(VALU_DEP_2)
	v_cmp_lt_u32_e32 vcc_lo, 0xffffff, v60
	v_sub_nc_u32_e32 v58, v61, v62
	v_cndmask_b32_e64 v61, 0, 1, vcc_lo
	v_add_co_ci_u32_e32 v58, vcc_lo, 0, v58, vcc_lo
	s_delay_alu instid0(VALU_DEP_2)
	v_lshrrev_b32_e32 v60, v61, v60
; %bb.3661:                             ;   in Loop: Header=BB6_3361 Depth=3
	s_and_not1_saveexec_b32 s13, s13
; %bb.3662:                             ;   in Loop: Header=BB6_3361 Depth=3
	s_delay_alu instid0(VALU_DEP_1)
	v_bfe_u32 v58, v60, 23, 1
; %bb.3663:                             ;   in Loop: Header=BB6_3361 Depth=3
	s_or_b32 exec_lo, exec_lo, s13
	v_lshrrev_b32_e32 v60, 20, v60
	s_delay_alu instid0(VALU_DEP_2) | instskip(SKIP_2) | instid1(VALU_DEP_2)
	v_cmp_gt_i32_e32 vcc_lo, 16, v58
	v_lshrrev_b32_e32 v59, 24, v59
	v_min_i32_e32 v61, 15, v58
	v_dual_cndmask_b32 v60, 7, v60 :: v_dual_and_b32 v59, 0x80, v59
	s_delay_alu instid0(VALU_DEP_1) | instskip(SKIP_1) | instid1(VALU_DEP_2)
	v_or_b32_e32 v58, v58, v60
	v_and_b32_e32 v62, 7, v60
	v_cmp_ne_u32_e32 vcc_lo, 0, v58
	v_lshlrev_b32_e32 v61, 3, v61
	s_delay_alu instid0(VALU_DEP_1) | instskip(NEXT) | instid1(VALU_DEP_1)
	v_or3_b32 v59, v61, v59, v62
	v_cndmask_b32_e32 v58, 0, v59, vcc_lo
.LBB6_3664:                             ;   in Loop: Header=BB6_3361 Depth=3
	s_or_b32 exec_lo, exec_lo, s17
.LBB6_3665:                             ;   in Loop: Header=BB6_3361 Depth=3
	s_delay_alu instid0(SALU_CYCLE_1) | instskip(SKIP_3) | instid1(VALU_DEP_1)
	s_or_b32 exec_lo, exec_lo, s16
	v_lshrrev_b32_e32 v60, 24, v32
	s_mov_b32 s13, 0
	s_mov_b32 s17, exec_lo
                                        ; implicit-def: $sgpr16
	v_cmpx_lt_i16_e32 0x7f, v60
	s_xor_b32 s17, exec_lo, s17
	s_cbranch_execnz .LBB6_4535
; %bb.3666:                             ;   in Loop: Header=BB6_3361 Depth=3
	s_or_saveexec_b32 s17, s17
	v_mov_b32_e32 v59, s16
	s_xor_b32 exec_lo, exec_lo, s17
	s_cbranch_execnz .LBB6_4538
.LBB6_3667:                             ;   in Loop: Header=BB6_3361 Depth=3
	s_or_b32 exec_lo, exec_lo, s17
	s_and_saveexec_b32 s16, s13
	s_cbranch_execz .LBB6_3669
.LBB6_3668:                             ;   in Loop: Header=BB6_3361 Depth=3
	v_bfe_u32 v59, v32, 24, 3
	s_delay_alu instid0(VALU_DEP_1) | instskip(NEXT) | instid1(VALU_DEP_1)
	v_clz_i32_u32_e32 v61, v59
	v_min_u32_e32 v61, 32, v61
	s_delay_alu instid0(VALU_DEP_1) | instskip(SKIP_1) | instid1(VALU_DEP_2)
	v_subrev_nc_u32_e32 v62, 28, v61
	v_sub_nc_u32_e32 v61, 29, v61
	v_lshlrev_b32_e32 v60, v62, v60
	v_bfe_u32 v62, v32, 27, 4
	v_and_b32_e32 v32, 0x80000000, v32
	s_delay_alu instid0(VALU_DEP_2) | instskip(NEXT) | instid1(VALU_DEP_4)
	v_cmp_eq_u32_e32 vcc_lo, 0, v62
	v_dual_cndmask_b32 v61, v62, v61 :: v_dual_and_b32 v60, 7, v60
	s_delay_alu instid0(VALU_DEP_1) | instskip(NEXT) | instid1(VALU_DEP_2)
	v_cndmask_b32_e32 v59, v59, v60, vcc_lo
	v_lshl_add_u32 v60, v61, 23, 0x3b800000
	s_delay_alu instid0(VALU_DEP_2) | instskip(NEXT) | instid1(VALU_DEP_1)
	v_lshlrev_b32_e32 v59, 20, v59
	v_or3_b32 v59, v32, v60, v59
.LBB6_3669:                             ;   in Loop: Header=BB6_3361 Depth=3
	s_or_b32 exec_lo, exec_lo, s16
	v_lshrrev_b32_e32 v32, 24, v24
	s_mov_b32 s13, 0
	s_mov_b32 s17, exec_lo
                                        ; implicit-def: $sgpr16
	s_delay_alu instid0(VALU_DEP_1)
	v_cmpx_lt_i16_e32 0x7f, v32
	s_xor_b32 s17, exec_lo, s17
	s_cbranch_execnz .LBB6_4539
; %bb.3670:                             ;   in Loop: Header=BB6_3361 Depth=3
	s_or_saveexec_b32 s17, s17
	v_mov_b32_e32 v60, s16
	s_xor_b32 exec_lo, exec_lo, s17
	s_cbranch_execnz .LBB6_4542
.LBB6_3671:                             ;   in Loop: Header=BB6_3361 Depth=3
	s_or_b32 exec_lo, exec_lo, s17
	s_and_saveexec_b32 s16, s13
	s_cbranch_execz .LBB6_3673
.LBB6_3672:                             ;   in Loop: Header=BB6_3361 Depth=3
	v_bfe_u32 v60, v24, 24, 3
	s_delay_alu instid0(VALU_DEP_1) | instskip(NEXT) | instid1(VALU_DEP_1)
	v_clz_i32_u32_e32 v61, v60
	v_min_u32_e32 v61, 32, v61
	s_delay_alu instid0(VALU_DEP_1) | instskip(SKIP_1) | instid1(VALU_DEP_2)
	v_subrev_nc_u32_e32 v62, 28, v61
	v_sub_nc_u32_e32 v61, 29, v61
	v_lshlrev_b32_e32 v32, v62, v32
	v_bfe_u32 v62, v24, 27, 4
	v_and_b32_e32 v24, 0x80000000, v24
	s_delay_alu instid0(VALU_DEP_2) | instskip(NEXT) | instid1(VALU_DEP_4)
	v_cmp_eq_u32_e32 vcc_lo, 0, v62
	v_dual_cndmask_b32 v61, v62, v61 :: v_dual_and_b32 v32, 7, v32
	s_delay_alu instid0(VALU_DEP_1) | instskip(NEXT) | instid1(VALU_DEP_2)
	v_cndmask_b32_e32 v32, v60, v32, vcc_lo
	v_lshl_add_u32 v60, v61, 23, 0x3b800000
	s_delay_alu instid0(VALU_DEP_2) | instskip(NEXT) | instid1(VALU_DEP_1)
	v_lshlrev_b32_e32 v32, 20, v32
	v_or3_b32 v60, v24, v60, v32
.LBB6_3673:                             ;   in Loop: Header=BB6_3361 Depth=3
	s_or_b32 exec_lo, exec_lo, s16
	s_delay_alu instid0(VALU_DEP_1) | instskip(NEXT) | instid1(VALU_DEP_1)
	v_add_f32_e32 v32, v59, v60
	v_and_b32_e32 v24, 0x7f800000, v32
	s_delay_alu instid0(VALU_DEP_1)
	v_cmp_ne_u32_e32 vcc_lo, 0x7f800000, v24
	v_mov_b32_e32 v24, 0x80
	s_and_saveexec_b32 s16, vcc_lo
	s_cbranch_execz .LBB6_3681
; %bb.3674:                             ;   in Loop: Header=BB6_3361 Depth=3
	v_mov_b32_e32 v24, 0
	s_mov_b32 s17, exec_lo
	v_cmpx_ne_u32_e32 0, v32
	s_cbranch_execz .LBB6_3680
; %bb.3675:                             ;   in Loop: Header=BB6_3361 Depth=3
	v_bfe_u32 v24, v32, 23, 8
	v_and_b32_e32 v59, 0x7fffff, v32
	s_delay_alu instid0(VALU_DEP_2) | instskip(SKIP_1) | instid1(VALU_DEP_3)
	v_sub_nc_u32_e32 v60, 0x78, v24
	v_cmp_gt_u32_e32 vcc_lo, 0x79, v24
	v_or_b32_e32 v61, 0x800000, v59
	s_delay_alu instid0(VALU_DEP_3) | instskip(SKIP_1) | instid1(VALU_DEP_3)
	v_cndmask_b32_e32 v60, 0, v60, vcc_lo
	v_cmp_eq_u32_e32 vcc_lo, 0, v24
	v_dual_cndmask_b32 v59, v61, v59 :: v_dual_add_nc_u32 v24, 0xffffff89, v24
	s_delay_alu instid0(VALU_DEP_3) | instskip(NEXT) | instid1(VALU_DEP_2)
	v_cndmask_b32_e64 v60, v60, 0x77, vcc_lo
	v_cndmask_b32_e64 v24, v24, 0xffffff8a, vcc_lo
	s_delay_alu instid0(VALU_DEP_2) | instskip(SKIP_2) | instid1(VALU_DEP_4)
	v_lshrrev_b32_e32 v62, v60, v59
	v_lshl_add_u32 v61, 0x100000, v60, -1
	v_lshlrev_b32_e64 v72, v60, 0x80000
	v_add_nc_u32_e32 v60, v60, v24
	s_delay_alu instid0(VALU_DEP_4) | instskip(NEXT) | instid1(VALU_DEP_4)
	v_bfe_u32 v63, v62, 20, 1
	v_and_b32_e32 v59, v61, v59
	s_delay_alu instid0(VALU_DEP_2) | instskip(NEXT) | instid1(VALU_DEP_2)
	v_add_nc_u32_e32 v61, -1, v63
	v_cmp_eq_u32_e64 s13, v59, v72
	s_delay_alu instid0(VALU_DEP_1) | instskip(SKIP_2) | instid1(VALU_DEP_2)
	v_cndmask_b32_e64 v59, 0, v61, s13
	v_lshrrev_b32_e32 v61, 23, v62
	s_mov_b32 s13, exec_lo
	v_add_nc_u32_e32 v59, v59, v62
	s_delay_alu instid0(VALU_DEP_2) | instskip(NEXT) | instid1(VALU_DEP_2)
	v_xor_b32_e32 v61, 1, v61
	v_and_b32_e32 v24, 0xfffff, v59
	s_delay_alu instid0(VALU_DEP_1) | instskip(NEXT) | instid1(VALU_DEP_3)
	v_add_nc_u32_e32 v59, v24, v62
                                        ; implicit-def: $vgpr24
	v_cmpx_ne_u32_e64 v60, v61
	s_xor_b32 s13, exec_lo, s13
; %bb.3676:                             ;   in Loop: Header=BB6_3361 Depth=3
	s_delay_alu instid0(VALU_DEP_2) | instskip(SKIP_2) | instid1(VALU_DEP_2)
	v_cmp_lt_u32_e32 vcc_lo, 0xffffff, v59
	v_sub_nc_u32_e32 v24, v60, v61
	v_cndmask_b32_e64 v60, 0, 1, vcc_lo
	v_add_co_ci_u32_e32 v24, vcc_lo, 0, v24, vcc_lo
	s_delay_alu instid0(VALU_DEP_2)
	v_lshrrev_b32_e32 v59, v60, v59
; %bb.3677:                             ;   in Loop: Header=BB6_3361 Depth=3
	s_and_not1_saveexec_b32 s13, s13
; %bb.3678:                             ;   in Loop: Header=BB6_3361 Depth=3
	s_delay_alu instid0(VALU_DEP_1)
	v_bfe_u32 v24, v59, 23, 1
; %bb.3679:                             ;   in Loop: Header=BB6_3361 Depth=3
	s_or_b32 exec_lo, exec_lo, s13
	v_lshrrev_b32_e32 v59, 20, v59
	s_delay_alu instid0(VALU_DEP_2) | instskip(SKIP_2) | instid1(VALU_DEP_2)
	v_cmp_gt_i32_e32 vcc_lo, 16, v24
	v_lshrrev_b32_e32 v32, 24, v32
	v_min_i32_e32 v60, 15, v24
	v_dual_cndmask_b32 v59, 7, v59 :: v_dual_and_b32 v32, 0x80, v32
	s_delay_alu instid0(VALU_DEP_2) | instskip(NEXT) | instid1(VALU_DEP_2)
	v_lshlrev_b32_e32 v60, 3, v60
	v_or_b32_e32 v24, v24, v59
	s_delay_alu instid0(VALU_DEP_1) | instskip(SKIP_1) | instid1(VALU_DEP_1)
	v_cmp_ne_u32_e32 vcc_lo, 0, v24
	v_and_b32_e32 v61, 7, v59
	v_or3_b32 v32, v60, v32, v61
	s_delay_alu instid0(VALU_DEP_1)
	v_cndmask_b32_e32 v24, 0, v32, vcc_lo
.LBB6_3680:                             ;   in Loop: Header=BB6_3361 Depth=3
	s_or_b32 exec_lo, exec_lo, s17
.LBB6_3681:                             ;   in Loop: Header=BB6_3361 Depth=3
	s_delay_alu instid0(SALU_CYCLE_1) | instskip(SKIP_3) | instid1(VALU_DEP_1)
	s_or_b32 exec_lo, exec_lo, s16
	v_and_b32_e32 v59, 0xff, v33
	s_mov_b32 s13, 0
	s_mov_b32 s17, exec_lo
                                        ; implicit-def: $sgpr16
	v_cmpx_lt_i16_e32 0x7f, v59
	s_xor_b32 s17, exec_lo, s17
	s_cbranch_execnz .LBB6_4543
; %bb.3682:                             ;   in Loop: Header=BB6_3361 Depth=3
	s_or_saveexec_b32 s17, s17
	v_mov_b32_e32 v32, s16
	s_xor_b32 exec_lo, exec_lo, s17
	s_cbranch_execnz .LBB6_4546
.LBB6_3683:                             ;   in Loop: Header=BB6_3361 Depth=3
	s_or_b32 exec_lo, exec_lo, s17
	s_and_saveexec_b32 s16, s13
	s_cbranch_execz .LBB6_3685
.LBB6_3684:                             ;   in Loop: Header=BB6_3361 Depth=3
	v_bfe_u32 v61, v33, 3, 4
	v_lshlrev_b32_e32 v62, 24, v33
	s_delay_alu instid0(VALU_DEP_2) | instskip(SKIP_1) | instid1(VALU_DEP_1)
	v_cmp_eq_u32_e32 vcc_lo, 0, v61
	v_and_b32_e32 v32, 7, v33
	v_clz_i32_u32_e32 v59, v32
	s_delay_alu instid0(VALU_DEP_1) | instskip(NEXT) | instid1(VALU_DEP_1)
	v_min_u32_e32 v59, 32, v59
	v_subrev_nc_u32_e32 v60, 28, v59
	v_sub_nc_u32_e32 v59, 29, v59
	s_delay_alu instid0(VALU_DEP_1) | instskip(NEXT) | instid1(VALU_DEP_1)
	v_dual_cndmask_b32 v59, v61, v59 :: v_dual_lshlrev_b32 v60, v60, v33
	v_and_b32_e32 v60, 7, v60
	s_delay_alu instid0(VALU_DEP_2) | instskip(NEXT) | instid1(VALU_DEP_2)
	v_lshl_add_u32 v59, v59, 23, 0x3b800000
	v_cndmask_b32_e32 v32, v32, v60, vcc_lo
	v_and_b32_e32 v60, 0x80000000, v62
	s_delay_alu instid0(VALU_DEP_2) | instskip(NEXT) | instid1(VALU_DEP_1)
	v_lshlrev_b32_e32 v32, 20, v32
	v_or3_b32 v32, v60, v59, v32
.LBB6_3685:                             ;   in Loop: Header=BB6_3361 Depth=3
	s_or_b32 exec_lo, exec_lo, s16
	v_and_b32_e32 v60, 0xff, v25
	s_mov_b32 s13, 0
	s_mov_b32 s17, exec_lo
                                        ; implicit-def: $sgpr16
	s_delay_alu instid0(VALU_DEP_1)
	v_cmpx_lt_i16_e32 0x7f, v60
	s_xor_b32 s17, exec_lo, s17
	s_cbranch_execnz .LBB6_4547
; %bb.3686:                             ;   in Loop: Header=BB6_3361 Depth=3
	s_or_saveexec_b32 s17, s17
	v_mov_b32_e32 v59, s16
	s_xor_b32 exec_lo, exec_lo, s17
	s_cbranch_execnz .LBB6_4550
.LBB6_3687:                             ;   in Loop: Header=BB6_3361 Depth=3
	s_or_b32 exec_lo, exec_lo, s17
	s_and_saveexec_b32 s16, s13
	s_cbranch_execz .LBB6_3689
.LBB6_3688:                             ;   in Loop: Header=BB6_3361 Depth=3
	v_bfe_u32 v62, v25, 3, 4
	v_lshlrev_b32_e32 v63, 24, v25
	s_delay_alu instid0(VALU_DEP_2) | instskip(SKIP_1) | instid1(VALU_DEP_1)
	v_cmp_eq_u32_e32 vcc_lo, 0, v62
	v_and_b32_e32 v59, 7, v25
	v_clz_i32_u32_e32 v60, v59
	s_delay_alu instid0(VALU_DEP_1) | instskip(NEXT) | instid1(VALU_DEP_1)
	v_min_u32_e32 v60, 32, v60
	v_subrev_nc_u32_e32 v61, 28, v60
	v_sub_nc_u32_e32 v60, 29, v60
	s_delay_alu instid0(VALU_DEP_1) | instskip(NEXT) | instid1(VALU_DEP_1)
	v_dual_cndmask_b32 v60, v62, v60 :: v_dual_lshlrev_b32 v61, v61, v25
	v_and_b32_e32 v61, 7, v61
	s_delay_alu instid0(VALU_DEP_2) | instskip(NEXT) | instid1(VALU_DEP_2)
	v_lshl_add_u32 v60, v60, 23, 0x3b800000
	v_cndmask_b32_e32 v59, v59, v61, vcc_lo
	v_and_b32_e32 v61, 0x80000000, v63
	s_delay_alu instid0(VALU_DEP_2) | instskip(NEXT) | instid1(VALU_DEP_1)
	v_lshlrev_b32_e32 v59, 20, v59
	v_or3_b32 v59, v61, v60, v59
.LBB6_3689:                             ;   in Loop: Header=BB6_3361 Depth=3
	s_or_b32 exec_lo, exec_lo, s16
	s_delay_alu instid0(VALU_DEP_1) | instskip(NEXT) | instid1(VALU_DEP_1)
	v_add_f32_e32 v59, v32, v59
	v_and_b32_e32 v32, 0x7f800000, v59
	s_delay_alu instid0(VALU_DEP_1)
	v_cmp_ne_u32_e32 vcc_lo, 0x7f800000, v32
	v_mov_b32_e32 v32, 0x80
	s_and_saveexec_b32 s16, vcc_lo
	s_cbranch_execz .LBB6_3697
; %bb.3690:                             ;   in Loop: Header=BB6_3361 Depth=3
	v_mov_b32_e32 v32, 0
	s_mov_b32 s17, exec_lo
	v_cmpx_ne_u32_e32 0, v59
	s_cbranch_execz .LBB6_3696
; %bb.3691:                             ;   in Loop: Header=BB6_3361 Depth=3
	v_bfe_u32 v32, v59, 23, 8
	s_delay_alu instid0(VALU_DEP_1) | instskip(SKIP_1) | instid1(VALU_DEP_2)
	v_sub_nc_u32_e32 v61, 0x78, v32
	v_cmp_gt_u32_e32 vcc_lo, 0x79, v32
	v_dual_cndmask_b32 v61, 0, v61 :: v_dual_and_b32 v60, 0x7fffff, v59
	s_delay_alu instid0(VALU_DEP_1) | instskip(SKIP_2) | instid1(VALU_DEP_4)
	v_or_b32_e32 v62, 0x800000, v60
	v_cmp_eq_u32_e32 vcc_lo, 0, v32
	v_add_nc_u32_e32 v32, 0xffffff89, v32
	v_cndmask_b32_e64 v61, v61, 0x77, vcc_lo
	s_delay_alu instid0(VALU_DEP_4) | instskip(NEXT) | instid1(VALU_DEP_3)
	v_cndmask_b32_e32 v60, v62, v60, vcc_lo
	v_cndmask_b32_e64 v32, v32, 0xffffff8a, vcc_lo
	s_delay_alu instid0(VALU_DEP_3) | instskip(NEXT) | instid1(VALU_DEP_3)
	v_lshl_add_u32 v62, 0x100000, v61, -1
	v_lshrrev_b32_e32 v63, v61, v60
	v_lshlrev_b32_e64 v73, v61, 0x80000
	s_delay_alu instid0(VALU_DEP_4) | instskip(NEXT) | instid1(VALU_DEP_4)
	v_add_nc_u32_e32 v61, v61, v32
	v_and_b32_e32 v60, v62, v60
	s_delay_alu instid0(VALU_DEP_4) | instskip(NEXT) | instid1(VALU_DEP_2)
	v_bfe_u32 v72, v63, 20, 1
	v_cmp_eq_u32_e64 s13, v60, v73
	s_delay_alu instid0(VALU_DEP_2) | instskip(NEXT) | instid1(VALU_DEP_1)
	v_add_nc_u32_e32 v62, -1, v72
	v_cndmask_b32_e64 v60, 0, v62, s13
	v_lshrrev_b32_e32 v62, 23, v63
	s_mov_b32 s13, exec_lo
	s_delay_alu instid0(VALU_DEP_2) | instskip(NEXT) | instid1(VALU_DEP_2)
	v_add_nc_u32_e32 v60, v60, v63
	v_xor_b32_e32 v62, 1, v62
	s_delay_alu instid0(VALU_DEP_2) | instskip(NEXT) | instid1(VALU_DEP_1)
	v_and_b32_e32 v32, 0xfffff, v60
	v_add_nc_u32_e32 v60, v32, v63
                                        ; implicit-def: $vgpr32
	s_delay_alu instid0(VALU_DEP_3)
	v_cmpx_ne_u32_e64 v61, v62
	s_xor_b32 s13, exec_lo, s13
; %bb.3692:                             ;   in Loop: Header=BB6_3361 Depth=3
	s_delay_alu instid0(VALU_DEP_2) | instskip(SKIP_2) | instid1(VALU_DEP_2)
	v_cmp_lt_u32_e32 vcc_lo, 0xffffff, v60
	v_sub_nc_u32_e32 v32, v61, v62
	v_cndmask_b32_e64 v61, 0, 1, vcc_lo
	v_add_co_ci_u32_e32 v32, vcc_lo, 0, v32, vcc_lo
	s_delay_alu instid0(VALU_DEP_2)
	v_lshrrev_b32_e32 v60, v61, v60
; %bb.3693:                             ;   in Loop: Header=BB6_3361 Depth=3
	s_and_not1_saveexec_b32 s13, s13
; %bb.3694:                             ;   in Loop: Header=BB6_3361 Depth=3
	s_delay_alu instid0(VALU_DEP_1)
	v_bfe_u32 v32, v60, 23, 1
; %bb.3695:                             ;   in Loop: Header=BB6_3361 Depth=3
	s_or_b32 exec_lo, exec_lo, s13
	v_lshrrev_b32_e32 v60, 20, v60
	s_delay_alu instid0(VALU_DEP_2) | instskip(SKIP_2) | instid1(VALU_DEP_2)
	v_cmp_gt_i32_e32 vcc_lo, 16, v32
	v_lshrrev_b32_e32 v59, 24, v59
	v_min_i32_e32 v61, 15, v32
	v_dual_cndmask_b32 v60, 7, v60 :: v_dual_and_b32 v59, 0x80, v59
	s_delay_alu instid0(VALU_DEP_1) | instskip(SKIP_1) | instid1(VALU_DEP_2)
	v_or_b32_e32 v32, v32, v60
	v_and_b32_e32 v62, 7, v60
	v_cmp_ne_u32_e32 vcc_lo, 0, v32
	v_lshlrev_b32_e32 v61, 3, v61
	s_delay_alu instid0(VALU_DEP_1) | instskip(NEXT) | instid1(VALU_DEP_1)
	v_or3_b32 v59, v61, v59, v62
	v_cndmask_b32_e32 v32, 0, v59, vcc_lo
.LBB6_3696:                             ;   in Loop: Header=BB6_3361 Depth=3
	s_or_b32 exec_lo, exec_lo, s17
.LBB6_3697:                             ;   in Loop: Header=BB6_3361 Depth=3
	s_delay_alu instid0(SALU_CYCLE_1) | instskip(SKIP_3) | instid1(VALU_DEP_1)
	s_or_b32 exec_lo, exec_lo, s16
	v_lshrrev_b16 v60, 8, v33
	s_mov_b32 s13, 0
	s_mov_b32 s17, exec_lo
                                        ; implicit-def: $sgpr16
	v_cmpx_lt_i16_e32 0x7f, v60
	s_xor_b32 s17, exec_lo, s17
	s_cbranch_execnz .LBB6_4551
; %bb.3698:                             ;   in Loop: Header=BB6_3361 Depth=3
	s_or_saveexec_b32 s17, s17
	v_mov_b32_e32 v59, s16
	s_xor_b32 exec_lo, exec_lo, s17
	s_cbranch_execnz .LBB6_4554
.LBB6_3699:                             ;   in Loop: Header=BB6_3361 Depth=3
	s_or_b32 exec_lo, exec_lo, s17
	s_and_saveexec_b32 s16, s13
	s_cbranch_execz .LBB6_3701
.LBB6_3700:                             ;   in Loop: Header=BB6_3361 Depth=3
	v_and_b32_e32 v59, 0xffff, v60
	s_delay_alu instid0(VALU_DEP_1) | instskip(NEXT) | instid1(VALU_DEP_1)
	v_and_b32_e32 v61, 7, v59
	v_clz_i32_u32_e32 v62, v61
	s_delay_alu instid0(VALU_DEP_1) | instskip(NEXT) | instid1(VALU_DEP_1)
	v_min_u32_e32 v62, 32, v62
	v_subrev_nc_u32_e32 v63, 28, v62
	v_sub_nc_u32_e32 v62, 29, v62
	s_delay_alu instid0(VALU_DEP_2) | instskip(SKIP_1) | instid1(VALU_DEP_2)
	v_lshlrev_b32_e32 v63, v63, v59
	v_bfe_u32 v59, v59, 3, 4
	v_and_b32_e32 v63, 7, v63
	s_delay_alu instid0(VALU_DEP_2) | instskip(SKIP_1) | instid1(VALU_DEP_1)
	v_cmp_eq_u32_e32 vcc_lo, 0, v59
	v_dual_cndmask_b32 v59, v59, v62 :: v_dual_lshlrev_b32 v60, 24, v60
	v_dual_cndmask_b32 v61, v61, v63 :: v_dual_and_b32 v60, 0x80000000, v60
	s_delay_alu instid0(VALU_DEP_2) | instskip(NEXT) | instid1(VALU_DEP_2)
	v_lshl_add_u32 v59, v59, 23, 0x3b800000
	v_lshlrev_b32_e32 v61, 20, v61
	s_delay_alu instid0(VALU_DEP_1)
	v_or3_b32 v59, v60, v59, v61
.LBB6_3701:                             ;   in Loop: Header=BB6_3361 Depth=3
	s_or_b32 exec_lo, exec_lo, s16
	v_lshrrev_b16 v60, 8, v25
	s_mov_b32 s13, 0
	s_mov_b32 s17, exec_lo
                                        ; implicit-def: $sgpr16
	s_delay_alu instid0(VALU_DEP_1)
	v_cmpx_lt_i16_e32 0x7f, v60
	s_xor_b32 s17, exec_lo, s17
	s_cbranch_execnz .LBB6_4555
; %bb.3702:                             ;   in Loop: Header=BB6_3361 Depth=3
	s_or_saveexec_b32 s17, s17
	v_mov_b32_e32 v61, s16
	s_xor_b32 exec_lo, exec_lo, s17
	s_cbranch_execnz .LBB6_4558
.LBB6_3703:                             ;   in Loop: Header=BB6_3361 Depth=3
	s_or_b32 exec_lo, exec_lo, s17
	s_and_saveexec_b32 s16, s13
	s_cbranch_execz .LBB6_3705
.LBB6_3704:                             ;   in Loop: Header=BB6_3361 Depth=3
	v_and_b32_e32 v61, 0xffff, v60
	v_lshlrev_b32_e32 v60, 24, v60
	s_delay_alu instid0(VALU_DEP_2) | instskip(NEXT) | instid1(VALU_DEP_2)
	v_and_b32_e32 v62, 7, v61
	v_and_b32_e32 v60, 0x80000000, v60
	s_delay_alu instid0(VALU_DEP_2) | instskip(NEXT) | instid1(VALU_DEP_1)
	v_clz_i32_u32_e32 v63, v62
	v_min_u32_e32 v63, 32, v63
	s_delay_alu instid0(VALU_DEP_1) | instskip(SKIP_1) | instid1(VALU_DEP_2)
	v_subrev_nc_u32_e32 v72, 28, v63
	v_sub_nc_u32_e32 v63, 29, v63
	v_lshlrev_b32_e32 v72, v72, v61
	v_bfe_u32 v61, v61, 3, 4
	s_delay_alu instid0(VALU_DEP_2) | instskip(NEXT) | instid1(VALU_DEP_2)
	v_and_b32_e32 v72, 7, v72
	v_cmp_eq_u32_e32 vcc_lo, 0, v61
	s_delay_alu instid0(VALU_DEP_2) | instskip(NEXT) | instid1(VALU_DEP_1)
	v_dual_cndmask_b32 v61, v61, v63 :: v_dual_cndmask_b32 v62, v62, v72
	v_lshl_add_u32 v61, v61, 23, 0x3b800000
	s_delay_alu instid0(VALU_DEP_2) | instskip(NEXT) | instid1(VALU_DEP_1)
	v_lshlrev_b32_e32 v62, 20, v62
	v_or3_b32 v61, v60, v61, v62
.LBB6_3705:                             ;   in Loop: Header=BB6_3361 Depth=3
	s_or_b32 exec_lo, exec_lo, s16
	s_delay_alu instid0(VALU_DEP_1) | instskip(NEXT) | instid1(VALU_DEP_1)
	v_add_f32_e32 v60, v59, v61
	v_and_b32_e32 v59, 0x7f800000, v60
	s_delay_alu instid0(VALU_DEP_1)
	v_cmp_ne_u32_e32 vcc_lo, 0x7f800000, v59
	v_mov_b32_e32 v59, 0x8000
	s_and_saveexec_b32 s16, vcc_lo
	s_cbranch_execz .LBB6_3713
; %bb.3706:                             ;   in Loop: Header=BB6_3361 Depth=3
	v_mov_b32_e32 v59, 0
	s_mov_b32 s17, exec_lo
	v_cmpx_ne_u32_e32 0, v60
	s_cbranch_execz .LBB6_3712
; %bb.3707:                             ;   in Loop: Header=BB6_3361 Depth=3
	v_bfe_u32 v59, v60, 23, 8
	s_delay_alu instid0(VALU_DEP_1) | instskip(SKIP_1) | instid1(VALU_DEP_2)
	v_sub_nc_u32_e32 v62, 0x78, v59
	v_cmp_gt_u32_e32 vcc_lo, 0x79, v59
	v_dual_cndmask_b32 v62, 0, v62 :: v_dual_and_b32 v61, 0x7fffff, v60
	s_delay_alu instid0(VALU_DEP_1) | instskip(SKIP_2) | instid1(VALU_DEP_4)
	v_or_b32_e32 v63, 0x800000, v61
	v_cmp_eq_u32_e32 vcc_lo, 0, v59
	v_add_nc_u32_e32 v59, 0xffffff89, v59
	v_cndmask_b32_e64 v62, v62, 0x77, vcc_lo
	s_delay_alu instid0(VALU_DEP_2) | instskip(SKIP_1) | instid1(VALU_DEP_3)
	v_cndmask_b32_e64 v59, v59, 0xffffff8a, vcc_lo
	v_cndmask_b32_e32 v61, v63, v61, vcc_lo
	v_lshl_add_u32 v63, 0x100000, v62, -1
	v_lshlrev_b32_e64 v74, v62, 0x80000
	s_delay_alu instid0(VALU_DEP_3) | instskip(SKIP_1) | instid1(VALU_DEP_4)
	v_lshrrev_b32_e32 v72, v62, v61
	v_add_nc_u32_e32 v62, v62, v59
	v_and_b32_e32 v61, v63, v61
	s_delay_alu instid0(VALU_DEP_3) | instskip(NEXT) | instid1(VALU_DEP_2)
	v_bfe_u32 v73, v72, 20, 1
	v_cmp_eq_u32_e64 s13, v61, v74
	s_delay_alu instid0(VALU_DEP_2) | instskip(NEXT) | instid1(VALU_DEP_1)
	v_add_nc_u32_e32 v63, -1, v73
	v_cndmask_b32_e64 v61, 0, v63, s13
	v_lshrrev_b32_e32 v63, 23, v72
	s_mov_b32 s13, exec_lo
	s_delay_alu instid0(VALU_DEP_2) | instskip(NEXT) | instid1(VALU_DEP_2)
	v_add_nc_u32_e32 v61, v61, v72
	v_xor_b32_e32 v63, 1, v63
	s_delay_alu instid0(VALU_DEP_2) | instskip(NEXT) | instid1(VALU_DEP_1)
	v_and_b32_e32 v59, 0xfffff, v61
	v_add_nc_u32_e32 v61, v59, v72
                                        ; implicit-def: $vgpr59
	s_delay_alu instid0(VALU_DEP_3)
	v_cmpx_ne_u32_e64 v62, v63
	s_xor_b32 s13, exec_lo, s13
; %bb.3708:                             ;   in Loop: Header=BB6_3361 Depth=3
	s_delay_alu instid0(VALU_DEP_2) | instskip(SKIP_2) | instid1(VALU_DEP_2)
	v_cmp_lt_u32_e32 vcc_lo, 0xffffff, v61
	v_sub_nc_u32_e32 v59, v62, v63
	v_cndmask_b32_e64 v62, 0, 1, vcc_lo
	v_add_co_ci_u32_e32 v59, vcc_lo, 0, v59, vcc_lo
	s_delay_alu instid0(VALU_DEP_2)
	v_lshrrev_b32_e32 v61, v62, v61
; %bb.3709:                             ;   in Loop: Header=BB6_3361 Depth=3
	s_and_not1_saveexec_b32 s13, s13
; %bb.3710:                             ;   in Loop: Header=BB6_3361 Depth=3
	s_delay_alu instid0(VALU_DEP_1)
	v_bfe_u32 v59, v61, 23, 1
; %bb.3711:                             ;   in Loop: Header=BB6_3361 Depth=3
	s_or_b32 exec_lo, exec_lo, s13
	v_lshrrev_b32_e32 v61, 20, v61
	s_delay_alu instid0(VALU_DEP_2) | instskip(SKIP_2) | instid1(VALU_DEP_2)
	v_cmp_gt_i32_e32 vcc_lo, 16, v59
	v_min_i32_e32 v62, 15, v59
	v_lshrrev_b32_e32 v60, 24, v60
	v_dual_cndmask_b32 v61, 7, v61 :: v_dual_lshlrev_b32 v62, 3, v62
	s_delay_alu instid0(VALU_DEP_2) | instskip(NEXT) | instid1(VALU_DEP_2)
	v_and_b32_e32 v60, 0x80, v60
	v_or_b32_e32 v59, v59, v61
	v_and_b32_e32 v63, 7, v61
	s_delay_alu instid0(VALU_DEP_2) | instskip(SKIP_1) | instid1(VALU_DEP_1)
	v_cmp_ne_u32_e32 vcc_lo, 0, v59
	v_and_b32_e32 v62, 0xf8, v62
	v_or3_b32 v60, v60, v62, v63
	s_delay_alu instid0(VALU_DEP_1) | instskip(NEXT) | instid1(VALU_DEP_1)
	v_lshlrev_b32_e32 v60, 8, v60
	v_cndmask_b32_e32 v59, 0, v60, vcc_lo
.LBB6_3712:                             ;   in Loop: Header=BB6_3361 Depth=3
	s_or_b32 exec_lo, exec_lo, s17
.LBB6_3713:                             ;   in Loop: Header=BB6_3361 Depth=3
	s_delay_alu instid0(SALU_CYCLE_1) | instskip(SKIP_3) | instid1(VALU_DEP_1)
	s_or_b32 exec_lo, exec_lo, s16
	v_lshrrev_b32_e32 v61, 16, v33
	s_mov_b32 s13, 0
	s_mov_b32 s17, exec_lo
                                        ; implicit-def: $sgpr16
	v_and_b32_e32 v62, 0xff, v61
	s_delay_alu instid0(VALU_DEP_1)
	v_cmpx_lt_i16_e32 0x7f, v62
	s_xor_b32 s17, exec_lo, s17
	s_cbranch_execnz .LBB6_4559
; %bb.3714:                             ;   in Loop: Header=BB6_3361 Depth=3
	s_or_saveexec_b32 s17, s17
	v_mov_b32_e32 v60, s16
	s_xor_b32 exec_lo, exec_lo, s17
	s_cbranch_execnz .LBB6_4562
.LBB6_3715:                             ;   in Loop: Header=BB6_3361 Depth=3
	s_or_b32 exec_lo, exec_lo, s17
	s_and_saveexec_b32 s16, s13
	s_cbranch_execz .LBB6_3717
.LBB6_3716:                             ;   in Loop: Header=BB6_3361 Depth=3
	v_bfe_u32 v60, v33, 16, 3
	v_lshlrev_b32_e32 v72, 8, v33
	s_delay_alu instid0(VALU_DEP_2) | instskip(NEXT) | instid1(VALU_DEP_1)
	v_clz_i32_u32_e32 v62, v60
	v_min_u32_e32 v62, 32, v62
	s_delay_alu instid0(VALU_DEP_1) | instskip(SKIP_1) | instid1(VALU_DEP_2)
	v_subrev_nc_u32_e32 v63, 28, v62
	v_sub_nc_u32_e32 v62, 29, v62
	v_lshlrev_b32_e32 v61, v63, v61
	v_bfe_u32 v63, v33, 19, 4
	s_delay_alu instid0(VALU_DEP_1) | instskip(NEXT) | instid1(VALU_DEP_3)
	v_cmp_eq_u32_e32 vcc_lo, 0, v63
	v_dual_cndmask_b32 v62, v63, v62 :: v_dual_and_b32 v61, 7, v61
	s_delay_alu instid0(VALU_DEP_1) | instskip(NEXT) | instid1(VALU_DEP_2)
	v_dual_cndmask_b32 v60, v60, v61 :: v_dual_and_b32 v61, 0x80000000, v72
	v_lshl_add_u32 v62, v62, 23, 0x3b800000
	s_delay_alu instid0(VALU_DEP_2) | instskip(NEXT) | instid1(VALU_DEP_1)
	v_lshlrev_b32_e32 v60, 20, v60
	v_or3_b32 v60, v61, v62, v60
.LBB6_3717:                             ;   in Loop: Header=BB6_3361 Depth=3
	s_or_b32 exec_lo, exec_lo, s16
	v_lshrrev_b32_e32 v61, 16, v25
	s_mov_b32 s13, 0
	s_mov_b32 s17, exec_lo
                                        ; implicit-def: $sgpr16
	s_delay_alu instid0(VALU_DEP_1) | instskip(NEXT) | instid1(VALU_DEP_1)
	v_and_b32_e32 v63, 0xff, v61
	v_cmpx_lt_i16_e32 0x7f, v63
	s_xor_b32 s17, exec_lo, s17
	s_cbranch_execnz .LBB6_4563
; %bb.3718:                             ;   in Loop: Header=BB6_3361 Depth=3
	s_or_saveexec_b32 s17, s17
	v_mov_b32_e32 v62, s16
	s_xor_b32 exec_lo, exec_lo, s17
	s_cbranch_execnz .LBB6_4566
.LBB6_3719:                             ;   in Loop: Header=BB6_3361 Depth=3
	s_or_b32 exec_lo, exec_lo, s17
	s_and_saveexec_b32 s16, s13
	s_cbranch_execz .LBB6_3721
.LBB6_3720:                             ;   in Loop: Header=BB6_3361 Depth=3
	v_bfe_u32 v62, v25, 16, 3
	v_lshlrev_b32_e32 v73, 8, v25
	s_delay_alu instid0(VALU_DEP_2) | instskip(NEXT) | instid1(VALU_DEP_1)
	v_clz_i32_u32_e32 v63, v62
	v_min_u32_e32 v63, 32, v63
	s_delay_alu instid0(VALU_DEP_1) | instskip(SKIP_1) | instid1(VALU_DEP_2)
	v_subrev_nc_u32_e32 v72, 28, v63
	v_sub_nc_u32_e32 v63, 29, v63
	v_lshlrev_b32_e32 v61, v72, v61
	v_bfe_u32 v72, v25, 19, 4
	s_delay_alu instid0(VALU_DEP_2) | instskip(NEXT) | instid1(VALU_DEP_2)
	v_and_b32_e32 v61, 7, v61
	v_cmp_eq_u32_e32 vcc_lo, 0, v72
	v_cndmask_b32_e32 v63, v72, v63, vcc_lo
	s_delay_alu instid0(VALU_DEP_3) | instskip(SKIP_1) | instid1(VALU_DEP_3)
	v_cndmask_b32_e32 v61, v62, v61, vcc_lo
	v_and_b32_e32 v62, 0x80000000, v73
	v_lshl_add_u32 v63, v63, 23, 0x3b800000
	s_delay_alu instid0(VALU_DEP_3) | instskip(NEXT) | instid1(VALU_DEP_1)
	v_lshlrev_b32_e32 v61, 20, v61
	v_or3_b32 v62, v62, v63, v61
.LBB6_3721:                             ;   in Loop: Header=BB6_3361 Depth=3
	s_or_b32 exec_lo, exec_lo, s16
	s_delay_alu instid0(VALU_DEP_1) | instskip(NEXT) | instid1(VALU_DEP_1)
	v_add_f32_e32 v61, v60, v62
	v_and_b32_e32 v60, 0x7f800000, v61
	s_delay_alu instid0(VALU_DEP_1)
	v_cmp_ne_u32_e32 vcc_lo, 0x7f800000, v60
	v_mov_b32_e32 v60, 0x80
	s_and_saveexec_b32 s16, vcc_lo
	s_cbranch_execz .LBB6_3729
; %bb.3722:                             ;   in Loop: Header=BB6_3361 Depth=3
	v_mov_b32_e32 v60, 0
	s_mov_b32 s17, exec_lo
	v_cmpx_ne_u32_e32 0, v61
	s_cbranch_execz .LBB6_3728
; %bb.3723:                             ;   in Loop: Header=BB6_3361 Depth=3
	v_bfe_u32 v60, v61, 23, 8
	s_delay_alu instid0(VALU_DEP_1) | instskip(SKIP_1) | instid1(VALU_DEP_2)
	v_sub_nc_u32_e32 v63, 0x78, v60
	v_cmp_gt_u32_e32 vcc_lo, 0x79, v60
	v_dual_cndmask_b32 v63, 0, v63 :: v_dual_and_b32 v62, 0x7fffff, v61
	s_delay_alu instid0(VALU_DEP_1) | instskip(SKIP_2) | instid1(VALU_DEP_4)
	v_or_b32_e32 v72, 0x800000, v62
	v_cmp_eq_u32_e32 vcc_lo, 0, v60
	v_add_nc_u32_e32 v60, 0xffffff89, v60
	v_cndmask_b32_e64 v63, v63, 0x77, vcc_lo
	s_delay_alu instid0(VALU_DEP_2) | instskip(SKIP_1) | instid1(VALU_DEP_3)
	v_cndmask_b32_e64 v60, v60, 0xffffff8a, vcc_lo
	v_cndmask_b32_e32 v62, v72, v62, vcc_lo
	v_lshl_add_u32 v72, 0x100000, v63, -1
	v_lshlrev_b32_e64 v75, v63, 0x80000
	s_delay_alu instid0(VALU_DEP_3) | instskip(SKIP_1) | instid1(VALU_DEP_4)
	v_lshrrev_b32_e32 v73, v63, v62
	v_add_nc_u32_e32 v63, v63, v60
	v_and_b32_e32 v62, v72, v62
	s_delay_alu instid0(VALU_DEP_3) | instskip(NEXT) | instid1(VALU_DEP_2)
	v_bfe_u32 v74, v73, 20, 1
	v_cmp_eq_u32_e64 s13, v62, v75
	s_delay_alu instid0(VALU_DEP_2) | instskip(NEXT) | instid1(VALU_DEP_1)
	v_add_nc_u32_e32 v72, -1, v74
	v_cndmask_b32_e64 v62, 0, v72, s13
	v_lshrrev_b32_e32 v72, 23, v73
	s_mov_b32 s13, exec_lo
	s_delay_alu instid0(VALU_DEP_2) | instskip(NEXT) | instid1(VALU_DEP_2)
	v_add_nc_u32_e32 v62, v62, v73
	v_xor_b32_e32 v72, 1, v72
	s_delay_alu instid0(VALU_DEP_2) | instskip(NEXT) | instid1(VALU_DEP_1)
	v_and_b32_e32 v60, 0xfffff, v62
	v_add_nc_u32_e32 v62, v60, v73
                                        ; implicit-def: $vgpr60
	s_delay_alu instid0(VALU_DEP_3)
	v_cmpx_ne_u32_e64 v63, v72
	s_xor_b32 s13, exec_lo, s13
; %bb.3724:                             ;   in Loop: Header=BB6_3361 Depth=3
	s_delay_alu instid0(VALU_DEP_2) | instskip(SKIP_2) | instid1(VALU_DEP_2)
	v_cmp_lt_u32_e32 vcc_lo, 0xffffff, v62
	v_sub_nc_u32_e32 v60, v63, v72
	v_cndmask_b32_e64 v63, 0, 1, vcc_lo
	v_add_co_ci_u32_e32 v60, vcc_lo, 0, v60, vcc_lo
	s_delay_alu instid0(VALU_DEP_2)
	v_lshrrev_b32_e32 v62, v63, v62
; %bb.3725:                             ;   in Loop: Header=BB6_3361 Depth=3
	s_and_not1_saveexec_b32 s13, s13
; %bb.3726:                             ;   in Loop: Header=BB6_3361 Depth=3
	s_delay_alu instid0(VALU_DEP_1)
	v_bfe_u32 v60, v62, 23, 1
; %bb.3727:                             ;   in Loop: Header=BB6_3361 Depth=3
	s_or_b32 exec_lo, exec_lo, s13
	v_lshrrev_b32_e32 v62, 20, v62
	s_delay_alu instid0(VALU_DEP_2) | instskip(SKIP_2) | instid1(VALU_DEP_2)
	v_cmp_gt_i32_e32 vcc_lo, 16, v60
	v_min_i32_e32 v63, 15, v60
	v_lshrrev_b32_e32 v61, 24, v61
	v_dual_cndmask_b32 v62, 7, v62 :: v_dual_lshlrev_b32 v63, 3, v63
	s_delay_alu instid0(VALU_DEP_2) | instskip(NEXT) | instid1(VALU_DEP_2)
	v_and_b32_e32 v61, 0x80, v61
	v_or_b32_e32 v60, v60, v62
	v_and_b32_e32 v72, 7, v62
	s_delay_alu instid0(VALU_DEP_2) | instskip(SKIP_1) | instid1(VALU_DEP_1)
	v_cmp_ne_u32_e32 vcc_lo, 0, v60
	v_and_b32_e32 v63, 0xf8, v63
	v_or3_b32 v61, v63, v61, v72
	s_delay_alu instid0(VALU_DEP_1)
	v_cndmask_b32_e32 v60, 0, v61, vcc_lo
.LBB6_3728:                             ;   in Loop: Header=BB6_3361 Depth=3
	s_or_b32 exec_lo, exec_lo, s17
.LBB6_3729:                             ;   in Loop: Header=BB6_3361 Depth=3
	s_delay_alu instid0(SALU_CYCLE_1) | instskip(SKIP_3) | instid1(VALU_DEP_1)
	s_or_b32 exec_lo, exec_lo, s16
	v_lshrrev_b32_e32 v62, 24, v33
	s_mov_b32 s13, 0
	s_mov_b32 s17, exec_lo
                                        ; implicit-def: $sgpr16
	v_cmpx_lt_i16_e32 0x7f, v62
	s_xor_b32 s17, exec_lo, s17
	s_cbranch_execnz .LBB6_4567
; %bb.3730:                             ;   in Loop: Header=BB6_3361 Depth=3
	s_or_saveexec_b32 s17, s17
	v_mov_b32_e32 v61, s16
	s_xor_b32 exec_lo, exec_lo, s17
	s_cbranch_execnz .LBB6_4570
.LBB6_3731:                             ;   in Loop: Header=BB6_3361 Depth=3
	s_or_b32 exec_lo, exec_lo, s17
	s_and_saveexec_b32 s16, s13
	s_cbranch_execz .LBB6_3733
.LBB6_3732:                             ;   in Loop: Header=BB6_3361 Depth=3
	v_bfe_u32 v61, v33, 24, 3
	s_delay_alu instid0(VALU_DEP_1) | instskip(NEXT) | instid1(VALU_DEP_1)
	v_clz_i32_u32_e32 v63, v61
	v_min_u32_e32 v63, 32, v63
	s_delay_alu instid0(VALU_DEP_1) | instskip(SKIP_1) | instid1(VALU_DEP_2)
	v_subrev_nc_u32_e32 v72, 28, v63
	v_sub_nc_u32_e32 v63, 29, v63
	v_lshlrev_b32_e32 v62, v72, v62
	v_bfe_u32 v72, v33, 27, 4
	v_and_b32_e32 v33, 0x80000000, v33
	s_delay_alu instid0(VALU_DEP_2) | instskip(NEXT) | instid1(VALU_DEP_4)
	v_cmp_eq_u32_e32 vcc_lo, 0, v72
	v_dual_cndmask_b32 v63, v72, v63 :: v_dual_and_b32 v62, 7, v62
	s_delay_alu instid0(VALU_DEP_1) | instskip(NEXT) | instid1(VALU_DEP_2)
	v_cndmask_b32_e32 v61, v61, v62, vcc_lo
	v_lshl_add_u32 v62, v63, 23, 0x3b800000
	s_delay_alu instid0(VALU_DEP_2) | instskip(NEXT) | instid1(VALU_DEP_1)
	v_lshlrev_b32_e32 v61, 20, v61
	v_or3_b32 v61, v33, v62, v61
.LBB6_3733:                             ;   in Loop: Header=BB6_3361 Depth=3
	s_or_b32 exec_lo, exec_lo, s16
	v_lshrrev_b32_e32 v33, 24, v25
	s_mov_b32 s13, 0
	s_mov_b32 s17, exec_lo
                                        ; implicit-def: $sgpr16
	s_delay_alu instid0(VALU_DEP_1)
	v_cmpx_lt_i16_e32 0x7f, v33
	s_xor_b32 s17, exec_lo, s17
	s_cbranch_execnz .LBB6_4571
; %bb.3734:                             ;   in Loop: Header=BB6_3361 Depth=3
	s_or_saveexec_b32 s17, s17
	v_mov_b32_e32 v62, s16
	s_xor_b32 exec_lo, exec_lo, s17
	s_cbranch_execnz .LBB6_4574
.LBB6_3735:                             ;   in Loop: Header=BB6_3361 Depth=3
	s_or_b32 exec_lo, exec_lo, s17
	s_and_saveexec_b32 s16, s13
	s_cbranch_execz .LBB6_3737
.LBB6_3736:                             ;   in Loop: Header=BB6_3361 Depth=3
	v_bfe_u32 v62, v25, 24, 3
	s_delay_alu instid0(VALU_DEP_1) | instskip(NEXT) | instid1(VALU_DEP_1)
	v_clz_i32_u32_e32 v63, v62
	v_min_u32_e32 v63, 32, v63
	s_delay_alu instid0(VALU_DEP_1) | instskip(SKIP_1) | instid1(VALU_DEP_2)
	v_subrev_nc_u32_e32 v72, 28, v63
	v_sub_nc_u32_e32 v63, 29, v63
	v_lshlrev_b32_e32 v33, v72, v33
	v_bfe_u32 v72, v25, 27, 4
	v_and_b32_e32 v25, 0x80000000, v25
	s_delay_alu instid0(VALU_DEP_3) | instskip(NEXT) | instid1(VALU_DEP_3)
	v_and_b32_e32 v33, 7, v33
	v_cmp_eq_u32_e32 vcc_lo, 0, v72
	v_cndmask_b32_e32 v63, v72, v63, vcc_lo
	s_delay_alu instid0(VALU_DEP_3) | instskip(NEXT) | instid1(VALU_DEP_2)
	v_cndmask_b32_e32 v33, v62, v33, vcc_lo
	v_lshl_add_u32 v62, v63, 23, 0x3b800000
	s_delay_alu instid0(VALU_DEP_2) | instskip(NEXT) | instid1(VALU_DEP_1)
	v_lshlrev_b32_e32 v33, 20, v33
	v_or3_b32 v62, v25, v62, v33
.LBB6_3737:                             ;   in Loop: Header=BB6_3361 Depth=3
	s_or_b32 exec_lo, exec_lo, s16
	s_delay_alu instid0(VALU_DEP_1) | instskip(NEXT) | instid1(VALU_DEP_1)
	v_add_f32_e32 v33, v61, v62
	v_and_b32_e32 v25, 0x7f800000, v33
	s_delay_alu instid0(VALU_DEP_1)
	v_cmp_ne_u32_e32 vcc_lo, 0x7f800000, v25
	v_mov_b32_e32 v25, 0x8000
	s_and_saveexec_b32 s16, vcc_lo
	s_cbranch_execz .LBB6_3745
; %bb.3738:                             ;   in Loop: Header=BB6_3361 Depth=3
	v_mov_b32_e32 v25, 0
	s_mov_b32 s17, exec_lo
	v_cmpx_ne_u32_e32 0, v33
	s_cbranch_execz .LBB6_3744
; %bb.3739:                             ;   in Loop: Header=BB6_3361 Depth=3
	v_bfe_u32 v25, v33, 23, 8
	s_delay_alu instid0(VALU_DEP_1) | instskip(SKIP_1) | instid1(VALU_DEP_2)
	v_sub_nc_u32_e32 v62, 0x78, v25
	v_cmp_gt_u32_e32 vcc_lo, 0x79, v25
	v_dual_cndmask_b32 v62, 0, v62 :: v_dual_and_b32 v61, 0x7fffff, v33
	s_delay_alu instid0(VALU_DEP_1) | instskip(SKIP_2) | instid1(VALU_DEP_4)
	v_or_b32_e32 v63, 0x800000, v61
	v_cmp_eq_u32_e32 vcc_lo, 0, v25
	v_add_nc_u32_e32 v25, 0xffffff89, v25
	v_cndmask_b32_e64 v62, v62, 0x77, vcc_lo
	s_delay_alu instid0(VALU_DEP_4) | instskip(NEXT) | instid1(VALU_DEP_3)
	v_cndmask_b32_e32 v61, v63, v61, vcc_lo
	v_cndmask_b32_e64 v25, v25, 0xffffff8a, vcc_lo
	s_delay_alu instid0(VALU_DEP_3) | instskip(NEXT) | instid1(VALU_DEP_3)
	v_lshl_add_u32 v63, 0x100000, v62, -1
	v_lshrrev_b32_e32 v72, v62, v61
	v_lshlrev_b32_e64 v74, v62, 0x80000
	s_delay_alu instid0(VALU_DEP_4) | instskip(NEXT) | instid1(VALU_DEP_4)
	v_add_nc_u32_e32 v62, v62, v25
	v_and_b32_e32 v61, v63, v61
	s_delay_alu instid0(VALU_DEP_4) | instskip(NEXT) | instid1(VALU_DEP_2)
	v_bfe_u32 v73, v72, 20, 1
	v_cmp_eq_u32_e64 s13, v61, v74
	s_delay_alu instid0(VALU_DEP_2) | instskip(NEXT) | instid1(VALU_DEP_1)
	v_add_nc_u32_e32 v63, -1, v73
	v_cndmask_b32_e64 v61, 0, v63, s13
	v_lshrrev_b32_e32 v63, 23, v72
	s_mov_b32 s13, exec_lo
	s_delay_alu instid0(VALU_DEP_2) | instskip(NEXT) | instid1(VALU_DEP_2)
	v_add_nc_u32_e32 v61, v61, v72
	v_xor_b32_e32 v63, 1, v63
	s_delay_alu instid0(VALU_DEP_2) | instskip(NEXT) | instid1(VALU_DEP_1)
	v_and_b32_e32 v25, 0xfffff, v61
	v_add_nc_u32_e32 v61, v25, v72
                                        ; implicit-def: $vgpr25
	s_delay_alu instid0(VALU_DEP_3)
	v_cmpx_ne_u32_e64 v62, v63
	s_xor_b32 s13, exec_lo, s13
; %bb.3740:                             ;   in Loop: Header=BB6_3361 Depth=3
	s_delay_alu instid0(VALU_DEP_2) | instskip(SKIP_2) | instid1(VALU_DEP_2)
	v_cmp_lt_u32_e32 vcc_lo, 0xffffff, v61
	v_sub_nc_u32_e32 v25, v62, v63
	v_cndmask_b32_e64 v62, 0, 1, vcc_lo
	v_add_co_ci_u32_e32 v25, vcc_lo, 0, v25, vcc_lo
	s_delay_alu instid0(VALU_DEP_2)
	v_lshrrev_b32_e32 v61, v62, v61
; %bb.3741:                             ;   in Loop: Header=BB6_3361 Depth=3
	s_and_not1_saveexec_b32 s13, s13
; %bb.3742:                             ;   in Loop: Header=BB6_3361 Depth=3
	s_delay_alu instid0(VALU_DEP_1)
	v_bfe_u32 v25, v61, 23, 1
; %bb.3743:                             ;   in Loop: Header=BB6_3361 Depth=3
	s_or_b32 exec_lo, exec_lo, s13
	v_lshrrev_b32_e32 v61, 20, v61
	s_delay_alu instid0(VALU_DEP_2) | instskip(SKIP_2) | instid1(VALU_DEP_2)
	v_cmp_gt_i32_e32 vcc_lo, 16, v25
	v_min_i32_e32 v62, 15, v25
	v_lshrrev_b32_e32 v33, 24, v33
	v_dual_cndmask_b32 v61, 7, v61 :: v_dual_lshlrev_b32 v62, 3, v62
	s_delay_alu instid0(VALU_DEP_2) | instskip(NEXT) | instid1(VALU_DEP_2)
	v_and_b32_e32 v33, 0x80, v33
	v_or_b32_e32 v25, v25, v61
	v_and_b32_e32 v63, 7, v61
	s_delay_alu instid0(VALU_DEP_2) | instskip(SKIP_1) | instid1(VALU_DEP_1)
	v_cmp_ne_u32_e32 vcc_lo, 0, v25
	v_and_b32_e32 v62, 0xf8, v62
	v_or3_b32 v33, v33, v62, v63
	s_delay_alu instid0(VALU_DEP_1) | instskip(NEXT) | instid1(VALU_DEP_1)
	v_lshlrev_b32_e32 v33, 8, v33
	v_cndmask_b32_e32 v25, 0, v33, vcc_lo
.LBB6_3744:                             ;   in Loop: Header=BB6_3361 Depth=3
	s_or_b32 exec_lo, exec_lo, s17
.LBB6_3745:                             ;   in Loop: Header=BB6_3361 Depth=3
	s_delay_alu instid0(SALU_CYCLE_1) | instskip(SKIP_3) | instid1(VALU_DEP_1)
	s_or_b32 exec_lo, exec_lo, s16
	v_and_b32_e32 v61, 0xff, v34
	s_mov_b32 s13, 0
	s_mov_b32 s17, exec_lo
                                        ; implicit-def: $sgpr16
	v_cmpx_lt_i16_e32 0x7f, v61
	s_xor_b32 s17, exec_lo, s17
	s_cbranch_execnz .LBB6_4575
; %bb.3746:                             ;   in Loop: Header=BB6_3361 Depth=3
	s_or_saveexec_b32 s17, s17
	v_mov_b32_e32 v33, s16
	s_xor_b32 exec_lo, exec_lo, s17
	s_cbranch_execnz .LBB6_4578
.LBB6_3747:                             ;   in Loop: Header=BB6_3361 Depth=3
	s_or_b32 exec_lo, exec_lo, s17
	s_and_saveexec_b32 s16, s13
	s_cbranch_execz .LBB6_3749
.LBB6_3748:                             ;   in Loop: Header=BB6_3361 Depth=3
	v_and_b32_e32 v33, 7, v34
	v_bfe_u32 v63, v34, 3, 4
	v_lshlrev_b32_e32 v72, 24, v34
	s_delay_alu instid0(VALU_DEP_3) | instskip(NEXT) | instid1(VALU_DEP_3)
	v_clz_i32_u32_e32 v61, v33
	v_cmp_eq_u32_e32 vcc_lo, 0, v63
	s_delay_alu instid0(VALU_DEP_2) | instskip(NEXT) | instid1(VALU_DEP_1)
	v_min_u32_e32 v61, 32, v61
	v_subrev_nc_u32_e32 v62, 28, v61
	v_sub_nc_u32_e32 v61, 29, v61
	s_delay_alu instid0(VALU_DEP_1) | instskip(NEXT) | instid1(VALU_DEP_1)
	v_dual_cndmask_b32 v61, v63, v61 :: v_dual_lshlrev_b32 v62, v62, v34
	v_and_b32_e32 v62, 7, v62
	s_delay_alu instid0(VALU_DEP_2) | instskip(NEXT) | instid1(VALU_DEP_2)
	v_lshl_add_u32 v61, v61, 23, 0x3b800000
	v_dual_cndmask_b32 v33, v33, v62 :: v_dual_and_b32 v62, 0x80000000, v72
	s_delay_alu instid0(VALU_DEP_1) | instskip(NEXT) | instid1(VALU_DEP_1)
	v_lshlrev_b32_e32 v33, 20, v33
	v_or3_b32 v33, v62, v61, v33
.LBB6_3749:                             ;   in Loop: Header=BB6_3361 Depth=3
	s_or_b32 exec_lo, exec_lo, s16
	v_and_b32_e32 v62, 0xff, v26
	s_mov_b32 s13, 0
	s_mov_b32 s17, exec_lo
                                        ; implicit-def: $sgpr16
	s_delay_alu instid0(VALU_DEP_1)
	v_cmpx_lt_i16_e32 0x7f, v62
	s_xor_b32 s17, exec_lo, s17
	s_cbranch_execnz .LBB6_4579
; %bb.3750:                             ;   in Loop: Header=BB6_3361 Depth=3
	s_or_saveexec_b32 s17, s17
	v_mov_b32_e32 v61, s16
	s_xor_b32 exec_lo, exec_lo, s17
	s_cbranch_execnz .LBB6_4582
.LBB6_3751:                             ;   in Loop: Header=BB6_3361 Depth=3
	s_or_b32 exec_lo, exec_lo, s17
	s_and_saveexec_b32 s16, s13
	s_cbranch_execz .LBB6_3753
.LBB6_3752:                             ;   in Loop: Header=BB6_3361 Depth=3
	v_and_b32_e32 v61, 7, v26
	v_bfe_u32 v72, v26, 3, 4
	v_lshlrev_b32_e32 v73, 24, v26
	s_delay_alu instid0(VALU_DEP_3) | instskip(NEXT) | instid1(VALU_DEP_3)
	v_clz_i32_u32_e32 v62, v61
	v_cmp_eq_u32_e32 vcc_lo, 0, v72
	s_delay_alu instid0(VALU_DEP_2) | instskip(NEXT) | instid1(VALU_DEP_1)
	v_min_u32_e32 v62, 32, v62
	v_subrev_nc_u32_e32 v63, 28, v62
	v_sub_nc_u32_e32 v62, 29, v62
	s_delay_alu instid0(VALU_DEP_2) | instskip(NEXT) | instid1(VALU_DEP_1)
	v_lshlrev_b32_e32 v63, v63, v26
	v_dual_cndmask_b32 v62, v72, v62 :: v_dual_and_b32 v63, 7, v63
	s_delay_alu instid0(VALU_DEP_1) | instskip(NEXT) | instid1(VALU_DEP_2)
	v_lshl_add_u32 v62, v62, 23, 0x3b800000
	v_cndmask_b32_e32 v61, v61, v63, vcc_lo
	v_and_b32_e32 v63, 0x80000000, v73
	s_delay_alu instid0(VALU_DEP_2) | instskip(NEXT) | instid1(VALU_DEP_1)
	v_lshlrev_b32_e32 v61, 20, v61
	v_or3_b32 v61, v63, v62, v61
.LBB6_3753:                             ;   in Loop: Header=BB6_3361 Depth=3
	s_or_b32 exec_lo, exec_lo, s16
	s_delay_alu instid0(VALU_DEP_1) | instskip(NEXT) | instid1(VALU_DEP_1)
	v_add_f32_e32 v61, v33, v61
	v_and_b32_e32 v33, 0x7f800000, v61
	s_delay_alu instid0(VALU_DEP_1)
	v_cmp_ne_u32_e32 vcc_lo, 0x7f800000, v33
	v_mov_b32_e32 v33, 0x80
	s_and_saveexec_b32 s16, vcc_lo
	s_cbranch_execz .LBB6_3761
; %bb.3754:                             ;   in Loop: Header=BB6_3361 Depth=3
	v_mov_b32_e32 v33, 0
	s_mov_b32 s17, exec_lo
	v_cmpx_ne_u32_e32 0, v61
	s_cbranch_execz .LBB6_3760
; %bb.3755:                             ;   in Loop: Header=BB6_3361 Depth=3
	v_bfe_u32 v33, v61, 23, 8
	s_delay_alu instid0(VALU_DEP_1) | instskip(SKIP_1) | instid1(VALU_DEP_2)
	v_sub_nc_u32_e32 v63, 0x78, v33
	v_cmp_gt_u32_e32 vcc_lo, 0x79, v33
	v_dual_cndmask_b32 v63, 0, v63 :: v_dual_and_b32 v62, 0x7fffff, v61
	s_delay_alu instid0(VALU_DEP_1) | instskip(SKIP_2) | instid1(VALU_DEP_4)
	v_or_b32_e32 v72, 0x800000, v62
	v_cmp_eq_u32_e32 vcc_lo, 0, v33
	v_add_nc_u32_e32 v33, 0xffffff89, v33
	v_cndmask_b32_e64 v63, v63, 0x77, vcc_lo
	s_delay_alu instid0(VALU_DEP_4) | instskip(NEXT) | instid1(VALU_DEP_3)
	v_cndmask_b32_e32 v62, v72, v62, vcc_lo
	v_cndmask_b32_e64 v33, v33, 0xffffff8a, vcc_lo
	s_delay_alu instid0(VALU_DEP_3) | instskip(NEXT) | instid1(VALU_DEP_3)
	v_lshl_add_u32 v72, 0x100000, v63, -1
	v_lshrrev_b32_e32 v73, v63, v62
	v_lshlrev_b32_e64 v75, v63, 0x80000
	s_delay_alu instid0(VALU_DEP_4) | instskip(NEXT) | instid1(VALU_DEP_4)
	v_add_nc_u32_e32 v63, v63, v33
	v_and_b32_e32 v62, v72, v62
	s_delay_alu instid0(VALU_DEP_4) | instskip(NEXT) | instid1(VALU_DEP_2)
	v_bfe_u32 v74, v73, 20, 1
	v_cmp_eq_u32_e64 s13, v62, v75
	s_delay_alu instid0(VALU_DEP_2) | instskip(NEXT) | instid1(VALU_DEP_1)
	v_add_nc_u32_e32 v72, -1, v74
	v_cndmask_b32_e64 v62, 0, v72, s13
	v_lshrrev_b32_e32 v72, 23, v73
	s_mov_b32 s13, exec_lo
	s_delay_alu instid0(VALU_DEP_2) | instskip(NEXT) | instid1(VALU_DEP_2)
	v_add_nc_u32_e32 v62, v62, v73
	v_xor_b32_e32 v72, 1, v72
	s_delay_alu instid0(VALU_DEP_2) | instskip(NEXT) | instid1(VALU_DEP_1)
	v_and_b32_e32 v33, 0xfffff, v62
	v_add_nc_u32_e32 v62, v33, v73
                                        ; implicit-def: $vgpr33
	s_delay_alu instid0(VALU_DEP_3)
	v_cmpx_ne_u32_e64 v63, v72
	s_xor_b32 s13, exec_lo, s13
; %bb.3756:                             ;   in Loop: Header=BB6_3361 Depth=3
	s_delay_alu instid0(VALU_DEP_2) | instskip(SKIP_2) | instid1(VALU_DEP_2)
	v_cmp_lt_u32_e32 vcc_lo, 0xffffff, v62
	v_sub_nc_u32_e32 v33, v63, v72
	v_cndmask_b32_e64 v63, 0, 1, vcc_lo
	v_add_co_ci_u32_e32 v33, vcc_lo, 0, v33, vcc_lo
	s_delay_alu instid0(VALU_DEP_2)
	v_lshrrev_b32_e32 v62, v63, v62
; %bb.3757:                             ;   in Loop: Header=BB6_3361 Depth=3
	s_and_not1_saveexec_b32 s13, s13
; %bb.3758:                             ;   in Loop: Header=BB6_3361 Depth=3
	s_delay_alu instid0(VALU_DEP_1)
	v_bfe_u32 v33, v62, 23, 1
; %bb.3759:                             ;   in Loop: Header=BB6_3361 Depth=3
	s_or_b32 exec_lo, exec_lo, s13
	v_lshrrev_b32_e32 v62, 20, v62
	s_delay_alu instid0(VALU_DEP_2) | instskip(SKIP_2) | instid1(VALU_DEP_2)
	v_cmp_gt_i32_e32 vcc_lo, 16, v33
	v_lshrrev_b32_e32 v61, 24, v61
	v_min_i32_e32 v63, 15, v33
	v_dual_cndmask_b32 v62, 7, v62 :: v_dual_and_b32 v61, 0x80, v61
	s_delay_alu instid0(VALU_DEP_2) | instskip(NEXT) | instid1(VALU_DEP_2)
	v_lshlrev_b32_e32 v63, 3, v63
	v_or_b32_e32 v33, v33, v62
	s_delay_alu instid0(VALU_DEP_1) | instskip(SKIP_1) | instid1(VALU_DEP_1)
	v_cmp_ne_u32_e32 vcc_lo, 0, v33
	v_and_b32_e32 v72, 7, v62
	v_or3_b32 v61, v63, v61, v72
	s_delay_alu instid0(VALU_DEP_1)
	v_cndmask_b32_e32 v33, 0, v61, vcc_lo
.LBB6_3760:                             ;   in Loop: Header=BB6_3361 Depth=3
	s_or_b32 exec_lo, exec_lo, s17
.LBB6_3761:                             ;   in Loop: Header=BB6_3361 Depth=3
	s_delay_alu instid0(SALU_CYCLE_1) | instskip(SKIP_3) | instid1(VALU_DEP_1)
	s_or_b32 exec_lo, exec_lo, s16
	v_lshrrev_b16 v62, 8, v34
	s_mov_b32 s13, 0
	s_mov_b32 s17, exec_lo
                                        ; implicit-def: $sgpr16
	v_cmpx_lt_i16_e32 0x7f, v62
	s_xor_b32 s17, exec_lo, s17
	s_cbranch_execnz .LBB6_4583
; %bb.3762:                             ;   in Loop: Header=BB6_3361 Depth=3
	s_or_saveexec_b32 s17, s17
	v_mov_b32_e32 v61, s16
	s_xor_b32 exec_lo, exec_lo, s17
	s_cbranch_execnz .LBB6_4586
.LBB6_3763:                             ;   in Loop: Header=BB6_3361 Depth=3
	s_or_b32 exec_lo, exec_lo, s17
	s_and_saveexec_b32 s16, s13
	s_cbranch_execz .LBB6_3765
.LBB6_3764:                             ;   in Loop: Header=BB6_3361 Depth=3
	v_and_b32_e32 v61, 0xffff, v62
	s_delay_alu instid0(VALU_DEP_1) | instskip(NEXT) | instid1(VALU_DEP_1)
	v_and_b32_e32 v63, 7, v61
	v_clz_i32_u32_e32 v72, v63
	s_delay_alu instid0(VALU_DEP_1) | instskip(NEXT) | instid1(VALU_DEP_1)
	v_min_u32_e32 v72, 32, v72
	v_subrev_nc_u32_e32 v73, 28, v72
	v_sub_nc_u32_e32 v72, 29, v72
	s_delay_alu instid0(VALU_DEP_2) | instskip(SKIP_1) | instid1(VALU_DEP_2)
	v_lshlrev_b32_e32 v73, v73, v61
	v_bfe_u32 v61, v61, 3, 4
	v_and_b32_e32 v73, 7, v73
	s_delay_alu instid0(VALU_DEP_2) | instskip(SKIP_1) | instid1(VALU_DEP_1)
	v_cmp_eq_u32_e32 vcc_lo, 0, v61
	v_dual_cndmask_b32 v61, v61, v72 :: v_dual_lshlrev_b32 v62, 24, v62
	v_dual_cndmask_b32 v63, v63, v73 :: v_dual_and_b32 v62, 0x80000000, v62
	s_delay_alu instid0(VALU_DEP_2) | instskip(NEXT) | instid1(VALU_DEP_2)
	v_lshl_add_u32 v61, v61, 23, 0x3b800000
	v_lshlrev_b32_e32 v63, 20, v63
	s_delay_alu instid0(VALU_DEP_1)
	v_or3_b32 v61, v62, v61, v63
.LBB6_3765:                             ;   in Loop: Header=BB6_3361 Depth=3
	s_or_b32 exec_lo, exec_lo, s16
	v_lshrrev_b16 v62, 8, v26
	s_mov_b32 s13, 0
	s_mov_b32 s17, exec_lo
                                        ; implicit-def: $sgpr16
	s_delay_alu instid0(VALU_DEP_1)
	v_cmpx_lt_i16_e32 0x7f, v62
	s_xor_b32 s17, exec_lo, s17
	s_cbranch_execnz .LBB6_4587
; %bb.3766:                             ;   in Loop: Header=BB6_3361 Depth=3
	s_or_saveexec_b32 s17, s17
	v_mov_b32_e32 v63, s16
	s_xor_b32 exec_lo, exec_lo, s17
	s_cbranch_execnz .LBB6_4590
.LBB6_3767:                             ;   in Loop: Header=BB6_3361 Depth=3
	s_or_b32 exec_lo, exec_lo, s17
	s_and_saveexec_b32 s16, s13
	s_cbranch_execz .LBB6_3769
.LBB6_3768:                             ;   in Loop: Header=BB6_3361 Depth=3
	v_and_b32_e32 v63, 0xffff, v62
	v_lshlrev_b32_e32 v62, 24, v62
	s_delay_alu instid0(VALU_DEP_2) | instskip(NEXT) | instid1(VALU_DEP_2)
	v_and_b32_e32 v72, 7, v63
	v_and_b32_e32 v62, 0x80000000, v62
	s_delay_alu instid0(VALU_DEP_2) | instskip(NEXT) | instid1(VALU_DEP_1)
	v_clz_i32_u32_e32 v73, v72
	v_min_u32_e32 v73, 32, v73
	s_delay_alu instid0(VALU_DEP_1) | instskip(SKIP_1) | instid1(VALU_DEP_2)
	v_subrev_nc_u32_e32 v74, 28, v73
	v_sub_nc_u32_e32 v73, 29, v73
	v_lshlrev_b32_e32 v74, v74, v63
	v_bfe_u32 v63, v63, 3, 4
	s_delay_alu instid0(VALU_DEP_2) | instskip(NEXT) | instid1(VALU_DEP_2)
	v_and_b32_e32 v74, 7, v74
	v_cmp_eq_u32_e32 vcc_lo, 0, v63
	s_delay_alu instid0(VALU_DEP_2) | instskip(NEXT) | instid1(VALU_DEP_1)
	v_dual_cndmask_b32 v63, v63, v73 :: v_dual_cndmask_b32 v72, v72, v74
	v_lshl_add_u32 v63, v63, 23, 0x3b800000
	s_delay_alu instid0(VALU_DEP_2) | instskip(NEXT) | instid1(VALU_DEP_1)
	v_lshlrev_b32_e32 v72, 20, v72
	v_or3_b32 v63, v62, v63, v72
.LBB6_3769:                             ;   in Loop: Header=BB6_3361 Depth=3
	s_or_b32 exec_lo, exec_lo, s16
	s_delay_alu instid0(VALU_DEP_1) | instskip(NEXT) | instid1(VALU_DEP_1)
	v_add_f32_e32 v62, v61, v63
	v_and_b32_e32 v61, 0x7f800000, v62
	s_delay_alu instid0(VALU_DEP_1)
	v_cmp_ne_u32_e32 vcc_lo, 0x7f800000, v61
	v_mov_b32_e32 v61, 0x80
	s_and_saveexec_b32 s16, vcc_lo
	s_cbranch_execz .LBB6_3777
; %bb.3770:                             ;   in Loop: Header=BB6_3361 Depth=3
	v_mov_b32_e32 v61, 0
	s_mov_b32 s17, exec_lo
	v_cmpx_ne_u32_e32 0, v62
	s_cbranch_execz .LBB6_3776
; %bb.3771:                             ;   in Loop: Header=BB6_3361 Depth=3
	v_bfe_u32 v61, v62, 23, 8
	s_delay_alu instid0(VALU_DEP_1) | instskip(SKIP_1) | instid1(VALU_DEP_2)
	v_sub_nc_u32_e32 v72, 0x78, v61
	v_cmp_gt_u32_e32 vcc_lo, 0x79, v61
	v_dual_cndmask_b32 v72, 0, v72 :: v_dual_and_b32 v63, 0x7fffff, v62
	s_delay_alu instid0(VALU_DEP_1) | instskip(SKIP_2) | instid1(VALU_DEP_4)
	v_or_b32_e32 v73, 0x800000, v63
	v_cmp_eq_u32_e32 vcc_lo, 0, v61
	v_add_nc_u32_e32 v61, 0xffffff89, v61
	v_cndmask_b32_e64 v72, v72, 0x77, vcc_lo
	s_delay_alu instid0(VALU_DEP_2) | instskip(SKIP_1) | instid1(VALU_DEP_3)
	v_cndmask_b32_e64 v61, v61, 0xffffff8a, vcc_lo
	v_cndmask_b32_e32 v63, v73, v63, vcc_lo
	v_lshl_add_u32 v73, 0x100000, v72, -1
	v_lshlrev_b32_e64 v76, v72, 0x80000
	s_delay_alu instid0(VALU_DEP_3) | instskip(SKIP_1) | instid1(VALU_DEP_4)
	v_lshrrev_b32_e32 v74, v72, v63
	v_add_nc_u32_e32 v72, v72, v61
	v_and_b32_e32 v63, v73, v63
	s_delay_alu instid0(VALU_DEP_3) | instskip(NEXT) | instid1(VALU_DEP_2)
	v_bfe_u32 v75, v74, 20, 1
	v_cmp_eq_u32_e64 s13, v63, v76
	s_delay_alu instid0(VALU_DEP_2) | instskip(NEXT) | instid1(VALU_DEP_1)
	v_add_nc_u32_e32 v73, -1, v75
	v_cndmask_b32_e64 v63, 0, v73, s13
	v_lshrrev_b32_e32 v73, 23, v74
	s_mov_b32 s13, exec_lo
	s_delay_alu instid0(VALU_DEP_2) | instskip(NEXT) | instid1(VALU_DEP_2)
	v_add_nc_u32_e32 v63, v63, v74
	v_xor_b32_e32 v73, 1, v73
	s_delay_alu instid0(VALU_DEP_2) | instskip(NEXT) | instid1(VALU_DEP_1)
	v_and_b32_e32 v61, 0xfffff, v63
	v_add_nc_u32_e32 v63, v61, v74
                                        ; implicit-def: $vgpr61
	s_delay_alu instid0(VALU_DEP_3)
	v_cmpx_ne_u32_e64 v72, v73
	s_xor_b32 s13, exec_lo, s13
; %bb.3772:                             ;   in Loop: Header=BB6_3361 Depth=3
	s_delay_alu instid0(VALU_DEP_2) | instskip(SKIP_2) | instid1(VALU_DEP_2)
	v_cmp_lt_u32_e32 vcc_lo, 0xffffff, v63
	v_sub_nc_u32_e32 v61, v72, v73
	v_cndmask_b32_e64 v72, 0, 1, vcc_lo
	v_add_co_ci_u32_e32 v61, vcc_lo, 0, v61, vcc_lo
	s_delay_alu instid0(VALU_DEP_2)
	v_lshrrev_b32_e32 v63, v72, v63
; %bb.3773:                             ;   in Loop: Header=BB6_3361 Depth=3
	s_and_not1_saveexec_b32 s13, s13
; %bb.3774:                             ;   in Loop: Header=BB6_3361 Depth=3
	s_delay_alu instid0(VALU_DEP_1)
	v_bfe_u32 v61, v63, 23, 1
; %bb.3775:                             ;   in Loop: Header=BB6_3361 Depth=3
	s_or_b32 exec_lo, exec_lo, s13
	v_lshrrev_b32_e32 v63, 20, v63
	s_delay_alu instid0(VALU_DEP_2) | instskip(SKIP_2) | instid1(VALU_DEP_2)
	v_cmp_gt_i32_e32 vcc_lo, 16, v61
	v_lshrrev_b32_e32 v62, 24, v62
	v_min_i32_e32 v72, 15, v61
	v_dual_cndmask_b32 v63, 7, v63 :: v_dual_and_b32 v62, 0x80, v62
	s_delay_alu instid0(VALU_DEP_1) | instskip(SKIP_1) | instid1(VALU_DEP_2)
	v_or_b32_e32 v61, v61, v63
	v_and_b32_e32 v73, 7, v63
	v_cmp_ne_u32_e32 vcc_lo, 0, v61
	v_lshlrev_b32_e32 v72, 3, v72
	s_delay_alu instid0(VALU_DEP_1) | instskip(NEXT) | instid1(VALU_DEP_1)
	v_or3_b32 v62, v72, v62, v73
	v_cndmask_b32_e32 v61, 0, v62, vcc_lo
.LBB6_3776:                             ;   in Loop: Header=BB6_3361 Depth=3
	s_or_b32 exec_lo, exec_lo, s17
.LBB6_3777:                             ;   in Loop: Header=BB6_3361 Depth=3
	s_delay_alu instid0(SALU_CYCLE_1) | instskip(SKIP_3) | instid1(VALU_DEP_1)
	s_or_b32 exec_lo, exec_lo, s16
	v_lshrrev_b32_e32 v63, 16, v34
	s_mov_b32 s13, 0
	s_mov_b32 s17, exec_lo
                                        ; implicit-def: $sgpr16
	v_and_b32_e32 v72, 0xff, v63
	s_delay_alu instid0(VALU_DEP_1)
	v_cmpx_lt_i16_e32 0x7f, v72
	s_xor_b32 s17, exec_lo, s17
	s_cbranch_execnz .LBB6_4591
; %bb.3778:                             ;   in Loop: Header=BB6_3361 Depth=3
	s_or_saveexec_b32 s17, s17
	v_mov_b32_e32 v62, s16
	s_xor_b32 exec_lo, exec_lo, s17
	s_cbranch_execnz .LBB6_4594
.LBB6_3779:                             ;   in Loop: Header=BB6_3361 Depth=3
	s_or_b32 exec_lo, exec_lo, s17
	s_and_saveexec_b32 s16, s13
	s_cbranch_execz .LBB6_3781
.LBB6_3780:                             ;   in Loop: Header=BB6_3361 Depth=3
	v_bfe_u32 v62, v34, 16, 3
	v_lshlrev_b32_e32 v74, 8, v34
	s_delay_alu instid0(VALU_DEP_2) | instskip(NEXT) | instid1(VALU_DEP_1)
	v_clz_i32_u32_e32 v72, v62
	v_min_u32_e32 v72, 32, v72
	s_delay_alu instid0(VALU_DEP_1) | instskip(SKIP_1) | instid1(VALU_DEP_2)
	v_subrev_nc_u32_e32 v73, 28, v72
	v_sub_nc_u32_e32 v72, 29, v72
	v_lshlrev_b32_e32 v63, v73, v63
	v_bfe_u32 v73, v34, 19, 4
	s_delay_alu instid0(VALU_DEP_1) | instskip(NEXT) | instid1(VALU_DEP_3)
	v_cmp_eq_u32_e32 vcc_lo, 0, v73
	v_dual_cndmask_b32 v72, v73, v72 :: v_dual_and_b32 v63, 7, v63
	s_delay_alu instid0(VALU_DEP_1) | instskip(NEXT) | instid1(VALU_DEP_2)
	v_dual_cndmask_b32 v62, v62, v63 :: v_dual_and_b32 v63, 0x80000000, v74
	v_lshl_add_u32 v72, v72, 23, 0x3b800000
	s_delay_alu instid0(VALU_DEP_2) | instskip(NEXT) | instid1(VALU_DEP_1)
	v_lshlrev_b32_e32 v62, 20, v62
	v_or3_b32 v62, v63, v72, v62
.LBB6_3781:                             ;   in Loop: Header=BB6_3361 Depth=3
	s_or_b32 exec_lo, exec_lo, s16
	v_lshrrev_b32_e32 v63, 16, v26
	s_mov_b32 s13, 0
	s_mov_b32 s17, exec_lo
                                        ; implicit-def: $sgpr16
	s_delay_alu instid0(VALU_DEP_1) | instskip(NEXT) | instid1(VALU_DEP_1)
	v_and_b32_e32 v73, 0xff, v63
	v_cmpx_lt_i16_e32 0x7f, v73
	s_xor_b32 s17, exec_lo, s17
	s_cbranch_execnz .LBB6_4595
; %bb.3782:                             ;   in Loop: Header=BB6_3361 Depth=3
	s_or_saveexec_b32 s17, s17
	v_mov_b32_e32 v72, s16
	s_xor_b32 exec_lo, exec_lo, s17
	s_cbranch_execnz .LBB6_4598
.LBB6_3783:                             ;   in Loop: Header=BB6_3361 Depth=3
	s_or_b32 exec_lo, exec_lo, s17
	s_and_saveexec_b32 s16, s13
	s_cbranch_execz .LBB6_3785
.LBB6_3784:                             ;   in Loop: Header=BB6_3361 Depth=3
	v_bfe_u32 v72, v26, 16, 3
	v_lshlrev_b32_e32 v75, 8, v26
	s_delay_alu instid0(VALU_DEP_2) | instskip(NEXT) | instid1(VALU_DEP_1)
	v_clz_i32_u32_e32 v73, v72
	v_min_u32_e32 v73, 32, v73
	s_delay_alu instid0(VALU_DEP_1) | instskip(SKIP_1) | instid1(VALU_DEP_2)
	v_subrev_nc_u32_e32 v74, 28, v73
	v_sub_nc_u32_e32 v73, 29, v73
	v_lshlrev_b32_e32 v63, v74, v63
	v_bfe_u32 v74, v26, 19, 4
	s_delay_alu instid0(VALU_DEP_2) | instskip(NEXT) | instid1(VALU_DEP_2)
	v_and_b32_e32 v63, 7, v63
	v_cmp_eq_u32_e32 vcc_lo, 0, v74
	v_cndmask_b32_e32 v73, v74, v73, vcc_lo
	s_delay_alu instid0(VALU_DEP_3) | instskip(SKIP_1) | instid1(VALU_DEP_3)
	v_cndmask_b32_e32 v63, v72, v63, vcc_lo
	v_and_b32_e32 v72, 0x80000000, v75
	v_lshl_add_u32 v73, v73, 23, 0x3b800000
	s_delay_alu instid0(VALU_DEP_3) | instskip(NEXT) | instid1(VALU_DEP_1)
	v_lshlrev_b32_e32 v63, 20, v63
	v_or3_b32 v72, v72, v73, v63
.LBB6_3785:                             ;   in Loop: Header=BB6_3361 Depth=3
	s_or_b32 exec_lo, exec_lo, s16
	s_delay_alu instid0(VALU_DEP_1) | instskip(NEXT) | instid1(VALU_DEP_1)
	v_add_f32_e32 v63, v62, v72
	v_and_b32_e32 v62, 0x7f800000, v63
	s_delay_alu instid0(VALU_DEP_1)
	v_cmp_ne_u32_e32 vcc_lo, 0x7f800000, v62
	v_mov_b32_e32 v62, 0x80
	s_and_saveexec_b32 s16, vcc_lo
	s_cbranch_execz .LBB6_3793
; %bb.3786:                             ;   in Loop: Header=BB6_3361 Depth=3
	v_mov_b32_e32 v62, 0
	s_mov_b32 s17, exec_lo
	v_cmpx_ne_u32_e32 0, v63
	s_cbranch_execz .LBB6_3792
; %bb.3787:                             ;   in Loop: Header=BB6_3361 Depth=3
	v_bfe_u32 v62, v63, 23, 8
	s_delay_alu instid0(VALU_DEP_1) | instskip(SKIP_1) | instid1(VALU_DEP_2)
	v_sub_nc_u32_e32 v73, 0x78, v62
	v_cmp_gt_u32_e32 vcc_lo, 0x79, v62
	v_dual_cndmask_b32 v73, 0, v73 :: v_dual_and_b32 v72, 0x7fffff, v63
	s_delay_alu instid0(VALU_DEP_1) | instskip(SKIP_2) | instid1(VALU_DEP_4)
	v_or_b32_e32 v74, 0x800000, v72
	v_cmp_eq_u32_e32 vcc_lo, 0, v62
	v_add_nc_u32_e32 v62, 0xffffff89, v62
	v_cndmask_b32_e64 v73, v73, 0x77, vcc_lo
	s_delay_alu instid0(VALU_DEP_2) | instskip(SKIP_1) | instid1(VALU_DEP_3)
	v_cndmask_b32_e64 v62, v62, 0xffffff8a, vcc_lo
	v_cndmask_b32_e32 v72, v74, v72, vcc_lo
	v_lshl_add_u32 v74, 0x100000, v73, -1
	v_lshlrev_b32_e64 v77, v73, 0x80000
	s_delay_alu instid0(VALU_DEP_3) | instskip(SKIP_1) | instid1(VALU_DEP_4)
	v_lshrrev_b32_e32 v75, v73, v72
	v_add_nc_u32_e32 v73, v73, v62
	v_and_b32_e32 v72, v74, v72
	s_delay_alu instid0(VALU_DEP_3) | instskip(NEXT) | instid1(VALU_DEP_2)
	v_bfe_u32 v76, v75, 20, 1
	v_cmp_eq_u32_e64 s13, v72, v77
	s_delay_alu instid0(VALU_DEP_2) | instskip(NEXT) | instid1(VALU_DEP_1)
	v_add_nc_u32_e32 v74, -1, v76
	v_cndmask_b32_e64 v72, 0, v74, s13
	v_lshrrev_b32_e32 v74, 23, v75
	s_mov_b32 s13, exec_lo
	s_delay_alu instid0(VALU_DEP_2) | instskip(NEXT) | instid1(VALU_DEP_2)
	v_add_nc_u32_e32 v72, v72, v75
	v_xor_b32_e32 v74, 1, v74
	s_delay_alu instid0(VALU_DEP_2) | instskip(NEXT) | instid1(VALU_DEP_1)
	v_and_b32_e32 v62, 0xfffff, v72
	v_add_nc_u32_e32 v72, v62, v75
                                        ; implicit-def: $vgpr62
	s_delay_alu instid0(VALU_DEP_3)
	v_cmpx_ne_u32_e64 v73, v74
	s_xor_b32 s13, exec_lo, s13
; %bb.3788:                             ;   in Loop: Header=BB6_3361 Depth=3
	s_delay_alu instid0(VALU_DEP_2) | instskip(SKIP_2) | instid1(VALU_DEP_2)
	v_cmp_lt_u32_e32 vcc_lo, 0xffffff, v72
	v_sub_nc_u32_e32 v62, v73, v74
	v_cndmask_b32_e64 v73, 0, 1, vcc_lo
	v_add_co_ci_u32_e32 v62, vcc_lo, 0, v62, vcc_lo
	s_delay_alu instid0(VALU_DEP_2)
	v_lshrrev_b32_e32 v72, v73, v72
; %bb.3789:                             ;   in Loop: Header=BB6_3361 Depth=3
	s_and_not1_saveexec_b32 s13, s13
; %bb.3790:                             ;   in Loop: Header=BB6_3361 Depth=3
	s_delay_alu instid0(VALU_DEP_1)
	v_bfe_u32 v62, v72, 23, 1
; %bb.3791:                             ;   in Loop: Header=BB6_3361 Depth=3
	s_or_b32 exec_lo, exec_lo, s13
	v_lshrrev_b32_e32 v72, 20, v72
	s_delay_alu instid0(VALU_DEP_2) | instskip(SKIP_2) | instid1(VALU_DEP_2)
	v_cmp_gt_i32_e32 vcc_lo, 16, v62
	v_lshrrev_b32_e32 v63, 24, v63
	v_min_i32_e32 v73, 15, v62
	v_dual_cndmask_b32 v72, 7, v72 :: v_dual_and_b32 v63, 0x80, v63
	s_delay_alu instid0(VALU_DEP_1) | instskip(SKIP_1) | instid1(VALU_DEP_2)
	v_or_b32_e32 v62, v62, v72
	v_and_b32_e32 v74, 7, v72
	v_cmp_ne_u32_e32 vcc_lo, 0, v62
	v_lshlrev_b32_e32 v73, 3, v73
	s_delay_alu instid0(VALU_DEP_1) | instskip(NEXT) | instid1(VALU_DEP_1)
	v_or3_b32 v63, v73, v63, v74
	v_cndmask_b32_e32 v62, 0, v63, vcc_lo
.LBB6_3792:                             ;   in Loop: Header=BB6_3361 Depth=3
	s_or_b32 exec_lo, exec_lo, s17
.LBB6_3793:                             ;   in Loop: Header=BB6_3361 Depth=3
	s_delay_alu instid0(SALU_CYCLE_1) | instskip(SKIP_3) | instid1(VALU_DEP_1)
	s_or_b32 exec_lo, exec_lo, s16
	v_lshrrev_b32_e32 v72, 24, v34
	s_mov_b32 s13, 0
	s_mov_b32 s17, exec_lo
                                        ; implicit-def: $sgpr16
	v_cmpx_lt_i16_e32 0x7f, v72
	s_xor_b32 s17, exec_lo, s17
	s_cbranch_execnz .LBB6_4599
; %bb.3794:                             ;   in Loop: Header=BB6_3361 Depth=3
	s_or_saveexec_b32 s17, s17
	v_mov_b32_e32 v63, s16
	s_xor_b32 exec_lo, exec_lo, s17
	s_cbranch_execnz .LBB6_4602
.LBB6_3795:                             ;   in Loop: Header=BB6_3361 Depth=3
	s_or_b32 exec_lo, exec_lo, s17
	s_and_saveexec_b32 s16, s13
	s_cbranch_execz .LBB6_3797
.LBB6_3796:                             ;   in Loop: Header=BB6_3361 Depth=3
	v_bfe_u32 v63, v34, 24, 3
	s_delay_alu instid0(VALU_DEP_1) | instskip(NEXT) | instid1(VALU_DEP_1)
	v_clz_i32_u32_e32 v73, v63
	v_min_u32_e32 v73, 32, v73
	s_delay_alu instid0(VALU_DEP_1) | instskip(SKIP_1) | instid1(VALU_DEP_2)
	v_subrev_nc_u32_e32 v74, 28, v73
	v_sub_nc_u32_e32 v73, 29, v73
	v_lshlrev_b32_e32 v72, v74, v72
	v_bfe_u32 v74, v34, 27, 4
	v_and_b32_e32 v34, 0x80000000, v34
	s_delay_alu instid0(VALU_DEP_2) | instskip(NEXT) | instid1(VALU_DEP_4)
	v_cmp_eq_u32_e32 vcc_lo, 0, v74
	v_dual_cndmask_b32 v73, v74, v73 :: v_dual_and_b32 v72, 7, v72
	s_delay_alu instid0(VALU_DEP_1) | instskip(NEXT) | instid1(VALU_DEP_2)
	v_cndmask_b32_e32 v63, v63, v72, vcc_lo
	v_lshl_add_u32 v72, v73, 23, 0x3b800000
	s_delay_alu instid0(VALU_DEP_2) | instskip(NEXT) | instid1(VALU_DEP_1)
	v_lshlrev_b32_e32 v63, 20, v63
	v_or3_b32 v63, v34, v72, v63
.LBB6_3797:                             ;   in Loop: Header=BB6_3361 Depth=3
	s_or_b32 exec_lo, exec_lo, s16
	v_lshrrev_b32_e32 v34, 24, v26
	s_mov_b32 s13, 0
	s_mov_b32 s17, exec_lo
                                        ; implicit-def: $sgpr16
	s_delay_alu instid0(VALU_DEP_1)
	v_cmpx_lt_i16_e32 0x7f, v34
	s_xor_b32 s17, exec_lo, s17
	s_cbranch_execnz .LBB6_4603
; %bb.3798:                             ;   in Loop: Header=BB6_3361 Depth=3
	s_or_saveexec_b32 s17, s17
	v_mov_b32_e32 v72, s16
	s_xor_b32 exec_lo, exec_lo, s17
	s_cbranch_execnz .LBB6_4606
.LBB6_3799:                             ;   in Loop: Header=BB6_3361 Depth=3
	s_or_b32 exec_lo, exec_lo, s17
	s_and_saveexec_b32 s16, s13
	s_cbranch_execz .LBB6_3801
.LBB6_3800:                             ;   in Loop: Header=BB6_3361 Depth=3
	v_bfe_u32 v72, v26, 24, 3
	s_delay_alu instid0(VALU_DEP_1) | instskip(NEXT) | instid1(VALU_DEP_1)
	v_clz_i32_u32_e32 v73, v72
	v_min_u32_e32 v73, 32, v73
	s_delay_alu instid0(VALU_DEP_1) | instskip(SKIP_1) | instid1(VALU_DEP_2)
	v_subrev_nc_u32_e32 v74, 28, v73
	v_sub_nc_u32_e32 v73, 29, v73
	v_lshlrev_b32_e32 v34, v74, v34
	v_bfe_u32 v74, v26, 27, 4
	v_and_b32_e32 v26, 0x80000000, v26
	s_delay_alu instid0(VALU_DEP_2) | instskip(NEXT) | instid1(VALU_DEP_4)
	v_cmp_eq_u32_e32 vcc_lo, 0, v74
	v_dual_cndmask_b32 v73, v74, v73 :: v_dual_and_b32 v34, 7, v34
	s_delay_alu instid0(VALU_DEP_1) | instskip(NEXT) | instid1(VALU_DEP_2)
	v_cndmask_b32_e32 v34, v72, v34, vcc_lo
	v_lshl_add_u32 v72, v73, 23, 0x3b800000
	s_delay_alu instid0(VALU_DEP_2) | instskip(NEXT) | instid1(VALU_DEP_1)
	v_lshlrev_b32_e32 v34, 20, v34
	v_or3_b32 v72, v26, v72, v34
.LBB6_3801:                             ;   in Loop: Header=BB6_3361 Depth=3
	s_or_b32 exec_lo, exec_lo, s16
	s_delay_alu instid0(VALU_DEP_1) | instskip(NEXT) | instid1(VALU_DEP_1)
	v_add_f32_e32 v34, v63, v72
	v_and_b32_e32 v26, 0x7f800000, v34
	s_delay_alu instid0(VALU_DEP_1)
	v_cmp_ne_u32_e32 vcc_lo, 0x7f800000, v26
	v_mov_b32_e32 v26, 0x80
	s_and_saveexec_b32 s16, vcc_lo
	s_cbranch_execz .LBB6_3809
; %bb.3802:                             ;   in Loop: Header=BB6_3361 Depth=3
	v_mov_b32_e32 v26, 0
	s_mov_b32 s17, exec_lo
	v_cmpx_ne_u32_e32 0, v34
	s_cbranch_execz .LBB6_3808
; %bb.3803:                             ;   in Loop: Header=BB6_3361 Depth=3
	v_bfe_u32 v26, v34, 23, 8
	s_delay_alu instid0(VALU_DEP_1) | instskip(SKIP_1) | instid1(VALU_DEP_2)
	v_sub_nc_u32_e32 v72, 0x78, v26
	v_cmp_gt_u32_e32 vcc_lo, 0x79, v26
	v_dual_cndmask_b32 v72, 0, v72 :: v_dual_and_b32 v63, 0x7fffff, v34
	s_delay_alu instid0(VALU_DEP_1) | instskip(SKIP_2) | instid1(VALU_DEP_4)
	v_or_b32_e32 v73, 0x800000, v63
	v_cmp_eq_u32_e32 vcc_lo, 0, v26
	v_add_nc_u32_e32 v26, 0xffffff89, v26
	v_cndmask_b32_e64 v72, v72, 0x77, vcc_lo
	s_delay_alu instid0(VALU_DEP_4) | instskip(NEXT) | instid1(VALU_DEP_3)
	v_cndmask_b32_e32 v63, v73, v63, vcc_lo
	v_cndmask_b32_e64 v26, v26, 0xffffff8a, vcc_lo
	s_delay_alu instid0(VALU_DEP_3) | instskip(NEXT) | instid1(VALU_DEP_3)
	v_lshl_add_u32 v73, 0x100000, v72, -1
	v_lshrrev_b32_e32 v74, v72, v63
	v_lshlrev_b32_e64 v76, v72, 0x80000
	s_delay_alu instid0(VALU_DEP_4) | instskip(NEXT) | instid1(VALU_DEP_4)
	v_add_nc_u32_e32 v72, v72, v26
	v_and_b32_e32 v63, v73, v63
	s_delay_alu instid0(VALU_DEP_4) | instskip(NEXT) | instid1(VALU_DEP_2)
	v_bfe_u32 v75, v74, 20, 1
	v_cmp_eq_u32_e64 s13, v63, v76
	s_delay_alu instid0(VALU_DEP_2) | instskip(NEXT) | instid1(VALU_DEP_1)
	v_add_nc_u32_e32 v73, -1, v75
	v_cndmask_b32_e64 v63, 0, v73, s13
	v_lshrrev_b32_e32 v73, 23, v74
	s_mov_b32 s13, exec_lo
	s_delay_alu instid0(VALU_DEP_2) | instskip(NEXT) | instid1(VALU_DEP_2)
	v_add_nc_u32_e32 v63, v63, v74
	v_xor_b32_e32 v73, 1, v73
	s_delay_alu instid0(VALU_DEP_2) | instskip(NEXT) | instid1(VALU_DEP_1)
	v_and_b32_e32 v26, 0xfffff, v63
	v_add_nc_u32_e32 v63, v26, v74
                                        ; implicit-def: $vgpr26
	s_delay_alu instid0(VALU_DEP_3)
	v_cmpx_ne_u32_e64 v72, v73
	s_xor_b32 s13, exec_lo, s13
; %bb.3804:                             ;   in Loop: Header=BB6_3361 Depth=3
	s_delay_alu instid0(VALU_DEP_2) | instskip(SKIP_2) | instid1(VALU_DEP_2)
	v_cmp_lt_u32_e32 vcc_lo, 0xffffff, v63
	v_sub_nc_u32_e32 v26, v72, v73
	v_cndmask_b32_e64 v72, 0, 1, vcc_lo
	v_add_co_ci_u32_e32 v26, vcc_lo, 0, v26, vcc_lo
	s_delay_alu instid0(VALU_DEP_2)
	v_lshrrev_b32_e32 v63, v72, v63
; %bb.3805:                             ;   in Loop: Header=BB6_3361 Depth=3
	s_and_not1_saveexec_b32 s13, s13
; %bb.3806:                             ;   in Loop: Header=BB6_3361 Depth=3
	s_delay_alu instid0(VALU_DEP_1)
	v_bfe_u32 v26, v63, 23, 1
; %bb.3807:                             ;   in Loop: Header=BB6_3361 Depth=3
	s_or_b32 exec_lo, exec_lo, s13
	v_lshrrev_b32_e32 v63, 20, v63
	s_delay_alu instid0(VALU_DEP_2) | instskip(SKIP_2) | instid1(VALU_DEP_2)
	v_cmp_gt_i32_e32 vcc_lo, 16, v26
	v_lshrrev_b32_e32 v34, 24, v34
	v_min_i32_e32 v72, 15, v26
	v_dual_cndmask_b32 v63, 7, v63 :: v_dual_and_b32 v34, 0x80, v34
	s_delay_alu instid0(VALU_DEP_2) | instskip(NEXT) | instid1(VALU_DEP_2)
	v_lshlrev_b32_e32 v72, 3, v72
	v_or_b32_e32 v26, v26, v63
	s_delay_alu instid0(VALU_DEP_1) | instskip(SKIP_1) | instid1(VALU_DEP_1)
	v_cmp_ne_u32_e32 vcc_lo, 0, v26
	v_and_b32_e32 v73, 7, v63
	v_or3_b32 v34, v72, v34, v73
	s_delay_alu instid0(VALU_DEP_1)
	v_cndmask_b32_e32 v26, 0, v34, vcc_lo
.LBB6_3808:                             ;   in Loop: Header=BB6_3361 Depth=3
	s_or_b32 exec_lo, exec_lo, s17
.LBB6_3809:                             ;   in Loop: Header=BB6_3361 Depth=3
	s_delay_alu instid0(SALU_CYCLE_1) | instskip(SKIP_3) | instid1(VALU_DEP_1)
	s_or_b32 exec_lo, exec_lo, s16
	v_and_b32_e32 v63, 0xff, v35
	s_mov_b32 s13, 0
	s_mov_b32 s17, exec_lo
                                        ; implicit-def: $sgpr16
	v_cmpx_lt_i16_e32 0x7f, v63
	s_xor_b32 s17, exec_lo, s17
	s_cbranch_execnz .LBB6_4607
; %bb.3810:                             ;   in Loop: Header=BB6_3361 Depth=3
	s_or_saveexec_b32 s17, s17
	v_mov_b32_e32 v34, s16
	s_xor_b32 exec_lo, exec_lo, s17
	s_cbranch_execnz .LBB6_4610
.LBB6_3811:                             ;   in Loop: Header=BB6_3361 Depth=3
	s_or_b32 exec_lo, exec_lo, s17
	s_and_saveexec_b32 s16, s13
	s_cbranch_execz .LBB6_3813
.LBB6_3812:                             ;   in Loop: Header=BB6_3361 Depth=3
	v_and_b32_e32 v34, 7, v35
	v_bfe_u32 v73, v35, 3, 4
	v_lshlrev_b32_e32 v74, 24, v35
	s_delay_alu instid0(VALU_DEP_3) | instskip(NEXT) | instid1(VALU_DEP_3)
	v_clz_i32_u32_e32 v63, v34
	v_cmp_eq_u32_e32 vcc_lo, 0, v73
	s_delay_alu instid0(VALU_DEP_2) | instskip(NEXT) | instid1(VALU_DEP_1)
	v_min_u32_e32 v63, 32, v63
	v_subrev_nc_u32_e32 v72, 28, v63
	v_sub_nc_u32_e32 v63, 29, v63
	s_delay_alu instid0(VALU_DEP_2) | instskip(NEXT) | instid1(VALU_DEP_1)
	v_lshlrev_b32_e32 v72, v72, v35
	v_dual_cndmask_b32 v63, v73, v63 :: v_dual_and_b32 v72, 7, v72
	s_delay_alu instid0(VALU_DEP_1) | instskip(NEXT) | instid1(VALU_DEP_2)
	v_lshl_add_u32 v63, v63, 23, 0x3b800000
	v_cndmask_b32_e32 v34, v34, v72, vcc_lo
	v_and_b32_e32 v72, 0x80000000, v74
	s_delay_alu instid0(VALU_DEP_2) | instskip(NEXT) | instid1(VALU_DEP_1)
	v_lshlrev_b32_e32 v34, 20, v34
	v_or3_b32 v34, v72, v63, v34
.LBB6_3813:                             ;   in Loop: Header=BB6_3361 Depth=3
	s_or_b32 exec_lo, exec_lo, s16
	v_and_b32_e32 v72, 0xff, v27
	s_mov_b32 s13, 0
	s_mov_b32 s17, exec_lo
                                        ; implicit-def: $sgpr16
	s_delay_alu instid0(VALU_DEP_1)
	v_cmpx_lt_i16_e32 0x7f, v72
	s_xor_b32 s17, exec_lo, s17
	s_cbranch_execnz .LBB6_4611
; %bb.3814:                             ;   in Loop: Header=BB6_3361 Depth=3
	s_or_saveexec_b32 s17, s17
	v_mov_b32_e32 v63, s16
	s_xor_b32 exec_lo, exec_lo, s17
	s_cbranch_execnz .LBB6_4614
.LBB6_3815:                             ;   in Loop: Header=BB6_3361 Depth=3
	s_or_b32 exec_lo, exec_lo, s17
	s_and_saveexec_b32 s16, s13
	s_cbranch_execz .LBB6_3817
.LBB6_3816:                             ;   in Loop: Header=BB6_3361 Depth=3
	v_bfe_u32 v74, v27, 3, 4
	v_lshlrev_b32_e32 v75, 24, v27
	s_delay_alu instid0(VALU_DEP_2) | instskip(SKIP_1) | instid1(VALU_DEP_1)
	v_cmp_eq_u32_e32 vcc_lo, 0, v74
	v_and_b32_e32 v63, 7, v27
	v_clz_i32_u32_e32 v72, v63
	s_delay_alu instid0(VALU_DEP_1) | instskip(NEXT) | instid1(VALU_DEP_1)
	v_min_u32_e32 v72, 32, v72
	v_subrev_nc_u32_e32 v73, 28, v72
	v_sub_nc_u32_e32 v72, 29, v72
	s_delay_alu instid0(VALU_DEP_1) | instskip(NEXT) | instid1(VALU_DEP_1)
	v_dual_cndmask_b32 v72, v74, v72 :: v_dual_lshlrev_b32 v73, v73, v27
	v_and_b32_e32 v73, 7, v73
	s_delay_alu instid0(VALU_DEP_2) | instskip(NEXT) | instid1(VALU_DEP_2)
	v_lshl_add_u32 v72, v72, 23, 0x3b800000
	v_cndmask_b32_e32 v63, v63, v73, vcc_lo
	v_and_b32_e32 v73, 0x80000000, v75
	s_delay_alu instid0(VALU_DEP_2) | instskip(NEXT) | instid1(VALU_DEP_1)
	v_lshlrev_b32_e32 v63, 20, v63
	v_or3_b32 v63, v73, v72, v63
.LBB6_3817:                             ;   in Loop: Header=BB6_3361 Depth=3
	s_or_b32 exec_lo, exec_lo, s16
	s_delay_alu instid0(VALU_DEP_1) | instskip(NEXT) | instid1(VALU_DEP_1)
	v_add_f32_e32 v63, v34, v63
	v_and_b32_e32 v34, 0x7f800000, v63
	s_delay_alu instid0(VALU_DEP_1)
	v_cmp_ne_u32_e32 vcc_lo, 0x7f800000, v34
	v_mov_b32_e32 v34, 0x80
	s_and_saveexec_b32 s16, vcc_lo
	s_cbranch_execz .LBB6_3825
; %bb.3818:                             ;   in Loop: Header=BB6_3361 Depth=3
	v_mov_b32_e32 v34, 0
	s_mov_b32 s17, exec_lo
	v_cmpx_ne_u32_e32 0, v63
	s_cbranch_execz .LBB6_3824
; %bb.3819:                             ;   in Loop: Header=BB6_3361 Depth=3
	v_bfe_u32 v34, v63, 23, 8
	s_delay_alu instid0(VALU_DEP_1) | instskip(SKIP_1) | instid1(VALU_DEP_2)
	v_sub_nc_u32_e32 v73, 0x78, v34
	v_cmp_gt_u32_e32 vcc_lo, 0x79, v34
	v_dual_cndmask_b32 v73, 0, v73 :: v_dual_and_b32 v72, 0x7fffff, v63
	s_delay_alu instid0(VALU_DEP_1) | instskip(SKIP_2) | instid1(VALU_DEP_4)
	v_or_b32_e32 v74, 0x800000, v72
	v_cmp_eq_u32_e32 vcc_lo, 0, v34
	v_add_nc_u32_e32 v34, 0xffffff89, v34
	v_cndmask_b32_e64 v73, v73, 0x77, vcc_lo
	s_delay_alu instid0(VALU_DEP_2) | instskip(SKIP_1) | instid1(VALU_DEP_3)
	v_cndmask_b32_e64 v34, v34, 0xffffff8a, vcc_lo
	v_cndmask_b32_e32 v72, v74, v72, vcc_lo
	v_lshl_add_u32 v74, 0x100000, v73, -1
	v_lshlrev_b32_e64 v77, v73, 0x80000
	s_delay_alu instid0(VALU_DEP_3) | instskip(SKIP_1) | instid1(VALU_DEP_4)
	v_lshrrev_b32_e32 v75, v73, v72
	v_add_nc_u32_e32 v73, v73, v34
	v_and_b32_e32 v72, v74, v72
	s_delay_alu instid0(VALU_DEP_3) | instskip(NEXT) | instid1(VALU_DEP_2)
	v_bfe_u32 v76, v75, 20, 1
	v_cmp_eq_u32_e64 s13, v72, v77
	s_delay_alu instid0(VALU_DEP_2) | instskip(NEXT) | instid1(VALU_DEP_1)
	v_add_nc_u32_e32 v74, -1, v76
	v_cndmask_b32_e64 v72, 0, v74, s13
	v_lshrrev_b32_e32 v74, 23, v75
	s_mov_b32 s13, exec_lo
	s_delay_alu instid0(VALU_DEP_2) | instskip(NEXT) | instid1(VALU_DEP_2)
	v_add_nc_u32_e32 v72, v72, v75
	v_xor_b32_e32 v74, 1, v74
	s_delay_alu instid0(VALU_DEP_2) | instskip(NEXT) | instid1(VALU_DEP_1)
	v_and_b32_e32 v34, 0xfffff, v72
	v_add_nc_u32_e32 v72, v34, v75
                                        ; implicit-def: $vgpr34
	s_delay_alu instid0(VALU_DEP_3)
	v_cmpx_ne_u32_e64 v73, v74
	s_xor_b32 s13, exec_lo, s13
; %bb.3820:                             ;   in Loop: Header=BB6_3361 Depth=3
	s_delay_alu instid0(VALU_DEP_2) | instskip(SKIP_2) | instid1(VALU_DEP_2)
	v_cmp_lt_u32_e32 vcc_lo, 0xffffff, v72
	v_sub_nc_u32_e32 v34, v73, v74
	v_cndmask_b32_e64 v73, 0, 1, vcc_lo
	v_add_co_ci_u32_e32 v34, vcc_lo, 0, v34, vcc_lo
	s_delay_alu instid0(VALU_DEP_2)
	v_lshrrev_b32_e32 v72, v73, v72
; %bb.3821:                             ;   in Loop: Header=BB6_3361 Depth=3
	s_and_not1_saveexec_b32 s13, s13
; %bb.3822:                             ;   in Loop: Header=BB6_3361 Depth=3
	s_delay_alu instid0(VALU_DEP_1)
	v_bfe_u32 v34, v72, 23, 1
; %bb.3823:                             ;   in Loop: Header=BB6_3361 Depth=3
	s_or_b32 exec_lo, exec_lo, s13
	v_lshrrev_b32_e32 v72, 20, v72
	s_delay_alu instid0(VALU_DEP_2) | instskip(SKIP_2) | instid1(VALU_DEP_2)
	v_cmp_gt_i32_e32 vcc_lo, 16, v34
	v_lshrrev_b32_e32 v63, 24, v63
	v_min_i32_e32 v73, 15, v34
	v_dual_cndmask_b32 v72, 7, v72 :: v_dual_and_b32 v63, 0x80, v63
	s_delay_alu instid0(VALU_DEP_1) | instskip(SKIP_1) | instid1(VALU_DEP_2)
	v_or_b32_e32 v34, v34, v72
	v_and_b32_e32 v74, 7, v72
	v_cmp_ne_u32_e32 vcc_lo, 0, v34
	v_lshlrev_b32_e32 v73, 3, v73
	s_delay_alu instid0(VALU_DEP_1) | instskip(NEXT) | instid1(VALU_DEP_1)
	v_or3_b32 v63, v73, v63, v74
	v_cndmask_b32_e32 v34, 0, v63, vcc_lo
.LBB6_3824:                             ;   in Loop: Header=BB6_3361 Depth=3
	s_or_b32 exec_lo, exec_lo, s17
.LBB6_3825:                             ;   in Loop: Header=BB6_3361 Depth=3
	s_delay_alu instid0(SALU_CYCLE_1) | instskip(SKIP_3) | instid1(VALU_DEP_1)
	s_or_b32 exec_lo, exec_lo, s16
	v_lshrrev_b16 v72, 8, v35
	s_mov_b32 s13, 0
	s_mov_b32 s17, exec_lo
                                        ; implicit-def: $sgpr16
	v_cmpx_lt_i16_e32 0x7f, v72
	s_xor_b32 s17, exec_lo, s17
	s_cbranch_execnz .LBB6_4615
; %bb.3826:                             ;   in Loop: Header=BB6_3361 Depth=3
	s_or_saveexec_b32 s17, s17
	v_mov_b32_e32 v63, s16
	s_xor_b32 exec_lo, exec_lo, s17
	s_cbranch_execnz .LBB6_4618
.LBB6_3827:                             ;   in Loop: Header=BB6_3361 Depth=3
	s_or_b32 exec_lo, exec_lo, s17
	s_and_saveexec_b32 s16, s13
	s_cbranch_execz .LBB6_3829
.LBB6_3828:                             ;   in Loop: Header=BB6_3361 Depth=3
	v_and_b32_e32 v63, 0xffff, v72
	s_delay_alu instid0(VALU_DEP_1) | instskip(NEXT) | instid1(VALU_DEP_1)
	v_and_b32_e32 v73, 7, v63
	v_clz_i32_u32_e32 v74, v73
	s_delay_alu instid0(VALU_DEP_1) | instskip(NEXT) | instid1(VALU_DEP_1)
	v_min_u32_e32 v74, 32, v74
	v_subrev_nc_u32_e32 v75, 28, v74
	v_sub_nc_u32_e32 v74, 29, v74
	s_delay_alu instid0(VALU_DEP_2) | instskip(SKIP_1) | instid1(VALU_DEP_2)
	v_lshlrev_b32_e32 v75, v75, v63
	v_bfe_u32 v63, v63, 3, 4
	v_and_b32_e32 v75, 7, v75
	s_delay_alu instid0(VALU_DEP_2) | instskip(SKIP_1) | instid1(VALU_DEP_1)
	v_cmp_eq_u32_e32 vcc_lo, 0, v63
	v_dual_cndmask_b32 v63, v63, v74 :: v_dual_lshlrev_b32 v72, 24, v72
	v_dual_cndmask_b32 v73, v73, v75 :: v_dual_and_b32 v72, 0x80000000, v72
	s_delay_alu instid0(VALU_DEP_2) | instskip(NEXT) | instid1(VALU_DEP_2)
	v_lshl_add_u32 v63, v63, 23, 0x3b800000
	v_lshlrev_b32_e32 v73, 20, v73
	s_delay_alu instid0(VALU_DEP_1)
	v_or3_b32 v63, v72, v63, v73
.LBB6_3829:                             ;   in Loop: Header=BB6_3361 Depth=3
	s_or_b32 exec_lo, exec_lo, s16
	v_lshrrev_b16 v72, 8, v27
	s_mov_b32 s13, 0
	s_mov_b32 s17, exec_lo
                                        ; implicit-def: $sgpr16
	s_delay_alu instid0(VALU_DEP_1)
	v_cmpx_lt_i16_e32 0x7f, v72
	s_xor_b32 s17, exec_lo, s17
	s_cbranch_execnz .LBB6_4619
; %bb.3830:                             ;   in Loop: Header=BB6_3361 Depth=3
	s_or_saveexec_b32 s17, s17
	v_mov_b32_e32 v73, s16
	s_xor_b32 exec_lo, exec_lo, s17
	s_cbranch_execnz .LBB6_4622
.LBB6_3831:                             ;   in Loop: Header=BB6_3361 Depth=3
	s_or_b32 exec_lo, exec_lo, s17
	s_and_saveexec_b32 s16, s13
	s_cbranch_execz .LBB6_3833
.LBB6_3832:                             ;   in Loop: Header=BB6_3361 Depth=3
	v_and_b32_e32 v73, 0xffff, v72
	v_lshlrev_b32_e32 v72, 24, v72
	s_delay_alu instid0(VALU_DEP_2) | instskip(NEXT) | instid1(VALU_DEP_2)
	v_and_b32_e32 v74, 7, v73
	v_and_b32_e32 v72, 0x80000000, v72
	s_delay_alu instid0(VALU_DEP_2) | instskip(NEXT) | instid1(VALU_DEP_1)
	v_clz_i32_u32_e32 v75, v74
	v_min_u32_e32 v75, 32, v75
	s_delay_alu instid0(VALU_DEP_1) | instskip(SKIP_1) | instid1(VALU_DEP_2)
	v_subrev_nc_u32_e32 v76, 28, v75
	v_sub_nc_u32_e32 v75, 29, v75
	v_lshlrev_b32_e32 v76, v76, v73
	v_bfe_u32 v73, v73, 3, 4
	s_delay_alu instid0(VALU_DEP_2) | instskip(NEXT) | instid1(VALU_DEP_2)
	v_and_b32_e32 v76, 7, v76
	v_cmp_eq_u32_e32 vcc_lo, 0, v73
	s_delay_alu instid0(VALU_DEP_2) | instskip(NEXT) | instid1(VALU_DEP_1)
	v_dual_cndmask_b32 v73, v73, v75 :: v_dual_cndmask_b32 v74, v74, v76
	v_lshl_add_u32 v73, v73, 23, 0x3b800000
	s_delay_alu instid0(VALU_DEP_2) | instskip(NEXT) | instid1(VALU_DEP_1)
	v_lshlrev_b32_e32 v74, 20, v74
	v_or3_b32 v73, v72, v73, v74
.LBB6_3833:                             ;   in Loop: Header=BB6_3361 Depth=3
	s_or_b32 exec_lo, exec_lo, s16
	s_delay_alu instid0(VALU_DEP_1) | instskip(NEXT) | instid1(VALU_DEP_1)
	v_add_f32_e32 v72, v63, v73
	v_and_b32_e32 v63, 0x7f800000, v72
	s_delay_alu instid0(VALU_DEP_1)
	v_cmp_ne_u32_e32 vcc_lo, 0x7f800000, v63
	v_mov_b32_e32 v63, 0x8000
	s_and_saveexec_b32 s16, vcc_lo
	s_cbranch_execz .LBB6_3841
; %bb.3834:                             ;   in Loop: Header=BB6_3361 Depth=3
	v_mov_b32_e32 v63, 0
	s_mov_b32 s17, exec_lo
	v_cmpx_ne_u32_e32 0, v72
	s_cbranch_execz .LBB6_3840
; %bb.3835:                             ;   in Loop: Header=BB6_3361 Depth=3
	v_bfe_u32 v63, v72, 23, 8
	s_delay_alu instid0(VALU_DEP_1) | instskip(SKIP_1) | instid1(VALU_DEP_2)
	v_sub_nc_u32_e32 v74, 0x78, v63
	v_cmp_gt_u32_e32 vcc_lo, 0x79, v63
	v_dual_cndmask_b32 v74, 0, v74 :: v_dual_and_b32 v73, 0x7fffff, v72
	s_delay_alu instid0(VALU_DEP_1) | instskip(SKIP_2) | instid1(VALU_DEP_4)
	v_or_b32_e32 v75, 0x800000, v73
	v_cmp_eq_u32_e32 vcc_lo, 0, v63
	v_add_nc_u32_e32 v63, 0xffffff89, v63
	v_cndmask_b32_e64 v74, v74, 0x77, vcc_lo
	s_delay_alu instid0(VALU_DEP_2) | instskip(SKIP_1) | instid1(VALU_DEP_3)
	v_cndmask_b32_e64 v63, v63, 0xffffff8a, vcc_lo
	v_cndmask_b32_e32 v73, v75, v73, vcc_lo
	v_lshl_add_u32 v75, 0x100000, v74, -1
	v_lshlrev_b32_e64 v78, v74, 0x80000
	s_delay_alu instid0(VALU_DEP_3) | instskip(SKIP_1) | instid1(VALU_DEP_4)
	v_lshrrev_b32_e32 v76, v74, v73
	v_add_nc_u32_e32 v74, v74, v63
	v_and_b32_e32 v73, v75, v73
	s_delay_alu instid0(VALU_DEP_3) | instskip(NEXT) | instid1(VALU_DEP_2)
	v_bfe_u32 v77, v76, 20, 1
	v_cmp_eq_u32_e64 s13, v73, v78
	s_delay_alu instid0(VALU_DEP_2) | instskip(NEXT) | instid1(VALU_DEP_1)
	v_add_nc_u32_e32 v75, -1, v77
	v_cndmask_b32_e64 v73, 0, v75, s13
	v_lshrrev_b32_e32 v75, 23, v76
	s_mov_b32 s13, exec_lo
	s_delay_alu instid0(VALU_DEP_2) | instskip(NEXT) | instid1(VALU_DEP_2)
	v_add_nc_u32_e32 v73, v73, v76
	v_xor_b32_e32 v75, 1, v75
	s_delay_alu instid0(VALU_DEP_2) | instskip(NEXT) | instid1(VALU_DEP_1)
	v_and_b32_e32 v63, 0xfffff, v73
	v_add_nc_u32_e32 v73, v63, v76
                                        ; implicit-def: $vgpr63
	s_delay_alu instid0(VALU_DEP_3)
	v_cmpx_ne_u32_e64 v74, v75
	s_xor_b32 s13, exec_lo, s13
; %bb.3836:                             ;   in Loop: Header=BB6_3361 Depth=3
	s_delay_alu instid0(VALU_DEP_2) | instskip(SKIP_2) | instid1(VALU_DEP_2)
	v_cmp_lt_u32_e32 vcc_lo, 0xffffff, v73
	v_sub_nc_u32_e32 v63, v74, v75
	v_cndmask_b32_e64 v74, 0, 1, vcc_lo
	v_add_co_ci_u32_e32 v63, vcc_lo, 0, v63, vcc_lo
	s_delay_alu instid0(VALU_DEP_2)
	v_lshrrev_b32_e32 v73, v74, v73
; %bb.3837:                             ;   in Loop: Header=BB6_3361 Depth=3
	s_and_not1_saveexec_b32 s13, s13
; %bb.3838:                             ;   in Loop: Header=BB6_3361 Depth=3
	s_delay_alu instid0(VALU_DEP_1)
	v_bfe_u32 v63, v73, 23, 1
; %bb.3839:                             ;   in Loop: Header=BB6_3361 Depth=3
	s_or_b32 exec_lo, exec_lo, s13
	v_lshrrev_b32_e32 v73, 20, v73
	s_delay_alu instid0(VALU_DEP_2) | instskip(SKIP_2) | instid1(VALU_DEP_2)
	v_cmp_gt_i32_e32 vcc_lo, 16, v63
	v_min_i32_e32 v74, 15, v63
	v_lshrrev_b32_e32 v72, 24, v72
	v_dual_cndmask_b32 v73, 7, v73 :: v_dual_lshlrev_b32 v74, 3, v74
	s_delay_alu instid0(VALU_DEP_2) | instskip(NEXT) | instid1(VALU_DEP_2)
	v_and_b32_e32 v72, 0x80, v72
	v_or_b32_e32 v63, v63, v73
	v_and_b32_e32 v75, 7, v73
	s_delay_alu instid0(VALU_DEP_2) | instskip(SKIP_1) | instid1(VALU_DEP_1)
	v_cmp_ne_u32_e32 vcc_lo, 0, v63
	v_and_b32_e32 v74, 0xf8, v74
	v_or3_b32 v72, v72, v74, v75
	s_delay_alu instid0(VALU_DEP_1) | instskip(NEXT) | instid1(VALU_DEP_1)
	v_lshlrev_b32_e32 v72, 8, v72
	v_cndmask_b32_e32 v63, 0, v72, vcc_lo
.LBB6_3840:                             ;   in Loop: Header=BB6_3361 Depth=3
	s_or_b32 exec_lo, exec_lo, s17
.LBB6_3841:                             ;   in Loop: Header=BB6_3361 Depth=3
	s_delay_alu instid0(SALU_CYCLE_1) | instskip(SKIP_3) | instid1(VALU_DEP_1)
	s_or_b32 exec_lo, exec_lo, s16
	v_lshrrev_b32_e32 v73, 16, v35
	s_mov_b32 s13, 0
	s_mov_b32 s17, exec_lo
                                        ; implicit-def: $sgpr16
	v_and_b32_e32 v74, 0xff, v73
	s_delay_alu instid0(VALU_DEP_1)
	v_cmpx_lt_i16_e32 0x7f, v74
	s_xor_b32 s17, exec_lo, s17
	s_cbranch_execnz .LBB6_4623
; %bb.3842:                             ;   in Loop: Header=BB6_3361 Depth=3
	s_or_saveexec_b32 s17, s17
	v_mov_b32_e32 v72, s16
	s_xor_b32 exec_lo, exec_lo, s17
	s_cbranch_execnz .LBB6_4626
.LBB6_3843:                             ;   in Loop: Header=BB6_3361 Depth=3
	s_or_b32 exec_lo, exec_lo, s17
	s_and_saveexec_b32 s16, s13
	s_cbranch_execz .LBB6_3845
.LBB6_3844:                             ;   in Loop: Header=BB6_3361 Depth=3
	v_bfe_u32 v72, v35, 16, 3
	v_lshlrev_b32_e32 v76, 8, v35
	s_delay_alu instid0(VALU_DEP_2) | instskip(NEXT) | instid1(VALU_DEP_1)
	v_clz_i32_u32_e32 v74, v72
	v_min_u32_e32 v74, 32, v74
	s_delay_alu instid0(VALU_DEP_1) | instskip(SKIP_1) | instid1(VALU_DEP_2)
	v_subrev_nc_u32_e32 v75, 28, v74
	v_sub_nc_u32_e32 v74, 29, v74
	v_lshlrev_b32_e32 v73, v75, v73
	v_bfe_u32 v75, v35, 19, 4
	s_delay_alu instid0(VALU_DEP_1) | instskip(NEXT) | instid1(VALU_DEP_3)
	v_cmp_eq_u32_e32 vcc_lo, 0, v75
	v_dual_cndmask_b32 v74, v75, v74 :: v_dual_and_b32 v73, 7, v73
	s_delay_alu instid0(VALU_DEP_1) | instskip(NEXT) | instid1(VALU_DEP_2)
	v_dual_cndmask_b32 v72, v72, v73 :: v_dual_and_b32 v73, 0x80000000, v76
	v_lshl_add_u32 v74, v74, 23, 0x3b800000
	s_delay_alu instid0(VALU_DEP_2) | instskip(NEXT) | instid1(VALU_DEP_1)
	v_lshlrev_b32_e32 v72, 20, v72
	v_or3_b32 v72, v73, v74, v72
.LBB6_3845:                             ;   in Loop: Header=BB6_3361 Depth=3
	s_or_b32 exec_lo, exec_lo, s16
	v_lshrrev_b32_e32 v73, 16, v27
	s_mov_b32 s13, 0
	s_mov_b32 s17, exec_lo
                                        ; implicit-def: $sgpr16
	s_delay_alu instid0(VALU_DEP_1) | instskip(NEXT) | instid1(VALU_DEP_1)
	v_and_b32_e32 v75, 0xff, v73
	v_cmpx_lt_i16_e32 0x7f, v75
	s_xor_b32 s17, exec_lo, s17
	s_cbranch_execnz .LBB6_4627
; %bb.3846:                             ;   in Loop: Header=BB6_3361 Depth=3
	s_or_saveexec_b32 s17, s17
	v_mov_b32_e32 v74, s16
	s_xor_b32 exec_lo, exec_lo, s17
	s_cbranch_execnz .LBB6_4630
.LBB6_3847:                             ;   in Loop: Header=BB6_3361 Depth=3
	s_or_b32 exec_lo, exec_lo, s17
	s_and_saveexec_b32 s16, s13
	s_cbranch_execz .LBB6_3849
.LBB6_3848:                             ;   in Loop: Header=BB6_3361 Depth=3
	v_bfe_u32 v74, v27, 16, 3
	v_lshlrev_b32_e32 v77, 8, v27
	s_delay_alu instid0(VALU_DEP_2) | instskip(NEXT) | instid1(VALU_DEP_1)
	v_clz_i32_u32_e32 v75, v74
	v_min_u32_e32 v75, 32, v75
	s_delay_alu instid0(VALU_DEP_1) | instskip(SKIP_1) | instid1(VALU_DEP_2)
	v_subrev_nc_u32_e32 v76, 28, v75
	v_sub_nc_u32_e32 v75, 29, v75
	v_lshlrev_b32_e32 v73, v76, v73
	v_bfe_u32 v76, v27, 19, 4
	s_delay_alu instid0(VALU_DEP_2) | instskip(NEXT) | instid1(VALU_DEP_2)
	v_and_b32_e32 v73, 7, v73
	v_cmp_eq_u32_e32 vcc_lo, 0, v76
	v_cndmask_b32_e32 v75, v76, v75, vcc_lo
	s_delay_alu instid0(VALU_DEP_3) | instskip(SKIP_1) | instid1(VALU_DEP_3)
	v_cndmask_b32_e32 v73, v74, v73, vcc_lo
	v_and_b32_e32 v74, 0x80000000, v77
	v_lshl_add_u32 v75, v75, 23, 0x3b800000
	s_delay_alu instid0(VALU_DEP_3) | instskip(NEXT) | instid1(VALU_DEP_1)
	v_lshlrev_b32_e32 v73, 20, v73
	v_or3_b32 v74, v74, v75, v73
.LBB6_3849:                             ;   in Loop: Header=BB6_3361 Depth=3
	s_or_b32 exec_lo, exec_lo, s16
	s_delay_alu instid0(VALU_DEP_1) | instskip(NEXT) | instid1(VALU_DEP_1)
	v_add_f32_e32 v73, v72, v74
	v_and_b32_e32 v72, 0x7f800000, v73
	s_delay_alu instid0(VALU_DEP_1)
	v_cmp_ne_u32_e32 vcc_lo, 0x7f800000, v72
	v_mov_b32_e32 v72, 0x80
	s_and_saveexec_b32 s16, vcc_lo
	s_cbranch_execz .LBB6_3857
; %bb.3850:                             ;   in Loop: Header=BB6_3361 Depth=3
	v_mov_b32_e32 v72, 0
	s_mov_b32 s17, exec_lo
	v_cmpx_ne_u32_e32 0, v73
	s_cbranch_execz .LBB6_3856
; %bb.3851:                             ;   in Loop: Header=BB6_3361 Depth=3
	v_bfe_u32 v72, v73, 23, 8
	s_delay_alu instid0(VALU_DEP_1) | instskip(SKIP_1) | instid1(VALU_DEP_2)
	v_sub_nc_u32_e32 v75, 0x78, v72
	v_cmp_gt_u32_e32 vcc_lo, 0x79, v72
	v_dual_cndmask_b32 v75, 0, v75 :: v_dual_and_b32 v74, 0x7fffff, v73
	s_delay_alu instid0(VALU_DEP_1) | instskip(SKIP_2) | instid1(VALU_DEP_4)
	v_or_b32_e32 v76, 0x800000, v74
	v_cmp_eq_u32_e32 vcc_lo, 0, v72
	v_add_nc_u32_e32 v72, 0xffffff89, v72
	v_cndmask_b32_e64 v75, v75, 0x77, vcc_lo
	s_delay_alu instid0(VALU_DEP_2) | instskip(SKIP_1) | instid1(VALU_DEP_3)
	v_cndmask_b32_e64 v72, v72, 0xffffff8a, vcc_lo
	v_cndmask_b32_e32 v74, v76, v74, vcc_lo
	v_lshl_add_u32 v76, 0x100000, v75, -1
	v_lshlrev_b32_e64 v79, v75, 0x80000
	s_delay_alu instid0(VALU_DEP_3) | instskip(SKIP_1) | instid1(VALU_DEP_4)
	v_lshrrev_b32_e32 v77, v75, v74
	v_add_nc_u32_e32 v75, v75, v72
	v_and_b32_e32 v74, v76, v74
	s_delay_alu instid0(VALU_DEP_3) | instskip(NEXT) | instid1(VALU_DEP_2)
	v_bfe_u32 v78, v77, 20, 1
	v_cmp_eq_u32_e64 s13, v74, v79
	s_delay_alu instid0(VALU_DEP_2) | instskip(NEXT) | instid1(VALU_DEP_1)
	v_add_nc_u32_e32 v76, -1, v78
	v_cndmask_b32_e64 v74, 0, v76, s13
	v_lshrrev_b32_e32 v76, 23, v77
	s_mov_b32 s13, exec_lo
	s_delay_alu instid0(VALU_DEP_2) | instskip(NEXT) | instid1(VALU_DEP_2)
	v_add_nc_u32_e32 v74, v74, v77
	v_xor_b32_e32 v76, 1, v76
	s_delay_alu instid0(VALU_DEP_2) | instskip(NEXT) | instid1(VALU_DEP_1)
	v_and_b32_e32 v72, 0xfffff, v74
	v_add_nc_u32_e32 v74, v72, v77
                                        ; implicit-def: $vgpr72
	s_delay_alu instid0(VALU_DEP_3)
	v_cmpx_ne_u32_e64 v75, v76
	s_xor_b32 s13, exec_lo, s13
; %bb.3852:                             ;   in Loop: Header=BB6_3361 Depth=3
	s_delay_alu instid0(VALU_DEP_2) | instskip(SKIP_2) | instid1(VALU_DEP_2)
	v_cmp_lt_u32_e32 vcc_lo, 0xffffff, v74
	v_sub_nc_u32_e32 v72, v75, v76
	v_cndmask_b32_e64 v75, 0, 1, vcc_lo
	v_add_co_ci_u32_e32 v72, vcc_lo, 0, v72, vcc_lo
	s_delay_alu instid0(VALU_DEP_2)
	v_lshrrev_b32_e32 v74, v75, v74
; %bb.3853:                             ;   in Loop: Header=BB6_3361 Depth=3
	s_and_not1_saveexec_b32 s13, s13
; %bb.3854:                             ;   in Loop: Header=BB6_3361 Depth=3
	s_delay_alu instid0(VALU_DEP_1)
	v_bfe_u32 v72, v74, 23, 1
; %bb.3855:                             ;   in Loop: Header=BB6_3361 Depth=3
	s_or_b32 exec_lo, exec_lo, s13
	v_lshrrev_b32_e32 v74, 20, v74
	s_delay_alu instid0(VALU_DEP_2) | instskip(SKIP_2) | instid1(VALU_DEP_2)
	v_cmp_gt_i32_e32 vcc_lo, 16, v72
	v_min_i32_e32 v75, 15, v72
	v_lshrrev_b32_e32 v73, 24, v73
	v_dual_cndmask_b32 v74, 7, v74 :: v_dual_lshlrev_b32 v75, 3, v75
	s_delay_alu instid0(VALU_DEP_2) | instskip(NEXT) | instid1(VALU_DEP_2)
	v_and_b32_e32 v73, 0x80, v73
	v_or_b32_e32 v72, v72, v74
	v_and_b32_e32 v76, 7, v74
	s_delay_alu instid0(VALU_DEP_2) | instskip(SKIP_1) | instid1(VALU_DEP_1)
	v_cmp_ne_u32_e32 vcc_lo, 0, v72
	v_and_b32_e32 v75, 0xf8, v75
	v_or3_b32 v73, v75, v73, v76
	s_delay_alu instid0(VALU_DEP_1)
	v_cndmask_b32_e32 v72, 0, v73, vcc_lo
.LBB6_3856:                             ;   in Loop: Header=BB6_3361 Depth=3
	s_or_b32 exec_lo, exec_lo, s17
.LBB6_3857:                             ;   in Loop: Header=BB6_3361 Depth=3
	s_delay_alu instid0(SALU_CYCLE_1) | instskip(SKIP_3) | instid1(VALU_DEP_1)
	s_or_b32 exec_lo, exec_lo, s16
	v_lshrrev_b32_e32 v74, 24, v35
	s_mov_b32 s13, 0
	s_mov_b32 s17, exec_lo
                                        ; implicit-def: $sgpr16
	v_cmpx_lt_i16_e32 0x7f, v74
	s_xor_b32 s17, exec_lo, s17
	s_cbranch_execnz .LBB6_4631
; %bb.3858:                             ;   in Loop: Header=BB6_3361 Depth=3
	s_or_saveexec_b32 s17, s17
	v_mov_b32_e32 v73, s16
	s_xor_b32 exec_lo, exec_lo, s17
	s_cbranch_execnz .LBB6_4634
.LBB6_3859:                             ;   in Loop: Header=BB6_3361 Depth=3
	s_or_b32 exec_lo, exec_lo, s17
	s_and_saveexec_b32 s16, s13
	s_cbranch_execz .LBB6_3861
.LBB6_3860:                             ;   in Loop: Header=BB6_3361 Depth=3
	v_bfe_u32 v73, v35, 24, 3
	s_delay_alu instid0(VALU_DEP_1) | instskip(NEXT) | instid1(VALU_DEP_1)
	v_clz_i32_u32_e32 v75, v73
	v_min_u32_e32 v75, 32, v75
	s_delay_alu instid0(VALU_DEP_1) | instskip(SKIP_1) | instid1(VALU_DEP_2)
	v_subrev_nc_u32_e32 v76, 28, v75
	v_sub_nc_u32_e32 v75, 29, v75
	v_lshlrev_b32_e32 v74, v76, v74
	v_bfe_u32 v76, v35, 27, 4
	v_and_b32_e32 v35, 0x80000000, v35
	s_delay_alu instid0(VALU_DEP_2) | instskip(NEXT) | instid1(VALU_DEP_4)
	v_cmp_eq_u32_e32 vcc_lo, 0, v76
	v_dual_cndmask_b32 v75, v76, v75 :: v_dual_and_b32 v74, 7, v74
	s_delay_alu instid0(VALU_DEP_1) | instskip(NEXT) | instid1(VALU_DEP_2)
	v_cndmask_b32_e32 v73, v73, v74, vcc_lo
	v_lshl_add_u32 v74, v75, 23, 0x3b800000
	s_delay_alu instid0(VALU_DEP_2) | instskip(NEXT) | instid1(VALU_DEP_1)
	v_lshlrev_b32_e32 v73, 20, v73
	v_or3_b32 v73, v35, v74, v73
.LBB6_3861:                             ;   in Loop: Header=BB6_3361 Depth=3
	s_or_b32 exec_lo, exec_lo, s16
	v_lshrrev_b32_e32 v35, 24, v27
	s_mov_b32 s13, 0
	s_mov_b32 s17, exec_lo
                                        ; implicit-def: $sgpr16
	s_delay_alu instid0(VALU_DEP_1)
	v_cmpx_lt_i16_e32 0x7f, v35
	s_xor_b32 s17, exec_lo, s17
	s_cbranch_execnz .LBB6_4635
; %bb.3862:                             ;   in Loop: Header=BB6_3361 Depth=3
	s_or_saveexec_b32 s17, s17
	v_mov_b32_e32 v74, s16
	s_xor_b32 exec_lo, exec_lo, s17
	s_cbranch_execnz .LBB6_4638
.LBB6_3863:                             ;   in Loop: Header=BB6_3361 Depth=3
	s_or_b32 exec_lo, exec_lo, s17
	s_and_saveexec_b32 s16, s13
	s_cbranch_execz .LBB6_3865
.LBB6_3864:                             ;   in Loop: Header=BB6_3361 Depth=3
	v_bfe_u32 v74, v27, 24, 3
	s_delay_alu instid0(VALU_DEP_1) | instskip(NEXT) | instid1(VALU_DEP_1)
	v_clz_i32_u32_e32 v75, v74
	v_min_u32_e32 v75, 32, v75
	s_delay_alu instid0(VALU_DEP_1) | instskip(SKIP_1) | instid1(VALU_DEP_2)
	v_subrev_nc_u32_e32 v76, 28, v75
	v_sub_nc_u32_e32 v75, 29, v75
	v_lshlrev_b32_e32 v35, v76, v35
	v_bfe_u32 v76, v27, 27, 4
	v_and_b32_e32 v27, 0x80000000, v27
	s_delay_alu instid0(VALU_DEP_3) | instskip(NEXT) | instid1(VALU_DEP_3)
	v_and_b32_e32 v35, 7, v35
	v_cmp_eq_u32_e32 vcc_lo, 0, v76
	v_cndmask_b32_e32 v75, v76, v75, vcc_lo
	s_delay_alu instid0(VALU_DEP_3) | instskip(NEXT) | instid1(VALU_DEP_2)
	v_cndmask_b32_e32 v35, v74, v35, vcc_lo
	v_lshl_add_u32 v74, v75, 23, 0x3b800000
	s_delay_alu instid0(VALU_DEP_2) | instskip(NEXT) | instid1(VALU_DEP_1)
	v_lshlrev_b32_e32 v35, 20, v35
	v_or3_b32 v74, v27, v74, v35
.LBB6_3865:                             ;   in Loop: Header=BB6_3361 Depth=3
	s_or_b32 exec_lo, exec_lo, s16
	s_delay_alu instid0(VALU_DEP_1) | instskip(NEXT) | instid1(VALU_DEP_1)
	v_add_f32_e32 v35, v73, v74
	v_and_b32_e32 v27, 0x7f800000, v35
	s_delay_alu instid0(VALU_DEP_1)
	v_cmp_ne_u32_e32 vcc_lo, 0x7f800000, v27
	v_mov_b32_e32 v27, 0x8000
	s_and_saveexec_b32 s16, vcc_lo
	s_cbranch_execz .LBB6_3873
; %bb.3866:                             ;   in Loop: Header=BB6_3361 Depth=3
	v_mov_b32_e32 v27, 0
	s_mov_b32 s17, exec_lo
	v_cmpx_ne_u32_e32 0, v35
	s_cbranch_execz .LBB6_3872
; %bb.3867:                             ;   in Loop: Header=BB6_3361 Depth=3
	v_bfe_u32 v27, v35, 23, 8
	s_delay_alu instid0(VALU_DEP_1) | instskip(SKIP_1) | instid1(VALU_DEP_2)
	v_sub_nc_u32_e32 v74, 0x78, v27
	v_cmp_gt_u32_e32 vcc_lo, 0x79, v27
	v_dual_cndmask_b32 v74, 0, v74 :: v_dual_and_b32 v73, 0x7fffff, v35
	s_delay_alu instid0(VALU_DEP_1) | instskip(SKIP_2) | instid1(VALU_DEP_4)
	v_or_b32_e32 v75, 0x800000, v73
	v_cmp_eq_u32_e32 vcc_lo, 0, v27
	v_add_nc_u32_e32 v27, 0xffffff89, v27
	v_cndmask_b32_e64 v74, v74, 0x77, vcc_lo
	s_delay_alu instid0(VALU_DEP_2) | instskip(SKIP_1) | instid1(VALU_DEP_3)
	v_cndmask_b32_e64 v27, v27, 0xffffff8a, vcc_lo
	v_cndmask_b32_e32 v73, v75, v73, vcc_lo
	v_lshl_add_u32 v75, 0x100000, v74, -1
	v_lshlrev_b32_e64 v78, v74, 0x80000
	s_delay_alu instid0(VALU_DEP_3) | instskip(SKIP_1) | instid1(VALU_DEP_4)
	v_lshrrev_b32_e32 v76, v74, v73
	v_add_nc_u32_e32 v74, v74, v27
	v_and_b32_e32 v73, v75, v73
	s_delay_alu instid0(VALU_DEP_3) | instskip(NEXT) | instid1(VALU_DEP_2)
	v_bfe_u32 v77, v76, 20, 1
	v_cmp_eq_u32_e64 s13, v73, v78
	s_delay_alu instid0(VALU_DEP_2) | instskip(NEXT) | instid1(VALU_DEP_1)
	v_add_nc_u32_e32 v75, -1, v77
	v_cndmask_b32_e64 v73, 0, v75, s13
	v_lshrrev_b32_e32 v75, 23, v76
	s_mov_b32 s13, exec_lo
	s_delay_alu instid0(VALU_DEP_2) | instskip(NEXT) | instid1(VALU_DEP_2)
	v_add_nc_u32_e32 v73, v73, v76
	v_xor_b32_e32 v75, 1, v75
	s_delay_alu instid0(VALU_DEP_2) | instskip(NEXT) | instid1(VALU_DEP_1)
	v_and_b32_e32 v27, 0xfffff, v73
	v_add_nc_u32_e32 v73, v27, v76
                                        ; implicit-def: $vgpr27
	s_delay_alu instid0(VALU_DEP_3)
	v_cmpx_ne_u32_e64 v74, v75
	s_xor_b32 s13, exec_lo, s13
; %bb.3868:                             ;   in Loop: Header=BB6_3361 Depth=3
	s_delay_alu instid0(VALU_DEP_2) | instskip(SKIP_2) | instid1(VALU_DEP_2)
	v_cmp_lt_u32_e32 vcc_lo, 0xffffff, v73
	v_sub_nc_u32_e32 v27, v74, v75
	v_cndmask_b32_e64 v74, 0, 1, vcc_lo
	v_add_co_ci_u32_e32 v27, vcc_lo, 0, v27, vcc_lo
	s_delay_alu instid0(VALU_DEP_2)
	v_lshrrev_b32_e32 v73, v74, v73
; %bb.3869:                             ;   in Loop: Header=BB6_3361 Depth=3
	s_and_not1_saveexec_b32 s13, s13
; %bb.3870:                             ;   in Loop: Header=BB6_3361 Depth=3
	s_delay_alu instid0(VALU_DEP_1)
	v_bfe_u32 v27, v73, 23, 1
; %bb.3871:                             ;   in Loop: Header=BB6_3361 Depth=3
	s_or_b32 exec_lo, exec_lo, s13
	v_lshrrev_b32_e32 v73, 20, v73
	s_delay_alu instid0(VALU_DEP_2) | instskip(SKIP_2) | instid1(VALU_DEP_2)
	v_cmp_gt_i32_e32 vcc_lo, 16, v27
	v_min_i32_e32 v74, 15, v27
	v_lshrrev_b32_e32 v35, 24, v35
	v_dual_cndmask_b32 v73, 7, v73 :: v_dual_lshlrev_b32 v74, 3, v74
	s_delay_alu instid0(VALU_DEP_2) | instskip(NEXT) | instid1(VALU_DEP_2)
	v_and_b32_e32 v35, 0x80, v35
	v_or_b32_e32 v27, v27, v73
	v_and_b32_e32 v75, 7, v73
	s_delay_alu instid0(VALU_DEP_2) | instskip(SKIP_1) | instid1(VALU_DEP_1)
	v_cmp_ne_u32_e32 vcc_lo, 0, v27
	v_and_b32_e32 v74, 0xf8, v74
	v_or3_b32 v35, v35, v74, v75
	s_delay_alu instid0(VALU_DEP_1) | instskip(NEXT) | instid1(VALU_DEP_1)
	v_lshlrev_b32_e32 v35, 8, v35
	v_cndmask_b32_e32 v27, 0, v35, vcc_lo
.LBB6_3872:                             ;   in Loop: Header=BB6_3361 Depth=3
	s_or_b32 exec_lo, exec_lo, s17
.LBB6_3873:                             ;   in Loop: Header=BB6_3361 Depth=3
	s_delay_alu instid0(SALU_CYCLE_1) | instskip(SKIP_3) | instid1(VALU_DEP_1)
	s_or_b32 exec_lo, exec_lo, s16
	v_and_b32_e32 v73, 0xff, v20
	s_mov_b32 s13, 0
	s_mov_b32 s17, exec_lo
                                        ; implicit-def: $sgpr16
	v_cmpx_lt_i16_e32 0x7f, v73
	s_xor_b32 s17, exec_lo, s17
	s_cbranch_execnz .LBB6_4639
; %bb.3874:                             ;   in Loop: Header=BB6_3361 Depth=3
	s_or_saveexec_b32 s17, s17
	v_mov_b32_e32 v35, s16
	s_xor_b32 exec_lo, exec_lo, s17
	s_cbranch_execnz .LBB6_4642
.LBB6_3875:                             ;   in Loop: Header=BB6_3361 Depth=3
	s_or_b32 exec_lo, exec_lo, s17
	s_and_saveexec_b32 s16, s13
	s_cbranch_execz .LBB6_3877
.LBB6_3876:                             ;   in Loop: Header=BB6_3361 Depth=3
	v_and_b32_e32 v35, 7, v20
	v_bfe_u32 v75, v20, 3, 4
	s_delay_alu instid0(VALU_DEP_2) | instskip(NEXT) | instid1(VALU_DEP_2)
	v_clz_i32_u32_e32 v73, v35
	v_cmp_eq_u32_e32 vcc_lo, 0, v75
	s_delay_alu instid0(VALU_DEP_2) | instskip(NEXT) | instid1(VALU_DEP_1)
	v_min_u32_e32 v73, 32, v73
	v_subrev_nc_u32_e32 v74, 28, v73
	v_sub_nc_u32_e32 v73, 29, v73
	s_delay_alu instid0(VALU_DEP_1) | instskip(NEXT) | instid1(VALU_DEP_1)
	v_dual_cndmask_b32 v73, v75, v73 :: v_dual_lshlrev_b32 v74, v74, v20
	v_and_b32_e32 v74, 7, v74
	v_lshlrev_b32_e32 v76, 24, v20
	s_delay_alu instid0(VALU_DEP_3) | instskip(NEXT) | instid1(VALU_DEP_2)
	v_lshl_add_u32 v73, v73, 23, 0x3b800000
	v_dual_cndmask_b32 v35, v35, v74 :: v_dual_and_b32 v74, 0x80000000, v76
	s_delay_alu instid0(VALU_DEP_1) | instskip(NEXT) | instid1(VALU_DEP_1)
	v_lshlrev_b32_e32 v35, 20, v35
	v_or3_b32 v35, v74, v73, v35
.LBB6_3877:                             ;   in Loop: Header=BB6_3361 Depth=3
	s_or_b32 exec_lo, exec_lo, s16
	s_waitcnt vmcnt(1)
	v_and_b32_e32 v74, 0xff, v16
	s_mov_b32 s13, 0
	s_mov_b32 s17, exec_lo
                                        ; implicit-def: $sgpr16
	s_delay_alu instid0(VALU_DEP_1)
	v_cmpx_lt_i16_e32 0x7f, v74
	s_xor_b32 s17, exec_lo, s17
	s_cbranch_execnz .LBB6_4643
; %bb.3878:                             ;   in Loop: Header=BB6_3361 Depth=3
	s_or_saveexec_b32 s17, s17
	v_mov_b32_e32 v73, s16
	s_xor_b32 exec_lo, exec_lo, s17
	s_cbranch_execnz .LBB6_4646
.LBB6_3879:                             ;   in Loop: Header=BB6_3361 Depth=3
	s_or_b32 exec_lo, exec_lo, s17
	s_and_saveexec_b32 s16, s13
	s_cbranch_execz .LBB6_3881
.LBB6_3880:                             ;   in Loop: Header=BB6_3361 Depth=3
	v_bfe_u32 v76, v16, 3, 4
	v_lshlrev_b32_e32 v77, 24, v16
	s_delay_alu instid0(VALU_DEP_2) | instskip(SKIP_1) | instid1(VALU_DEP_1)
	v_cmp_eq_u32_e32 vcc_lo, 0, v76
	v_and_b32_e32 v73, 7, v16
	v_clz_i32_u32_e32 v74, v73
	s_delay_alu instid0(VALU_DEP_1) | instskip(NEXT) | instid1(VALU_DEP_1)
	v_min_u32_e32 v74, 32, v74
	v_subrev_nc_u32_e32 v75, 28, v74
	v_sub_nc_u32_e32 v74, 29, v74
	s_delay_alu instid0(VALU_DEP_1) | instskip(NEXT) | instid1(VALU_DEP_1)
	v_dual_cndmask_b32 v74, v76, v74 :: v_dual_lshlrev_b32 v75, v75, v16
	v_and_b32_e32 v75, 7, v75
	s_delay_alu instid0(VALU_DEP_2) | instskip(NEXT) | instid1(VALU_DEP_2)
	v_lshl_add_u32 v74, v74, 23, 0x3b800000
	v_cndmask_b32_e32 v73, v73, v75, vcc_lo
	v_and_b32_e32 v75, 0x80000000, v77
	s_delay_alu instid0(VALU_DEP_2) | instskip(NEXT) | instid1(VALU_DEP_1)
	v_lshlrev_b32_e32 v73, 20, v73
	v_or3_b32 v73, v75, v74, v73
.LBB6_3881:                             ;   in Loop: Header=BB6_3361 Depth=3
	s_or_b32 exec_lo, exec_lo, s16
	s_delay_alu instid0(VALU_DEP_1) | instskip(NEXT) | instid1(VALU_DEP_1)
	v_add_f32_e32 v73, v35, v73
	v_and_b32_e32 v35, 0x7f800000, v73
	s_delay_alu instid0(VALU_DEP_1)
	v_cmp_ne_u32_e32 vcc_lo, 0x7f800000, v35
	v_mov_b32_e32 v35, 0x80
	s_and_saveexec_b32 s16, vcc_lo
	s_cbranch_execz .LBB6_3889
; %bb.3882:                             ;   in Loop: Header=BB6_3361 Depth=3
	v_mov_b32_e32 v35, 0
	s_mov_b32 s17, exec_lo
	v_cmpx_ne_u32_e32 0, v73
	s_cbranch_execz .LBB6_3888
; %bb.3883:                             ;   in Loop: Header=BB6_3361 Depth=3
	v_bfe_u32 v35, v73, 23, 8
	s_delay_alu instid0(VALU_DEP_1) | instskip(SKIP_1) | instid1(VALU_DEP_2)
	v_sub_nc_u32_e32 v75, 0x78, v35
	v_cmp_gt_u32_e32 vcc_lo, 0x79, v35
	v_dual_cndmask_b32 v75, 0, v75 :: v_dual_and_b32 v74, 0x7fffff, v73
	s_delay_alu instid0(VALU_DEP_1) | instskip(SKIP_2) | instid1(VALU_DEP_4)
	v_or_b32_e32 v76, 0x800000, v74
	v_cmp_eq_u32_e32 vcc_lo, 0, v35
	v_add_nc_u32_e32 v35, 0xffffff89, v35
	v_cndmask_b32_e64 v75, v75, 0x77, vcc_lo
	s_delay_alu instid0(VALU_DEP_4) | instskip(NEXT) | instid1(VALU_DEP_3)
	v_cndmask_b32_e32 v74, v76, v74, vcc_lo
	v_cndmask_b32_e64 v35, v35, 0xffffff8a, vcc_lo
	s_delay_alu instid0(VALU_DEP_3) | instskip(NEXT) | instid1(VALU_DEP_3)
	v_lshl_add_u32 v76, 0x100000, v75, -1
	v_lshrrev_b32_e32 v77, v75, v74
	v_lshlrev_b32_e64 v79, v75, 0x80000
	s_delay_alu instid0(VALU_DEP_4) | instskip(NEXT) | instid1(VALU_DEP_4)
	v_add_nc_u32_e32 v75, v75, v35
	v_and_b32_e32 v74, v76, v74
	s_delay_alu instid0(VALU_DEP_4) | instskip(NEXT) | instid1(VALU_DEP_2)
	v_bfe_u32 v78, v77, 20, 1
	v_cmp_eq_u32_e64 s13, v74, v79
	s_delay_alu instid0(VALU_DEP_2) | instskip(NEXT) | instid1(VALU_DEP_1)
	v_add_nc_u32_e32 v76, -1, v78
	v_cndmask_b32_e64 v74, 0, v76, s13
	v_lshrrev_b32_e32 v76, 23, v77
	s_mov_b32 s13, exec_lo
	s_delay_alu instid0(VALU_DEP_2) | instskip(NEXT) | instid1(VALU_DEP_2)
	v_add_nc_u32_e32 v74, v74, v77
	v_xor_b32_e32 v76, 1, v76
	s_delay_alu instid0(VALU_DEP_2) | instskip(NEXT) | instid1(VALU_DEP_1)
	v_and_b32_e32 v35, 0xfffff, v74
	v_add_nc_u32_e32 v74, v35, v77
                                        ; implicit-def: $vgpr35
	s_delay_alu instid0(VALU_DEP_3)
	v_cmpx_ne_u32_e64 v75, v76
	s_xor_b32 s13, exec_lo, s13
; %bb.3884:                             ;   in Loop: Header=BB6_3361 Depth=3
	s_delay_alu instid0(VALU_DEP_2) | instskip(SKIP_2) | instid1(VALU_DEP_2)
	v_cmp_lt_u32_e32 vcc_lo, 0xffffff, v74
	v_sub_nc_u32_e32 v35, v75, v76
	v_cndmask_b32_e64 v75, 0, 1, vcc_lo
	v_add_co_ci_u32_e32 v35, vcc_lo, 0, v35, vcc_lo
	s_delay_alu instid0(VALU_DEP_2)
	v_lshrrev_b32_e32 v74, v75, v74
; %bb.3885:                             ;   in Loop: Header=BB6_3361 Depth=3
	s_and_not1_saveexec_b32 s13, s13
; %bb.3886:                             ;   in Loop: Header=BB6_3361 Depth=3
	s_delay_alu instid0(VALU_DEP_1)
	v_bfe_u32 v35, v74, 23, 1
; %bb.3887:                             ;   in Loop: Header=BB6_3361 Depth=3
	s_or_b32 exec_lo, exec_lo, s13
	v_lshrrev_b32_e32 v74, 20, v74
	s_delay_alu instid0(VALU_DEP_2) | instskip(SKIP_2) | instid1(VALU_DEP_2)
	v_cmp_gt_i32_e32 vcc_lo, 16, v35
	v_lshrrev_b32_e32 v73, 24, v73
	v_min_i32_e32 v75, 15, v35
	v_dual_cndmask_b32 v74, 7, v74 :: v_dual_and_b32 v73, 0x80, v73
	s_delay_alu instid0(VALU_DEP_2) | instskip(NEXT) | instid1(VALU_DEP_2)
	v_lshlrev_b32_e32 v75, 3, v75
	v_or_b32_e32 v35, v35, v74
	s_delay_alu instid0(VALU_DEP_1) | instskip(SKIP_1) | instid1(VALU_DEP_1)
	v_cmp_ne_u32_e32 vcc_lo, 0, v35
	v_and_b32_e32 v76, 7, v74
	v_or3_b32 v73, v75, v73, v76
	s_delay_alu instid0(VALU_DEP_1)
	v_cndmask_b32_e32 v35, 0, v73, vcc_lo
.LBB6_3888:                             ;   in Loop: Header=BB6_3361 Depth=3
	s_or_b32 exec_lo, exec_lo, s17
.LBB6_3889:                             ;   in Loop: Header=BB6_3361 Depth=3
	s_delay_alu instid0(SALU_CYCLE_1) | instskip(SKIP_3) | instid1(VALU_DEP_1)
	s_or_b32 exec_lo, exec_lo, s16
	v_lshrrev_b16 v74, 8, v20
	s_mov_b32 s13, 0
	s_mov_b32 s17, exec_lo
                                        ; implicit-def: $sgpr16
	v_cmpx_lt_i16_e32 0x7f, v74
	s_xor_b32 s17, exec_lo, s17
	s_cbranch_execnz .LBB6_4647
; %bb.3890:                             ;   in Loop: Header=BB6_3361 Depth=3
	s_or_saveexec_b32 s17, s17
	v_mov_b32_e32 v73, s16
	s_xor_b32 exec_lo, exec_lo, s17
	s_cbranch_execnz .LBB6_4650
.LBB6_3891:                             ;   in Loop: Header=BB6_3361 Depth=3
	s_or_b32 exec_lo, exec_lo, s17
	s_and_saveexec_b32 s16, s13
	s_cbranch_execz .LBB6_3893
.LBB6_3892:                             ;   in Loop: Header=BB6_3361 Depth=3
	v_and_b32_e32 v73, 0xffff, v74
	s_delay_alu instid0(VALU_DEP_1) | instskip(NEXT) | instid1(VALU_DEP_1)
	v_and_b32_e32 v75, 7, v73
	v_clz_i32_u32_e32 v76, v75
	s_delay_alu instid0(VALU_DEP_1) | instskip(NEXT) | instid1(VALU_DEP_1)
	v_min_u32_e32 v76, 32, v76
	v_subrev_nc_u32_e32 v77, 28, v76
	v_sub_nc_u32_e32 v76, 29, v76
	s_delay_alu instid0(VALU_DEP_2) | instskip(SKIP_1) | instid1(VALU_DEP_2)
	v_lshlrev_b32_e32 v77, v77, v73
	v_bfe_u32 v73, v73, 3, 4
	v_and_b32_e32 v77, 7, v77
	s_delay_alu instid0(VALU_DEP_2) | instskip(SKIP_1) | instid1(VALU_DEP_1)
	v_cmp_eq_u32_e32 vcc_lo, 0, v73
	v_dual_cndmask_b32 v73, v73, v76 :: v_dual_lshlrev_b32 v74, 24, v74
	v_dual_cndmask_b32 v75, v75, v77 :: v_dual_and_b32 v74, 0x80000000, v74
	s_delay_alu instid0(VALU_DEP_2) | instskip(NEXT) | instid1(VALU_DEP_2)
	v_lshl_add_u32 v73, v73, 23, 0x3b800000
	v_lshlrev_b32_e32 v75, 20, v75
	s_delay_alu instid0(VALU_DEP_1)
	v_or3_b32 v73, v74, v73, v75
.LBB6_3893:                             ;   in Loop: Header=BB6_3361 Depth=3
	s_or_b32 exec_lo, exec_lo, s16
	v_lshrrev_b16 v74, 8, v16
	s_mov_b32 s13, 0
	s_mov_b32 s17, exec_lo
                                        ; implicit-def: $sgpr16
	s_delay_alu instid0(VALU_DEP_1)
	v_cmpx_lt_i16_e32 0x7f, v74
	s_xor_b32 s17, exec_lo, s17
	s_cbranch_execnz .LBB6_4651
; %bb.3894:                             ;   in Loop: Header=BB6_3361 Depth=3
	s_or_saveexec_b32 s17, s17
	v_mov_b32_e32 v75, s16
	s_xor_b32 exec_lo, exec_lo, s17
	s_cbranch_execnz .LBB6_4654
.LBB6_3895:                             ;   in Loop: Header=BB6_3361 Depth=3
	s_or_b32 exec_lo, exec_lo, s17
	s_and_saveexec_b32 s16, s13
	s_cbranch_execz .LBB6_3897
.LBB6_3896:                             ;   in Loop: Header=BB6_3361 Depth=3
	v_and_b32_e32 v75, 0xffff, v74
	v_lshlrev_b32_e32 v74, 24, v74
	s_delay_alu instid0(VALU_DEP_2) | instskip(NEXT) | instid1(VALU_DEP_2)
	v_and_b32_e32 v76, 7, v75
	v_and_b32_e32 v74, 0x80000000, v74
	s_delay_alu instid0(VALU_DEP_2) | instskip(NEXT) | instid1(VALU_DEP_1)
	v_clz_i32_u32_e32 v77, v76
	v_min_u32_e32 v77, 32, v77
	s_delay_alu instid0(VALU_DEP_1) | instskip(SKIP_1) | instid1(VALU_DEP_2)
	v_subrev_nc_u32_e32 v78, 28, v77
	v_sub_nc_u32_e32 v77, 29, v77
	v_lshlrev_b32_e32 v78, v78, v75
	v_bfe_u32 v75, v75, 3, 4
	s_delay_alu instid0(VALU_DEP_2) | instskip(NEXT) | instid1(VALU_DEP_2)
	v_and_b32_e32 v78, 7, v78
	v_cmp_eq_u32_e32 vcc_lo, 0, v75
	s_delay_alu instid0(VALU_DEP_2) | instskip(NEXT) | instid1(VALU_DEP_1)
	v_dual_cndmask_b32 v75, v75, v77 :: v_dual_cndmask_b32 v76, v76, v78
	v_lshl_add_u32 v75, v75, 23, 0x3b800000
	s_delay_alu instid0(VALU_DEP_2) | instskip(NEXT) | instid1(VALU_DEP_1)
	v_lshlrev_b32_e32 v76, 20, v76
	v_or3_b32 v75, v74, v75, v76
.LBB6_3897:                             ;   in Loop: Header=BB6_3361 Depth=3
	s_or_b32 exec_lo, exec_lo, s16
	s_delay_alu instid0(VALU_DEP_1) | instskip(NEXT) | instid1(VALU_DEP_1)
	v_add_f32_e32 v74, v73, v75
	v_and_b32_e32 v73, 0x7f800000, v74
	s_delay_alu instid0(VALU_DEP_1)
	v_cmp_ne_u32_e32 vcc_lo, 0x7f800000, v73
	v_mov_b32_e32 v73, 0x80
	s_and_saveexec_b32 s16, vcc_lo
	s_cbranch_execz .LBB6_3905
; %bb.3898:                             ;   in Loop: Header=BB6_3361 Depth=3
	v_mov_b32_e32 v73, 0
	s_mov_b32 s17, exec_lo
	v_cmpx_ne_u32_e32 0, v74
	s_cbranch_execz .LBB6_3904
; %bb.3899:                             ;   in Loop: Header=BB6_3361 Depth=3
	v_bfe_u32 v73, v74, 23, 8
	s_delay_alu instid0(VALU_DEP_1) | instskip(SKIP_1) | instid1(VALU_DEP_2)
	v_sub_nc_u32_e32 v76, 0x78, v73
	v_cmp_gt_u32_e32 vcc_lo, 0x79, v73
	v_dual_cndmask_b32 v76, 0, v76 :: v_dual_and_b32 v75, 0x7fffff, v74
	s_delay_alu instid0(VALU_DEP_1) | instskip(SKIP_2) | instid1(VALU_DEP_4)
	v_or_b32_e32 v77, 0x800000, v75
	v_cmp_eq_u32_e32 vcc_lo, 0, v73
	v_add_nc_u32_e32 v73, 0xffffff89, v73
	v_cndmask_b32_e64 v76, v76, 0x77, vcc_lo
	s_delay_alu instid0(VALU_DEP_2) | instskip(SKIP_1) | instid1(VALU_DEP_3)
	v_cndmask_b32_e64 v73, v73, 0xffffff8a, vcc_lo
	v_cndmask_b32_e32 v75, v77, v75, vcc_lo
	v_lshl_add_u32 v77, 0x100000, v76, -1
	v_lshlrev_b32_e64 v88, v76, 0x80000
	s_delay_alu instid0(VALU_DEP_3) | instskip(SKIP_1) | instid1(VALU_DEP_4)
	v_lshrrev_b32_e32 v78, v76, v75
	v_add_nc_u32_e32 v76, v76, v73
	v_and_b32_e32 v75, v77, v75
	s_delay_alu instid0(VALU_DEP_3) | instskip(NEXT) | instid1(VALU_DEP_2)
	v_bfe_u32 v79, v78, 20, 1
	v_cmp_eq_u32_e64 s13, v75, v88
	s_delay_alu instid0(VALU_DEP_2) | instskip(NEXT) | instid1(VALU_DEP_1)
	v_add_nc_u32_e32 v77, -1, v79
	v_cndmask_b32_e64 v75, 0, v77, s13
	v_lshrrev_b32_e32 v77, 23, v78
	s_mov_b32 s13, exec_lo
	s_delay_alu instid0(VALU_DEP_2) | instskip(NEXT) | instid1(VALU_DEP_2)
	v_add_nc_u32_e32 v75, v75, v78
	v_xor_b32_e32 v77, 1, v77
	s_delay_alu instid0(VALU_DEP_2) | instskip(NEXT) | instid1(VALU_DEP_1)
	v_and_b32_e32 v73, 0xfffff, v75
	v_add_nc_u32_e32 v75, v73, v78
                                        ; implicit-def: $vgpr73
	s_delay_alu instid0(VALU_DEP_3)
	v_cmpx_ne_u32_e64 v76, v77
	s_xor_b32 s13, exec_lo, s13
; %bb.3900:                             ;   in Loop: Header=BB6_3361 Depth=3
	s_delay_alu instid0(VALU_DEP_2) | instskip(SKIP_2) | instid1(VALU_DEP_2)
	v_cmp_lt_u32_e32 vcc_lo, 0xffffff, v75
	v_sub_nc_u32_e32 v73, v76, v77
	v_cndmask_b32_e64 v76, 0, 1, vcc_lo
	v_add_co_ci_u32_e32 v73, vcc_lo, 0, v73, vcc_lo
	s_delay_alu instid0(VALU_DEP_2)
	v_lshrrev_b32_e32 v75, v76, v75
; %bb.3901:                             ;   in Loop: Header=BB6_3361 Depth=3
	s_and_not1_saveexec_b32 s13, s13
; %bb.3902:                             ;   in Loop: Header=BB6_3361 Depth=3
	s_delay_alu instid0(VALU_DEP_1)
	v_bfe_u32 v73, v75, 23, 1
; %bb.3903:                             ;   in Loop: Header=BB6_3361 Depth=3
	s_or_b32 exec_lo, exec_lo, s13
	v_lshrrev_b32_e32 v75, 20, v75
	s_delay_alu instid0(VALU_DEP_2) | instskip(SKIP_2) | instid1(VALU_DEP_2)
	v_cmp_gt_i32_e32 vcc_lo, 16, v73
	v_lshrrev_b32_e32 v74, 24, v74
	v_min_i32_e32 v76, 15, v73
	v_dual_cndmask_b32 v75, 7, v75 :: v_dual_and_b32 v74, 0x80, v74
	s_delay_alu instid0(VALU_DEP_1) | instskip(SKIP_1) | instid1(VALU_DEP_2)
	v_or_b32_e32 v73, v73, v75
	v_and_b32_e32 v77, 7, v75
	v_cmp_ne_u32_e32 vcc_lo, 0, v73
	v_lshlrev_b32_e32 v76, 3, v76
	s_delay_alu instid0(VALU_DEP_1) | instskip(NEXT) | instid1(VALU_DEP_1)
	v_or3_b32 v74, v76, v74, v77
	v_cndmask_b32_e32 v73, 0, v74, vcc_lo
.LBB6_3904:                             ;   in Loop: Header=BB6_3361 Depth=3
	s_or_b32 exec_lo, exec_lo, s17
.LBB6_3905:                             ;   in Loop: Header=BB6_3361 Depth=3
	s_delay_alu instid0(SALU_CYCLE_1) | instskip(SKIP_3) | instid1(VALU_DEP_1)
	s_or_b32 exec_lo, exec_lo, s16
	v_lshrrev_b32_e32 v75, 16, v20
	s_mov_b32 s13, 0
	s_mov_b32 s17, exec_lo
                                        ; implicit-def: $sgpr16
	v_and_b32_e32 v76, 0xff, v75
	s_delay_alu instid0(VALU_DEP_1)
	v_cmpx_lt_i16_e32 0x7f, v76
	s_xor_b32 s17, exec_lo, s17
	s_cbranch_execnz .LBB6_4655
; %bb.3906:                             ;   in Loop: Header=BB6_3361 Depth=3
	s_or_saveexec_b32 s17, s17
	v_mov_b32_e32 v74, s16
	s_xor_b32 exec_lo, exec_lo, s17
	s_cbranch_execnz .LBB6_4658
.LBB6_3907:                             ;   in Loop: Header=BB6_3361 Depth=3
	s_or_b32 exec_lo, exec_lo, s17
	s_and_saveexec_b32 s16, s13
	s_cbranch_execz .LBB6_3909
.LBB6_3908:                             ;   in Loop: Header=BB6_3361 Depth=3
	v_bfe_u32 v74, v20, 16, 3
	v_lshlrev_b32_e32 v78, 8, v20
	s_delay_alu instid0(VALU_DEP_2) | instskip(NEXT) | instid1(VALU_DEP_1)
	v_clz_i32_u32_e32 v76, v74
	v_min_u32_e32 v76, 32, v76
	s_delay_alu instid0(VALU_DEP_1) | instskip(SKIP_1) | instid1(VALU_DEP_2)
	v_subrev_nc_u32_e32 v77, 28, v76
	v_sub_nc_u32_e32 v76, 29, v76
	v_lshlrev_b32_e32 v75, v77, v75
	v_bfe_u32 v77, v20, 19, 4
	s_delay_alu instid0(VALU_DEP_1) | instskip(NEXT) | instid1(VALU_DEP_3)
	v_cmp_eq_u32_e32 vcc_lo, 0, v77
	v_dual_cndmask_b32 v76, v77, v76 :: v_dual_and_b32 v75, 7, v75
	s_delay_alu instid0(VALU_DEP_1) | instskip(NEXT) | instid1(VALU_DEP_2)
	v_dual_cndmask_b32 v74, v74, v75 :: v_dual_and_b32 v75, 0x80000000, v78
	v_lshl_add_u32 v76, v76, 23, 0x3b800000
	s_delay_alu instid0(VALU_DEP_2) | instskip(NEXT) | instid1(VALU_DEP_1)
	v_lshlrev_b32_e32 v74, 20, v74
	v_or3_b32 v74, v75, v76, v74
.LBB6_3909:                             ;   in Loop: Header=BB6_3361 Depth=3
	s_or_b32 exec_lo, exec_lo, s16
	v_lshrrev_b32_e32 v75, 16, v16
	s_mov_b32 s13, 0
	s_mov_b32 s17, exec_lo
                                        ; implicit-def: $sgpr16
	s_delay_alu instid0(VALU_DEP_1) | instskip(NEXT) | instid1(VALU_DEP_1)
	v_and_b32_e32 v77, 0xff, v75
	v_cmpx_lt_i16_e32 0x7f, v77
	s_xor_b32 s17, exec_lo, s17
	s_cbranch_execnz .LBB6_4659
; %bb.3910:                             ;   in Loop: Header=BB6_3361 Depth=3
	s_or_saveexec_b32 s17, s17
	v_mov_b32_e32 v76, s16
	s_xor_b32 exec_lo, exec_lo, s17
	s_cbranch_execnz .LBB6_4662
.LBB6_3911:                             ;   in Loop: Header=BB6_3361 Depth=3
	s_or_b32 exec_lo, exec_lo, s17
	s_and_saveexec_b32 s16, s13
	s_cbranch_execz .LBB6_3913
.LBB6_3912:                             ;   in Loop: Header=BB6_3361 Depth=3
	v_bfe_u32 v76, v16, 16, 3
	v_lshlrev_b32_e32 v79, 8, v16
	s_delay_alu instid0(VALU_DEP_2) | instskip(NEXT) | instid1(VALU_DEP_1)
	v_clz_i32_u32_e32 v77, v76
	v_min_u32_e32 v77, 32, v77
	s_delay_alu instid0(VALU_DEP_1) | instskip(SKIP_1) | instid1(VALU_DEP_2)
	v_subrev_nc_u32_e32 v78, 28, v77
	v_sub_nc_u32_e32 v77, 29, v77
	v_lshlrev_b32_e32 v75, v78, v75
	v_bfe_u32 v78, v16, 19, 4
	s_delay_alu instid0(VALU_DEP_2) | instskip(NEXT) | instid1(VALU_DEP_2)
	v_and_b32_e32 v75, 7, v75
	v_cmp_eq_u32_e32 vcc_lo, 0, v78
	v_cndmask_b32_e32 v77, v78, v77, vcc_lo
	s_delay_alu instid0(VALU_DEP_3) | instskip(SKIP_1) | instid1(VALU_DEP_3)
	v_cndmask_b32_e32 v75, v76, v75, vcc_lo
	v_and_b32_e32 v76, 0x80000000, v79
	v_lshl_add_u32 v77, v77, 23, 0x3b800000
	s_delay_alu instid0(VALU_DEP_3) | instskip(NEXT) | instid1(VALU_DEP_1)
	v_lshlrev_b32_e32 v75, 20, v75
	v_or3_b32 v76, v76, v77, v75
.LBB6_3913:                             ;   in Loop: Header=BB6_3361 Depth=3
	s_or_b32 exec_lo, exec_lo, s16
	s_delay_alu instid0(VALU_DEP_1) | instskip(NEXT) | instid1(VALU_DEP_1)
	v_add_f32_e32 v75, v74, v76
	v_and_b32_e32 v74, 0x7f800000, v75
	s_delay_alu instid0(VALU_DEP_1)
	v_cmp_ne_u32_e32 vcc_lo, 0x7f800000, v74
	v_mov_b32_e32 v74, 0x80
	s_and_saveexec_b32 s16, vcc_lo
	s_cbranch_execz .LBB6_3921
; %bb.3914:                             ;   in Loop: Header=BB6_3361 Depth=3
	v_mov_b32_e32 v74, 0
	s_mov_b32 s17, exec_lo
	v_cmpx_ne_u32_e32 0, v75
	s_cbranch_execz .LBB6_3920
; %bb.3915:                             ;   in Loop: Header=BB6_3361 Depth=3
	v_bfe_u32 v74, v75, 23, 8
	s_delay_alu instid0(VALU_DEP_1) | instskip(SKIP_1) | instid1(VALU_DEP_2)
	v_sub_nc_u32_e32 v77, 0x78, v74
	v_cmp_gt_u32_e32 vcc_lo, 0x79, v74
	v_dual_cndmask_b32 v77, 0, v77 :: v_dual_and_b32 v76, 0x7fffff, v75
	s_delay_alu instid0(VALU_DEP_1) | instskip(SKIP_2) | instid1(VALU_DEP_4)
	v_or_b32_e32 v78, 0x800000, v76
	v_cmp_eq_u32_e32 vcc_lo, 0, v74
	v_add_nc_u32_e32 v74, 0xffffff89, v74
	v_cndmask_b32_e64 v77, v77, 0x77, vcc_lo
	s_delay_alu instid0(VALU_DEP_2) | instskip(SKIP_1) | instid1(VALU_DEP_3)
	v_cndmask_b32_e64 v74, v74, 0xffffff8a, vcc_lo
	v_cndmask_b32_e32 v76, v78, v76, vcc_lo
	v_lshl_add_u32 v78, 0x100000, v77, -1
	v_lshlrev_b32_e64 v89, v77, 0x80000
	s_delay_alu instid0(VALU_DEP_3) | instskip(SKIP_1) | instid1(VALU_DEP_4)
	v_lshrrev_b32_e32 v79, v77, v76
	v_add_nc_u32_e32 v77, v77, v74
	v_and_b32_e32 v76, v78, v76
	s_delay_alu instid0(VALU_DEP_3) | instskip(NEXT) | instid1(VALU_DEP_2)
	v_bfe_u32 v88, v79, 20, 1
	v_cmp_eq_u32_e64 s13, v76, v89
	s_delay_alu instid0(VALU_DEP_2) | instskip(NEXT) | instid1(VALU_DEP_1)
	v_add_nc_u32_e32 v78, -1, v88
	v_cndmask_b32_e64 v76, 0, v78, s13
	v_lshrrev_b32_e32 v78, 23, v79
	s_mov_b32 s13, exec_lo
	s_delay_alu instid0(VALU_DEP_2) | instskip(NEXT) | instid1(VALU_DEP_2)
	v_add_nc_u32_e32 v76, v76, v79
	v_xor_b32_e32 v78, 1, v78
	s_delay_alu instid0(VALU_DEP_2) | instskip(NEXT) | instid1(VALU_DEP_1)
	v_and_b32_e32 v74, 0xfffff, v76
	v_add_nc_u32_e32 v76, v74, v79
                                        ; implicit-def: $vgpr74
	s_delay_alu instid0(VALU_DEP_3)
	v_cmpx_ne_u32_e64 v77, v78
	s_xor_b32 s13, exec_lo, s13
; %bb.3916:                             ;   in Loop: Header=BB6_3361 Depth=3
	s_delay_alu instid0(VALU_DEP_2) | instskip(SKIP_2) | instid1(VALU_DEP_2)
	v_cmp_lt_u32_e32 vcc_lo, 0xffffff, v76
	v_sub_nc_u32_e32 v74, v77, v78
	v_cndmask_b32_e64 v77, 0, 1, vcc_lo
	v_add_co_ci_u32_e32 v74, vcc_lo, 0, v74, vcc_lo
	s_delay_alu instid0(VALU_DEP_2)
	v_lshrrev_b32_e32 v76, v77, v76
; %bb.3917:                             ;   in Loop: Header=BB6_3361 Depth=3
	s_and_not1_saveexec_b32 s13, s13
; %bb.3918:                             ;   in Loop: Header=BB6_3361 Depth=3
	s_delay_alu instid0(VALU_DEP_1)
	v_bfe_u32 v74, v76, 23, 1
; %bb.3919:                             ;   in Loop: Header=BB6_3361 Depth=3
	s_or_b32 exec_lo, exec_lo, s13
	v_lshrrev_b32_e32 v76, 20, v76
	s_delay_alu instid0(VALU_DEP_2) | instskip(SKIP_2) | instid1(VALU_DEP_2)
	v_cmp_gt_i32_e32 vcc_lo, 16, v74
	v_lshrrev_b32_e32 v75, 24, v75
	v_min_i32_e32 v77, 15, v74
	v_dual_cndmask_b32 v76, 7, v76 :: v_dual_and_b32 v75, 0x80, v75
	s_delay_alu instid0(VALU_DEP_1) | instskip(SKIP_1) | instid1(VALU_DEP_2)
	v_or_b32_e32 v74, v74, v76
	v_and_b32_e32 v78, 7, v76
	v_cmp_ne_u32_e32 vcc_lo, 0, v74
	v_lshlrev_b32_e32 v77, 3, v77
	s_delay_alu instid0(VALU_DEP_1) | instskip(NEXT) | instid1(VALU_DEP_1)
	v_or3_b32 v75, v77, v75, v78
	v_cndmask_b32_e32 v74, 0, v75, vcc_lo
.LBB6_3920:                             ;   in Loop: Header=BB6_3361 Depth=3
	s_or_b32 exec_lo, exec_lo, s17
.LBB6_3921:                             ;   in Loop: Header=BB6_3361 Depth=3
	s_delay_alu instid0(SALU_CYCLE_1) | instskip(SKIP_3) | instid1(VALU_DEP_1)
	s_or_b32 exec_lo, exec_lo, s16
	v_lshrrev_b32_e32 v76, 24, v20
	s_mov_b32 s13, 0
	s_mov_b32 s17, exec_lo
                                        ; implicit-def: $sgpr16
	v_cmpx_lt_i16_e32 0x7f, v76
	s_xor_b32 s17, exec_lo, s17
	s_cbranch_execnz .LBB6_4663
; %bb.3922:                             ;   in Loop: Header=BB6_3361 Depth=3
	s_or_saveexec_b32 s17, s17
	v_mov_b32_e32 v75, s16
	s_xor_b32 exec_lo, exec_lo, s17
	s_cbranch_execnz .LBB6_4666
.LBB6_3923:                             ;   in Loop: Header=BB6_3361 Depth=3
	s_or_b32 exec_lo, exec_lo, s17
	s_and_saveexec_b32 s16, s13
	s_cbranch_execz .LBB6_3925
.LBB6_3924:                             ;   in Loop: Header=BB6_3361 Depth=3
	v_bfe_u32 v75, v20, 24, 3
	s_delay_alu instid0(VALU_DEP_1) | instskip(NEXT) | instid1(VALU_DEP_1)
	v_clz_i32_u32_e32 v77, v75
	v_min_u32_e32 v77, 32, v77
	s_delay_alu instid0(VALU_DEP_1) | instskip(SKIP_1) | instid1(VALU_DEP_2)
	v_subrev_nc_u32_e32 v78, 28, v77
	v_sub_nc_u32_e32 v77, 29, v77
	v_lshlrev_b32_e32 v76, v78, v76
	v_bfe_u32 v78, v20, 27, 4
	v_and_b32_e32 v20, 0x80000000, v20
	s_delay_alu instid0(VALU_DEP_2) | instskip(NEXT) | instid1(VALU_DEP_4)
	v_cmp_eq_u32_e32 vcc_lo, 0, v78
	v_dual_cndmask_b32 v77, v78, v77 :: v_dual_and_b32 v76, 7, v76
	s_delay_alu instid0(VALU_DEP_1) | instskip(NEXT) | instid1(VALU_DEP_2)
	v_cndmask_b32_e32 v75, v75, v76, vcc_lo
	v_lshl_add_u32 v76, v77, 23, 0x3b800000
	s_delay_alu instid0(VALU_DEP_2) | instskip(NEXT) | instid1(VALU_DEP_1)
	v_lshlrev_b32_e32 v75, 20, v75
	v_or3_b32 v75, v20, v76, v75
.LBB6_3925:                             ;   in Loop: Header=BB6_3361 Depth=3
	s_or_b32 exec_lo, exec_lo, s16
	v_lshrrev_b32_e32 v20, 24, v16
	s_mov_b32 s13, 0
	s_mov_b32 s17, exec_lo
                                        ; implicit-def: $sgpr16
	s_delay_alu instid0(VALU_DEP_1)
	v_cmpx_lt_i16_e32 0x7f, v20
	s_xor_b32 s17, exec_lo, s17
	s_cbranch_execnz .LBB6_4667
; %bb.3926:                             ;   in Loop: Header=BB6_3361 Depth=3
	s_or_saveexec_b32 s17, s17
	v_mov_b32_e32 v76, s16
	s_xor_b32 exec_lo, exec_lo, s17
	s_cbranch_execnz .LBB6_4670
.LBB6_3927:                             ;   in Loop: Header=BB6_3361 Depth=3
	s_or_b32 exec_lo, exec_lo, s17
	s_and_saveexec_b32 s16, s13
	s_cbranch_execz .LBB6_3929
.LBB6_3928:                             ;   in Loop: Header=BB6_3361 Depth=3
	v_bfe_u32 v76, v16, 24, 3
	s_delay_alu instid0(VALU_DEP_1) | instskip(NEXT) | instid1(VALU_DEP_1)
	v_clz_i32_u32_e32 v77, v76
	v_min_u32_e32 v77, 32, v77
	s_delay_alu instid0(VALU_DEP_1) | instskip(SKIP_1) | instid1(VALU_DEP_2)
	v_subrev_nc_u32_e32 v78, 28, v77
	v_sub_nc_u32_e32 v77, 29, v77
	v_lshlrev_b32_e32 v20, v78, v20
	v_bfe_u32 v78, v16, 27, 4
	v_and_b32_e32 v16, 0x80000000, v16
	s_delay_alu instid0(VALU_DEP_2) | instskip(NEXT) | instid1(VALU_DEP_4)
	v_cmp_eq_u32_e32 vcc_lo, 0, v78
	v_dual_cndmask_b32 v77, v78, v77 :: v_dual_and_b32 v20, 7, v20
	s_delay_alu instid0(VALU_DEP_1) | instskip(NEXT) | instid1(VALU_DEP_2)
	v_cndmask_b32_e32 v20, v76, v20, vcc_lo
	v_lshl_add_u32 v76, v77, 23, 0x3b800000
	s_delay_alu instid0(VALU_DEP_2) | instskip(NEXT) | instid1(VALU_DEP_1)
	v_lshlrev_b32_e32 v20, 20, v20
	v_or3_b32 v76, v16, v76, v20
.LBB6_3929:                             ;   in Loop: Header=BB6_3361 Depth=3
	s_or_b32 exec_lo, exec_lo, s16
	s_delay_alu instid0(VALU_DEP_1) | instskip(NEXT) | instid1(VALU_DEP_1)
	v_add_f32_e32 v20, v75, v76
	v_and_b32_e32 v16, 0x7f800000, v20
	s_delay_alu instid0(VALU_DEP_1)
	v_cmp_ne_u32_e32 vcc_lo, 0x7f800000, v16
	v_mov_b32_e32 v16, 0x80
	s_and_saveexec_b32 s16, vcc_lo
	s_cbranch_execz .LBB6_3937
; %bb.3930:                             ;   in Loop: Header=BB6_3361 Depth=3
	v_mov_b32_e32 v16, 0
	s_mov_b32 s17, exec_lo
	v_cmpx_ne_u32_e32 0, v20
	s_cbranch_execz .LBB6_3936
; %bb.3931:                             ;   in Loop: Header=BB6_3361 Depth=3
	v_bfe_u32 v16, v20, 23, 8
	v_and_b32_e32 v75, 0x7fffff, v20
	s_delay_alu instid0(VALU_DEP_2) | instskip(SKIP_1) | instid1(VALU_DEP_3)
	v_sub_nc_u32_e32 v76, 0x78, v16
	v_cmp_gt_u32_e32 vcc_lo, 0x79, v16
	v_or_b32_e32 v77, 0x800000, v75
	s_delay_alu instid0(VALU_DEP_3) | instskip(SKIP_1) | instid1(VALU_DEP_3)
	v_cndmask_b32_e32 v76, 0, v76, vcc_lo
	v_cmp_eq_u32_e32 vcc_lo, 0, v16
	v_dual_cndmask_b32 v75, v77, v75 :: v_dual_add_nc_u32 v16, 0xffffff89, v16
	s_delay_alu instid0(VALU_DEP_3) | instskip(NEXT) | instid1(VALU_DEP_2)
	v_cndmask_b32_e64 v76, v76, 0x77, vcc_lo
	v_cndmask_b32_e64 v16, v16, 0xffffff8a, vcc_lo
	s_delay_alu instid0(VALU_DEP_2) | instskip(SKIP_2) | instid1(VALU_DEP_4)
	v_lshrrev_b32_e32 v78, v76, v75
	v_lshl_add_u32 v77, 0x100000, v76, -1
	v_lshlrev_b32_e64 v88, v76, 0x80000
	v_add_nc_u32_e32 v76, v76, v16
	s_delay_alu instid0(VALU_DEP_4) | instskip(NEXT) | instid1(VALU_DEP_4)
	v_bfe_u32 v79, v78, 20, 1
	v_and_b32_e32 v75, v77, v75
	s_delay_alu instid0(VALU_DEP_2) | instskip(NEXT) | instid1(VALU_DEP_2)
	v_add_nc_u32_e32 v77, -1, v79
	v_cmp_eq_u32_e64 s13, v75, v88
	s_delay_alu instid0(VALU_DEP_1) | instskip(SKIP_2) | instid1(VALU_DEP_2)
	v_cndmask_b32_e64 v75, 0, v77, s13
	v_lshrrev_b32_e32 v77, 23, v78
	s_mov_b32 s13, exec_lo
	v_add_nc_u32_e32 v75, v75, v78
	s_delay_alu instid0(VALU_DEP_2) | instskip(NEXT) | instid1(VALU_DEP_2)
	v_xor_b32_e32 v77, 1, v77
	v_and_b32_e32 v16, 0xfffff, v75
	s_delay_alu instid0(VALU_DEP_1) | instskip(NEXT) | instid1(VALU_DEP_3)
	v_add_nc_u32_e32 v75, v16, v78
                                        ; implicit-def: $vgpr16
	v_cmpx_ne_u32_e64 v76, v77
	s_xor_b32 s13, exec_lo, s13
; %bb.3932:                             ;   in Loop: Header=BB6_3361 Depth=3
	s_delay_alu instid0(VALU_DEP_2) | instskip(SKIP_2) | instid1(VALU_DEP_2)
	v_cmp_lt_u32_e32 vcc_lo, 0xffffff, v75
	v_sub_nc_u32_e32 v16, v76, v77
	v_cndmask_b32_e64 v76, 0, 1, vcc_lo
	v_add_co_ci_u32_e32 v16, vcc_lo, 0, v16, vcc_lo
	s_delay_alu instid0(VALU_DEP_2)
	v_lshrrev_b32_e32 v75, v76, v75
; %bb.3933:                             ;   in Loop: Header=BB6_3361 Depth=3
	s_and_not1_saveexec_b32 s13, s13
; %bb.3934:                             ;   in Loop: Header=BB6_3361 Depth=3
	s_delay_alu instid0(VALU_DEP_1)
	v_bfe_u32 v16, v75, 23, 1
; %bb.3935:                             ;   in Loop: Header=BB6_3361 Depth=3
	s_or_b32 exec_lo, exec_lo, s13
	v_lshrrev_b32_e32 v75, 20, v75
	s_delay_alu instid0(VALU_DEP_2) | instskip(SKIP_2) | instid1(VALU_DEP_2)
	v_cmp_gt_i32_e32 vcc_lo, 16, v16
	v_lshrrev_b32_e32 v20, 24, v20
	v_min_i32_e32 v76, 15, v16
	v_dual_cndmask_b32 v75, 7, v75 :: v_dual_and_b32 v20, 0x80, v20
	s_delay_alu instid0(VALU_DEP_2) | instskip(NEXT) | instid1(VALU_DEP_2)
	v_lshlrev_b32_e32 v76, 3, v76
	v_or_b32_e32 v16, v16, v75
	s_delay_alu instid0(VALU_DEP_1) | instskip(SKIP_1) | instid1(VALU_DEP_1)
	v_cmp_ne_u32_e32 vcc_lo, 0, v16
	v_and_b32_e32 v77, 7, v75
	v_or3_b32 v20, v76, v20, v77
	s_delay_alu instid0(VALU_DEP_1)
	v_cndmask_b32_e32 v16, 0, v20, vcc_lo
.LBB6_3936:                             ;   in Loop: Header=BB6_3361 Depth=3
	s_or_b32 exec_lo, exec_lo, s17
.LBB6_3937:                             ;   in Loop: Header=BB6_3361 Depth=3
	s_delay_alu instid0(SALU_CYCLE_1) | instskip(SKIP_3) | instid1(VALU_DEP_1)
	s_or_b32 exec_lo, exec_lo, s16
	v_and_b32_e32 v75, 0xff, v21
	s_mov_b32 s13, 0
	s_mov_b32 s17, exec_lo
                                        ; implicit-def: $sgpr16
	v_cmpx_lt_i16_e32 0x7f, v75
	s_xor_b32 s17, exec_lo, s17
	s_cbranch_execnz .LBB6_4671
; %bb.3938:                             ;   in Loop: Header=BB6_3361 Depth=3
	s_or_saveexec_b32 s17, s17
	v_mov_b32_e32 v20, s16
	s_xor_b32 exec_lo, exec_lo, s17
	s_cbranch_execnz .LBB6_4674
.LBB6_3939:                             ;   in Loop: Header=BB6_3361 Depth=3
	s_or_b32 exec_lo, exec_lo, s17
	s_and_saveexec_b32 s16, s13
	s_cbranch_execz .LBB6_3941
.LBB6_3940:                             ;   in Loop: Header=BB6_3361 Depth=3
	v_bfe_u32 v77, v21, 3, 4
	v_lshlrev_b32_e32 v78, 24, v21
	s_delay_alu instid0(VALU_DEP_2) | instskip(SKIP_1) | instid1(VALU_DEP_1)
	v_cmp_eq_u32_e32 vcc_lo, 0, v77
	v_and_b32_e32 v20, 7, v21
	v_clz_i32_u32_e32 v75, v20
	s_delay_alu instid0(VALU_DEP_1) | instskip(NEXT) | instid1(VALU_DEP_1)
	v_min_u32_e32 v75, 32, v75
	v_subrev_nc_u32_e32 v76, 28, v75
	v_sub_nc_u32_e32 v75, 29, v75
	s_delay_alu instid0(VALU_DEP_1) | instskip(NEXT) | instid1(VALU_DEP_1)
	v_dual_cndmask_b32 v75, v77, v75 :: v_dual_lshlrev_b32 v76, v76, v21
	v_and_b32_e32 v76, 7, v76
	s_delay_alu instid0(VALU_DEP_2) | instskip(NEXT) | instid1(VALU_DEP_2)
	v_lshl_add_u32 v75, v75, 23, 0x3b800000
	v_cndmask_b32_e32 v20, v20, v76, vcc_lo
	v_and_b32_e32 v76, 0x80000000, v78
	s_delay_alu instid0(VALU_DEP_2) | instskip(NEXT) | instid1(VALU_DEP_1)
	v_lshlrev_b32_e32 v20, 20, v20
	v_or3_b32 v20, v76, v75, v20
.LBB6_3941:                             ;   in Loop: Header=BB6_3361 Depth=3
	s_or_b32 exec_lo, exec_lo, s16
	v_and_b32_e32 v76, 0xff, v17
	s_mov_b32 s13, 0
	s_mov_b32 s17, exec_lo
                                        ; implicit-def: $sgpr16
	s_delay_alu instid0(VALU_DEP_1)
	v_cmpx_lt_i16_e32 0x7f, v76
	s_xor_b32 s17, exec_lo, s17
	s_cbranch_execnz .LBB6_4675
; %bb.3942:                             ;   in Loop: Header=BB6_3361 Depth=3
	s_or_saveexec_b32 s17, s17
	v_mov_b32_e32 v75, s16
	s_xor_b32 exec_lo, exec_lo, s17
	s_cbranch_execnz .LBB6_4678
.LBB6_3943:                             ;   in Loop: Header=BB6_3361 Depth=3
	s_or_b32 exec_lo, exec_lo, s17
	s_and_saveexec_b32 s16, s13
	s_cbranch_execz .LBB6_3945
.LBB6_3944:                             ;   in Loop: Header=BB6_3361 Depth=3
	v_bfe_u32 v78, v17, 3, 4
	v_lshlrev_b32_e32 v79, 24, v17
	s_delay_alu instid0(VALU_DEP_2) | instskip(SKIP_1) | instid1(VALU_DEP_1)
	v_cmp_eq_u32_e32 vcc_lo, 0, v78
	v_and_b32_e32 v75, 7, v17
	v_clz_i32_u32_e32 v76, v75
	s_delay_alu instid0(VALU_DEP_1) | instskip(NEXT) | instid1(VALU_DEP_1)
	v_min_u32_e32 v76, 32, v76
	v_subrev_nc_u32_e32 v77, 28, v76
	v_sub_nc_u32_e32 v76, 29, v76
	s_delay_alu instid0(VALU_DEP_1) | instskip(NEXT) | instid1(VALU_DEP_1)
	v_dual_cndmask_b32 v76, v78, v76 :: v_dual_lshlrev_b32 v77, v77, v17
	v_and_b32_e32 v77, 7, v77
	s_delay_alu instid0(VALU_DEP_2) | instskip(NEXT) | instid1(VALU_DEP_2)
	v_lshl_add_u32 v76, v76, 23, 0x3b800000
	v_cndmask_b32_e32 v75, v75, v77, vcc_lo
	v_and_b32_e32 v77, 0x80000000, v79
	s_delay_alu instid0(VALU_DEP_2) | instskip(NEXT) | instid1(VALU_DEP_1)
	v_lshlrev_b32_e32 v75, 20, v75
	v_or3_b32 v75, v77, v76, v75
.LBB6_3945:                             ;   in Loop: Header=BB6_3361 Depth=3
	s_or_b32 exec_lo, exec_lo, s16
	s_delay_alu instid0(VALU_DEP_1) | instskip(NEXT) | instid1(VALU_DEP_1)
	v_add_f32_e32 v75, v20, v75
	v_and_b32_e32 v20, 0x7f800000, v75
	s_delay_alu instid0(VALU_DEP_1)
	v_cmp_ne_u32_e32 vcc_lo, 0x7f800000, v20
	v_mov_b32_e32 v20, 0x80
	s_and_saveexec_b32 s16, vcc_lo
	s_cbranch_execz .LBB6_3953
; %bb.3946:                             ;   in Loop: Header=BB6_3361 Depth=3
	v_mov_b32_e32 v20, 0
	s_mov_b32 s17, exec_lo
	v_cmpx_ne_u32_e32 0, v75
	s_cbranch_execz .LBB6_3952
; %bb.3947:                             ;   in Loop: Header=BB6_3361 Depth=3
	v_bfe_u32 v20, v75, 23, 8
	s_delay_alu instid0(VALU_DEP_1) | instskip(SKIP_1) | instid1(VALU_DEP_2)
	v_sub_nc_u32_e32 v77, 0x78, v20
	v_cmp_gt_u32_e32 vcc_lo, 0x79, v20
	v_dual_cndmask_b32 v77, 0, v77 :: v_dual_and_b32 v76, 0x7fffff, v75
	s_delay_alu instid0(VALU_DEP_1) | instskip(SKIP_2) | instid1(VALU_DEP_4)
	v_or_b32_e32 v78, 0x800000, v76
	v_cmp_eq_u32_e32 vcc_lo, 0, v20
	v_add_nc_u32_e32 v20, 0xffffff89, v20
	v_cndmask_b32_e64 v77, v77, 0x77, vcc_lo
	s_delay_alu instid0(VALU_DEP_4) | instskip(NEXT) | instid1(VALU_DEP_3)
	v_cndmask_b32_e32 v76, v78, v76, vcc_lo
	v_cndmask_b32_e64 v20, v20, 0xffffff8a, vcc_lo
	s_delay_alu instid0(VALU_DEP_3) | instskip(NEXT) | instid1(VALU_DEP_3)
	v_lshl_add_u32 v78, 0x100000, v77, -1
	v_lshrrev_b32_e32 v79, v77, v76
	v_lshlrev_b32_e64 v89, v77, 0x80000
	s_delay_alu instid0(VALU_DEP_4) | instskip(NEXT) | instid1(VALU_DEP_4)
	v_add_nc_u32_e32 v77, v77, v20
	v_and_b32_e32 v76, v78, v76
	s_delay_alu instid0(VALU_DEP_4) | instskip(NEXT) | instid1(VALU_DEP_2)
	v_bfe_u32 v88, v79, 20, 1
	v_cmp_eq_u32_e64 s13, v76, v89
	s_delay_alu instid0(VALU_DEP_2) | instskip(NEXT) | instid1(VALU_DEP_1)
	v_add_nc_u32_e32 v78, -1, v88
	v_cndmask_b32_e64 v76, 0, v78, s13
	v_lshrrev_b32_e32 v78, 23, v79
	s_mov_b32 s13, exec_lo
	s_delay_alu instid0(VALU_DEP_2) | instskip(NEXT) | instid1(VALU_DEP_2)
	v_add_nc_u32_e32 v76, v76, v79
	v_xor_b32_e32 v78, 1, v78
	s_delay_alu instid0(VALU_DEP_2) | instskip(NEXT) | instid1(VALU_DEP_1)
	v_and_b32_e32 v20, 0xfffff, v76
	v_add_nc_u32_e32 v76, v20, v79
                                        ; implicit-def: $vgpr20
	s_delay_alu instid0(VALU_DEP_3)
	v_cmpx_ne_u32_e64 v77, v78
	s_xor_b32 s13, exec_lo, s13
; %bb.3948:                             ;   in Loop: Header=BB6_3361 Depth=3
	s_delay_alu instid0(VALU_DEP_2) | instskip(SKIP_2) | instid1(VALU_DEP_2)
	v_cmp_lt_u32_e32 vcc_lo, 0xffffff, v76
	v_sub_nc_u32_e32 v20, v77, v78
	v_cndmask_b32_e64 v77, 0, 1, vcc_lo
	v_add_co_ci_u32_e32 v20, vcc_lo, 0, v20, vcc_lo
	s_delay_alu instid0(VALU_DEP_2)
	v_lshrrev_b32_e32 v76, v77, v76
; %bb.3949:                             ;   in Loop: Header=BB6_3361 Depth=3
	s_and_not1_saveexec_b32 s13, s13
; %bb.3950:                             ;   in Loop: Header=BB6_3361 Depth=3
	s_delay_alu instid0(VALU_DEP_1)
	v_bfe_u32 v20, v76, 23, 1
; %bb.3951:                             ;   in Loop: Header=BB6_3361 Depth=3
	s_or_b32 exec_lo, exec_lo, s13
	v_lshrrev_b32_e32 v76, 20, v76
	s_delay_alu instid0(VALU_DEP_2) | instskip(SKIP_2) | instid1(VALU_DEP_2)
	v_cmp_gt_i32_e32 vcc_lo, 16, v20
	v_lshrrev_b32_e32 v75, 24, v75
	v_min_i32_e32 v77, 15, v20
	v_dual_cndmask_b32 v76, 7, v76 :: v_dual_and_b32 v75, 0x80, v75
	s_delay_alu instid0(VALU_DEP_1) | instskip(SKIP_1) | instid1(VALU_DEP_2)
	v_or_b32_e32 v20, v20, v76
	v_and_b32_e32 v78, 7, v76
	v_cmp_ne_u32_e32 vcc_lo, 0, v20
	v_lshlrev_b32_e32 v77, 3, v77
	s_delay_alu instid0(VALU_DEP_1) | instskip(NEXT) | instid1(VALU_DEP_1)
	v_or3_b32 v75, v77, v75, v78
	v_cndmask_b32_e32 v20, 0, v75, vcc_lo
.LBB6_3952:                             ;   in Loop: Header=BB6_3361 Depth=3
	s_or_b32 exec_lo, exec_lo, s17
.LBB6_3953:                             ;   in Loop: Header=BB6_3361 Depth=3
	s_delay_alu instid0(SALU_CYCLE_1) | instskip(SKIP_3) | instid1(VALU_DEP_1)
	s_or_b32 exec_lo, exec_lo, s16
	v_lshrrev_b16 v76, 8, v21
	s_mov_b32 s13, 0
	s_mov_b32 s17, exec_lo
                                        ; implicit-def: $sgpr16
	v_cmpx_lt_i16_e32 0x7f, v76
	s_xor_b32 s17, exec_lo, s17
	s_cbranch_execnz .LBB6_4679
; %bb.3954:                             ;   in Loop: Header=BB6_3361 Depth=3
	s_or_saveexec_b32 s17, s17
	v_mov_b32_e32 v75, s16
	s_xor_b32 exec_lo, exec_lo, s17
	s_cbranch_execnz .LBB6_4682
.LBB6_3955:                             ;   in Loop: Header=BB6_3361 Depth=3
	s_or_b32 exec_lo, exec_lo, s17
	s_and_saveexec_b32 s16, s13
	s_cbranch_execz .LBB6_3957
.LBB6_3956:                             ;   in Loop: Header=BB6_3361 Depth=3
	v_and_b32_e32 v75, 0xffff, v76
	s_delay_alu instid0(VALU_DEP_1) | instskip(NEXT) | instid1(VALU_DEP_1)
	v_and_b32_e32 v77, 7, v75
	v_clz_i32_u32_e32 v78, v77
	s_delay_alu instid0(VALU_DEP_1) | instskip(NEXT) | instid1(VALU_DEP_1)
	v_min_u32_e32 v78, 32, v78
	v_subrev_nc_u32_e32 v79, 28, v78
	v_sub_nc_u32_e32 v78, 29, v78
	s_delay_alu instid0(VALU_DEP_2) | instskip(SKIP_1) | instid1(VALU_DEP_2)
	v_lshlrev_b32_e32 v79, v79, v75
	v_bfe_u32 v75, v75, 3, 4
	v_and_b32_e32 v79, 7, v79
	s_delay_alu instid0(VALU_DEP_2) | instskip(SKIP_1) | instid1(VALU_DEP_1)
	v_cmp_eq_u32_e32 vcc_lo, 0, v75
	v_dual_cndmask_b32 v75, v75, v78 :: v_dual_lshlrev_b32 v76, 24, v76
	v_dual_cndmask_b32 v77, v77, v79 :: v_dual_and_b32 v76, 0x80000000, v76
	s_delay_alu instid0(VALU_DEP_2) | instskip(NEXT) | instid1(VALU_DEP_2)
	v_lshl_add_u32 v75, v75, 23, 0x3b800000
	v_lshlrev_b32_e32 v77, 20, v77
	s_delay_alu instid0(VALU_DEP_1)
	v_or3_b32 v75, v76, v75, v77
.LBB6_3957:                             ;   in Loop: Header=BB6_3361 Depth=3
	s_or_b32 exec_lo, exec_lo, s16
	v_lshrrev_b16 v76, 8, v17
	s_mov_b32 s13, 0
	s_mov_b32 s17, exec_lo
                                        ; implicit-def: $sgpr16
	s_delay_alu instid0(VALU_DEP_1)
	v_cmpx_lt_i16_e32 0x7f, v76
	s_xor_b32 s17, exec_lo, s17
	s_cbranch_execnz .LBB6_4683
; %bb.3958:                             ;   in Loop: Header=BB6_3361 Depth=3
	s_or_saveexec_b32 s17, s17
	v_mov_b32_e32 v77, s16
	s_xor_b32 exec_lo, exec_lo, s17
	s_cbranch_execnz .LBB6_4686
.LBB6_3959:                             ;   in Loop: Header=BB6_3361 Depth=3
	s_or_b32 exec_lo, exec_lo, s17
	s_and_saveexec_b32 s16, s13
	s_cbranch_execz .LBB6_3961
.LBB6_3960:                             ;   in Loop: Header=BB6_3361 Depth=3
	v_and_b32_e32 v77, 0xffff, v76
	v_lshlrev_b32_e32 v76, 24, v76
	s_delay_alu instid0(VALU_DEP_2) | instskip(NEXT) | instid1(VALU_DEP_2)
	v_and_b32_e32 v78, 7, v77
	v_and_b32_e32 v76, 0x80000000, v76
	s_delay_alu instid0(VALU_DEP_2) | instskip(NEXT) | instid1(VALU_DEP_1)
	v_clz_i32_u32_e32 v79, v78
	v_min_u32_e32 v79, 32, v79
	s_delay_alu instid0(VALU_DEP_1) | instskip(SKIP_1) | instid1(VALU_DEP_2)
	v_subrev_nc_u32_e32 v88, 28, v79
	v_sub_nc_u32_e32 v79, 29, v79
	v_lshlrev_b32_e32 v88, v88, v77
	v_bfe_u32 v77, v77, 3, 4
	s_delay_alu instid0(VALU_DEP_2) | instskip(NEXT) | instid1(VALU_DEP_2)
	v_and_b32_e32 v88, 7, v88
	v_cmp_eq_u32_e32 vcc_lo, 0, v77
	s_delay_alu instid0(VALU_DEP_2) | instskip(NEXT) | instid1(VALU_DEP_1)
	v_dual_cndmask_b32 v77, v77, v79 :: v_dual_cndmask_b32 v78, v78, v88
	v_lshl_add_u32 v77, v77, 23, 0x3b800000
	s_delay_alu instid0(VALU_DEP_2) | instskip(NEXT) | instid1(VALU_DEP_1)
	v_lshlrev_b32_e32 v78, 20, v78
	v_or3_b32 v77, v76, v77, v78
.LBB6_3961:                             ;   in Loop: Header=BB6_3361 Depth=3
	s_or_b32 exec_lo, exec_lo, s16
	s_delay_alu instid0(VALU_DEP_1) | instskip(NEXT) | instid1(VALU_DEP_1)
	v_add_f32_e32 v76, v75, v77
	v_and_b32_e32 v75, 0x7f800000, v76
	s_delay_alu instid0(VALU_DEP_1)
	v_cmp_ne_u32_e32 vcc_lo, 0x7f800000, v75
	v_mov_b32_e32 v75, 0x8000
	s_and_saveexec_b32 s16, vcc_lo
	s_cbranch_execz .LBB6_3969
; %bb.3962:                             ;   in Loop: Header=BB6_3361 Depth=3
	v_mov_b32_e32 v75, 0
	s_mov_b32 s17, exec_lo
	v_cmpx_ne_u32_e32 0, v76
	s_cbranch_execz .LBB6_3968
; %bb.3963:                             ;   in Loop: Header=BB6_3361 Depth=3
	v_bfe_u32 v75, v76, 23, 8
	s_delay_alu instid0(VALU_DEP_1) | instskip(SKIP_1) | instid1(VALU_DEP_2)
	v_sub_nc_u32_e32 v78, 0x78, v75
	v_cmp_gt_u32_e32 vcc_lo, 0x79, v75
	v_dual_cndmask_b32 v78, 0, v78 :: v_dual_and_b32 v77, 0x7fffff, v76
	s_delay_alu instid0(VALU_DEP_1) | instskip(SKIP_2) | instid1(VALU_DEP_4)
	v_or_b32_e32 v79, 0x800000, v77
	v_cmp_eq_u32_e32 vcc_lo, 0, v75
	v_add_nc_u32_e32 v75, 0xffffff89, v75
	v_cndmask_b32_e64 v78, v78, 0x77, vcc_lo
	s_delay_alu instid0(VALU_DEP_2) | instskip(SKIP_1) | instid1(VALU_DEP_3)
	v_cndmask_b32_e64 v75, v75, 0xffffff8a, vcc_lo
	v_cndmask_b32_e32 v77, v79, v77, vcc_lo
	v_lshl_add_u32 v79, 0x100000, v78, -1
	v_lshlrev_b32_e64 v90, v78, 0x80000
	s_delay_alu instid0(VALU_DEP_3) | instskip(SKIP_1) | instid1(VALU_DEP_4)
	v_lshrrev_b32_e32 v88, v78, v77
	v_add_nc_u32_e32 v78, v78, v75
	v_and_b32_e32 v77, v79, v77
	s_delay_alu instid0(VALU_DEP_3) | instskip(NEXT) | instid1(VALU_DEP_2)
	v_bfe_u32 v89, v88, 20, 1
	v_cmp_eq_u32_e64 s13, v77, v90
	s_delay_alu instid0(VALU_DEP_2) | instskip(NEXT) | instid1(VALU_DEP_1)
	v_add_nc_u32_e32 v79, -1, v89
	v_cndmask_b32_e64 v77, 0, v79, s13
	v_lshrrev_b32_e32 v79, 23, v88
	s_mov_b32 s13, exec_lo
	s_delay_alu instid0(VALU_DEP_2) | instskip(NEXT) | instid1(VALU_DEP_2)
	v_add_nc_u32_e32 v77, v77, v88
	v_xor_b32_e32 v79, 1, v79
	s_delay_alu instid0(VALU_DEP_2) | instskip(NEXT) | instid1(VALU_DEP_1)
	v_and_b32_e32 v75, 0xfffff, v77
	v_add_nc_u32_e32 v77, v75, v88
                                        ; implicit-def: $vgpr75
	s_delay_alu instid0(VALU_DEP_3)
	v_cmpx_ne_u32_e64 v78, v79
	s_xor_b32 s13, exec_lo, s13
; %bb.3964:                             ;   in Loop: Header=BB6_3361 Depth=3
	s_delay_alu instid0(VALU_DEP_2) | instskip(SKIP_2) | instid1(VALU_DEP_2)
	v_cmp_lt_u32_e32 vcc_lo, 0xffffff, v77
	v_sub_nc_u32_e32 v75, v78, v79
	v_cndmask_b32_e64 v78, 0, 1, vcc_lo
	v_add_co_ci_u32_e32 v75, vcc_lo, 0, v75, vcc_lo
	s_delay_alu instid0(VALU_DEP_2)
	v_lshrrev_b32_e32 v77, v78, v77
; %bb.3965:                             ;   in Loop: Header=BB6_3361 Depth=3
	s_and_not1_saveexec_b32 s13, s13
; %bb.3966:                             ;   in Loop: Header=BB6_3361 Depth=3
	s_delay_alu instid0(VALU_DEP_1)
	v_bfe_u32 v75, v77, 23, 1
; %bb.3967:                             ;   in Loop: Header=BB6_3361 Depth=3
	s_or_b32 exec_lo, exec_lo, s13
	v_lshrrev_b32_e32 v77, 20, v77
	s_delay_alu instid0(VALU_DEP_2) | instskip(SKIP_2) | instid1(VALU_DEP_2)
	v_cmp_gt_i32_e32 vcc_lo, 16, v75
	v_min_i32_e32 v78, 15, v75
	v_lshrrev_b32_e32 v76, 24, v76
	v_dual_cndmask_b32 v77, 7, v77 :: v_dual_lshlrev_b32 v78, 3, v78
	s_delay_alu instid0(VALU_DEP_2) | instskip(NEXT) | instid1(VALU_DEP_2)
	v_and_b32_e32 v76, 0x80, v76
	v_or_b32_e32 v75, v75, v77
	v_and_b32_e32 v79, 7, v77
	s_delay_alu instid0(VALU_DEP_2) | instskip(SKIP_1) | instid1(VALU_DEP_1)
	v_cmp_ne_u32_e32 vcc_lo, 0, v75
	v_and_b32_e32 v78, 0xf8, v78
	v_or3_b32 v76, v76, v78, v79
	s_delay_alu instid0(VALU_DEP_1) | instskip(NEXT) | instid1(VALU_DEP_1)
	v_lshlrev_b32_e32 v76, 8, v76
	v_cndmask_b32_e32 v75, 0, v76, vcc_lo
.LBB6_3968:                             ;   in Loop: Header=BB6_3361 Depth=3
	s_or_b32 exec_lo, exec_lo, s17
.LBB6_3969:                             ;   in Loop: Header=BB6_3361 Depth=3
	s_delay_alu instid0(SALU_CYCLE_1) | instskip(SKIP_3) | instid1(VALU_DEP_1)
	s_or_b32 exec_lo, exec_lo, s16
	v_lshrrev_b32_e32 v77, 16, v21
	s_mov_b32 s13, 0
	s_mov_b32 s17, exec_lo
                                        ; implicit-def: $sgpr16
	v_and_b32_e32 v78, 0xff, v77
	s_delay_alu instid0(VALU_DEP_1)
	v_cmpx_lt_i16_e32 0x7f, v78
	s_xor_b32 s17, exec_lo, s17
	s_cbranch_execnz .LBB6_4687
; %bb.3970:                             ;   in Loop: Header=BB6_3361 Depth=3
	s_or_saveexec_b32 s17, s17
	v_mov_b32_e32 v76, s16
	s_xor_b32 exec_lo, exec_lo, s17
	s_cbranch_execnz .LBB6_4690
.LBB6_3971:                             ;   in Loop: Header=BB6_3361 Depth=3
	s_or_b32 exec_lo, exec_lo, s17
	s_and_saveexec_b32 s16, s13
	s_cbranch_execz .LBB6_3973
.LBB6_3972:                             ;   in Loop: Header=BB6_3361 Depth=3
	v_bfe_u32 v76, v21, 16, 3
	v_lshlrev_b32_e32 v88, 8, v21
	s_delay_alu instid0(VALU_DEP_2) | instskip(NEXT) | instid1(VALU_DEP_1)
	v_clz_i32_u32_e32 v78, v76
	v_min_u32_e32 v78, 32, v78
	s_delay_alu instid0(VALU_DEP_1) | instskip(SKIP_1) | instid1(VALU_DEP_2)
	v_subrev_nc_u32_e32 v79, 28, v78
	v_sub_nc_u32_e32 v78, 29, v78
	v_lshlrev_b32_e32 v77, v79, v77
	v_bfe_u32 v79, v21, 19, 4
	s_delay_alu instid0(VALU_DEP_1) | instskip(NEXT) | instid1(VALU_DEP_3)
	v_cmp_eq_u32_e32 vcc_lo, 0, v79
	v_dual_cndmask_b32 v78, v79, v78 :: v_dual_and_b32 v77, 7, v77
	s_delay_alu instid0(VALU_DEP_1) | instskip(NEXT) | instid1(VALU_DEP_2)
	v_dual_cndmask_b32 v76, v76, v77 :: v_dual_and_b32 v77, 0x80000000, v88
	v_lshl_add_u32 v78, v78, 23, 0x3b800000
	s_delay_alu instid0(VALU_DEP_2) | instskip(NEXT) | instid1(VALU_DEP_1)
	v_lshlrev_b32_e32 v76, 20, v76
	v_or3_b32 v76, v77, v78, v76
.LBB6_3973:                             ;   in Loop: Header=BB6_3361 Depth=3
	s_or_b32 exec_lo, exec_lo, s16
	v_lshrrev_b32_e32 v77, 16, v17
	s_mov_b32 s13, 0
	s_mov_b32 s17, exec_lo
                                        ; implicit-def: $sgpr16
	s_delay_alu instid0(VALU_DEP_1) | instskip(NEXT) | instid1(VALU_DEP_1)
	v_and_b32_e32 v79, 0xff, v77
	v_cmpx_lt_i16_e32 0x7f, v79
	s_xor_b32 s17, exec_lo, s17
	s_cbranch_execnz .LBB6_4691
; %bb.3974:                             ;   in Loop: Header=BB6_3361 Depth=3
	s_or_saveexec_b32 s17, s17
	v_mov_b32_e32 v78, s16
	s_xor_b32 exec_lo, exec_lo, s17
	s_cbranch_execnz .LBB6_4694
.LBB6_3975:                             ;   in Loop: Header=BB6_3361 Depth=3
	s_or_b32 exec_lo, exec_lo, s17
	s_and_saveexec_b32 s16, s13
	s_cbranch_execz .LBB6_3977
.LBB6_3976:                             ;   in Loop: Header=BB6_3361 Depth=3
	v_bfe_u32 v78, v17, 16, 3
	v_lshlrev_b32_e32 v89, 8, v17
	s_delay_alu instid0(VALU_DEP_2) | instskip(NEXT) | instid1(VALU_DEP_1)
	v_clz_i32_u32_e32 v79, v78
	v_min_u32_e32 v79, 32, v79
	s_delay_alu instid0(VALU_DEP_1) | instskip(SKIP_1) | instid1(VALU_DEP_2)
	v_subrev_nc_u32_e32 v88, 28, v79
	v_sub_nc_u32_e32 v79, 29, v79
	v_lshlrev_b32_e32 v77, v88, v77
	v_bfe_u32 v88, v17, 19, 4
	s_delay_alu instid0(VALU_DEP_2) | instskip(NEXT) | instid1(VALU_DEP_2)
	v_and_b32_e32 v77, 7, v77
	v_cmp_eq_u32_e32 vcc_lo, 0, v88
	v_cndmask_b32_e32 v79, v88, v79, vcc_lo
	s_delay_alu instid0(VALU_DEP_3) | instskip(SKIP_1) | instid1(VALU_DEP_3)
	v_cndmask_b32_e32 v77, v78, v77, vcc_lo
	v_and_b32_e32 v78, 0x80000000, v89
	v_lshl_add_u32 v79, v79, 23, 0x3b800000
	s_delay_alu instid0(VALU_DEP_3) | instskip(NEXT) | instid1(VALU_DEP_1)
	v_lshlrev_b32_e32 v77, 20, v77
	v_or3_b32 v78, v78, v79, v77
.LBB6_3977:                             ;   in Loop: Header=BB6_3361 Depth=3
	s_or_b32 exec_lo, exec_lo, s16
	s_delay_alu instid0(VALU_DEP_1) | instskip(NEXT) | instid1(VALU_DEP_1)
	v_add_f32_e32 v77, v76, v78
	v_and_b32_e32 v76, 0x7f800000, v77
	s_delay_alu instid0(VALU_DEP_1)
	v_cmp_ne_u32_e32 vcc_lo, 0x7f800000, v76
	v_mov_b32_e32 v76, 0x80
	s_and_saveexec_b32 s16, vcc_lo
	s_cbranch_execz .LBB6_3985
; %bb.3978:                             ;   in Loop: Header=BB6_3361 Depth=3
	v_mov_b32_e32 v76, 0
	s_mov_b32 s17, exec_lo
	v_cmpx_ne_u32_e32 0, v77
	s_cbranch_execz .LBB6_3984
; %bb.3979:                             ;   in Loop: Header=BB6_3361 Depth=3
	v_bfe_u32 v76, v77, 23, 8
	s_delay_alu instid0(VALU_DEP_1) | instskip(SKIP_1) | instid1(VALU_DEP_2)
	v_sub_nc_u32_e32 v79, 0x78, v76
	v_cmp_gt_u32_e32 vcc_lo, 0x79, v76
	v_dual_cndmask_b32 v79, 0, v79 :: v_dual_and_b32 v78, 0x7fffff, v77
	s_delay_alu instid0(VALU_DEP_1) | instskip(SKIP_2) | instid1(VALU_DEP_4)
	v_or_b32_e32 v88, 0x800000, v78
	v_cmp_eq_u32_e32 vcc_lo, 0, v76
	v_add_nc_u32_e32 v76, 0xffffff89, v76
	v_cndmask_b32_e64 v79, v79, 0x77, vcc_lo
	s_delay_alu instid0(VALU_DEP_2) | instskip(SKIP_1) | instid1(VALU_DEP_3)
	v_cndmask_b32_e64 v76, v76, 0xffffff8a, vcc_lo
	v_cndmask_b32_e32 v78, v88, v78, vcc_lo
	v_lshl_add_u32 v88, 0x100000, v79, -1
	v_lshlrev_b32_e64 v91, v79, 0x80000
	s_delay_alu instid0(VALU_DEP_3) | instskip(SKIP_1) | instid1(VALU_DEP_4)
	v_lshrrev_b32_e32 v89, v79, v78
	v_add_nc_u32_e32 v79, v79, v76
	v_and_b32_e32 v78, v88, v78
	s_delay_alu instid0(VALU_DEP_3) | instskip(NEXT) | instid1(VALU_DEP_2)
	v_bfe_u32 v90, v89, 20, 1
	v_cmp_eq_u32_e64 s13, v78, v91
	s_delay_alu instid0(VALU_DEP_2) | instskip(NEXT) | instid1(VALU_DEP_1)
	v_add_nc_u32_e32 v88, -1, v90
	v_cndmask_b32_e64 v78, 0, v88, s13
	v_lshrrev_b32_e32 v88, 23, v89
	s_mov_b32 s13, exec_lo
	s_delay_alu instid0(VALU_DEP_2) | instskip(NEXT) | instid1(VALU_DEP_2)
	v_add_nc_u32_e32 v78, v78, v89
	v_xor_b32_e32 v88, 1, v88
	s_delay_alu instid0(VALU_DEP_2) | instskip(NEXT) | instid1(VALU_DEP_1)
	v_and_b32_e32 v76, 0xfffff, v78
	v_add_nc_u32_e32 v78, v76, v89
                                        ; implicit-def: $vgpr76
	s_delay_alu instid0(VALU_DEP_3)
	v_cmpx_ne_u32_e64 v79, v88
	s_xor_b32 s13, exec_lo, s13
; %bb.3980:                             ;   in Loop: Header=BB6_3361 Depth=3
	s_delay_alu instid0(VALU_DEP_2) | instskip(SKIP_2) | instid1(VALU_DEP_2)
	v_cmp_lt_u32_e32 vcc_lo, 0xffffff, v78
	v_sub_nc_u32_e32 v76, v79, v88
	v_cndmask_b32_e64 v79, 0, 1, vcc_lo
	v_add_co_ci_u32_e32 v76, vcc_lo, 0, v76, vcc_lo
	s_delay_alu instid0(VALU_DEP_2)
	v_lshrrev_b32_e32 v78, v79, v78
; %bb.3981:                             ;   in Loop: Header=BB6_3361 Depth=3
	s_and_not1_saveexec_b32 s13, s13
; %bb.3982:                             ;   in Loop: Header=BB6_3361 Depth=3
	s_delay_alu instid0(VALU_DEP_1)
	v_bfe_u32 v76, v78, 23, 1
; %bb.3983:                             ;   in Loop: Header=BB6_3361 Depth=3
	s_or_b32 exec_lo, exec_lo, s13
	v_lshrrev_b32_e32 v78, 20, v78
	s_delay_alu instid0(VALU_DEP_2) | instskip(SKIP_2) | instid1(VALU_DEP_2)
	v_cmp_gt_i32_e32 vcc_lo, 16, v76
	v_min_i32_e32 v79, 15, v76
	v_lshrrev_b32_e32 v77, 24, v77
	v_dual_cndmask_b32 v78, 7, v78 :: v_dual_lshlrev_b32 v79, 3, v79
	s_delay_alu instid0(VALU_DEP_2) | instskip(NEXT) | instid1(VALU_DEP_2)
	v_and_b32_e32 v77, 0x80, v77
	v_or_b32_e32 v76, v76, v78
	v_and_b32_e32 v88, 7, v78
	s_delay_alu instid0(VALU_DEP_2) | instskip(SKIP_1) | instid1(VALU_DEP_1)
	v_cmp_ne_u32_e32 vcc_lo, 0, v76
	v_and_b32_e32 v79, 0xf8, v79
	v_or3_b32 v77, v79, v77, v88
	s_delay_alu instid0(VALU_DEP_1)
	v_cndmask_b32_e32 v76, 0, v77, vcc_lo
.LBB6_3984:                             ;   in Loop: Header=BB6_3361 Depth=3
	s_or_b32 exec_lo, exec_lo, s17
.LBB6_3985:                             ;   in Loop: Header=BB6_3361 Depth=3
	s_delay_alu instid0(SALU_CYCLE_1) | instskip(SKIP_3) | instid1(VALU_DEP_1)
	s_or_b32 exec_lo, exec_lo, s16
	v_lshrrev_b32_e32 v78, 24, v21
	s_mov_b32 s13, 0
	s_mov_b32 s17, exec_lo
                                        ; implicit-def: $sgpr16
	v_cmpx_lt_i16_e32 0x7f, v78
	s_xor_b32 s17, exec_lo, s17
	s_cbranch_execnz .LBB6_4695
; %bb.3986:                             ;   in Loop: Header=BB6_3361 Depth=3
	s_or_saveexec_b32 s17, s17
	v_mov_b32_e32 v77, s16
	s_xor_b32 exec_lo, exec_lo, s17
	s_cbranch_execnz .LBB6_4698
.LBB6_3987:                             ;   in Loop: Header=BB6_3361 Depth=3
	s_or_b32 exec_lo, exec_lo, s17
	s_and_saveexec_b32 s16, s13
	s_cbranch_execz .LBB6_3989
.LBB6_3988:                             ;   in Loop: Header=BB6_3361 Depth=3
	v_bfe_u32 v77, v21, 24, 3
	s_delay_alu instid0(VALU_DEP_1) | instskip(NEXT) | instid1(VALU_DEP_1)
	v_clz_i32_u32_e32 v79, v77
	v_min_u32_e32 v79, 32, v79
	s_delay_alu instid0(VALU_DEP_1) | instskip(SKIP_1) | instid1(VALU_DEP_2)
	v_subrev_nc_u32_e32 v88, 28, v79
	v_sub_nc_u32_e32 v79, 29, v79
	v_lshlrev_b32_e32 v78, v88, v78
	v_bfe_u32 v88, v21, 27, 4
	v_and_b32_e32 v21, 0x80000000, v21
	s_delay_alu instid0(VALU_DEP_2) | instskip(NEXT) | instid1(VALU_DEP_4)
	v_cmp_eq_u32_e32 vcc_lo, 0, v88
	v_dual_cndmask_b32 v79, v88, v79 :: v_dual_and_b32 v78, 7, v78
	s_delay_alu instid0(VALU_DEP_1) | instskip(NEXT) | instid1(VALU_DEP_2)
	v_cndmask_b32_e32 v77, v77, v78, vcc_lo
	v_lshl_add_u32 v78, v79, 23, 0x3b800000
	s_delay_alu instid0(VALU_DEP_2) | instskip(NEXT) | instid1(VALU_DEP_1)
	v_lshlrev_b32_e32 v77, 20, v77
	v_or3_b32 v77, v21, v78, v77
.LBB6_3989:                             ;   in Loop: Header=BB6_3361 Depth=3
	s_or_b32 exec_lo, exec_lo, s16
	v_lshrrev_b32_e32 v21, 24, v17
	s_mov_b32 s13, 0
	s_mov_b32 s17, exec_lo
                                        ; implicit-def: $sgpr16
	s_delay_alu instid0(VALU_DEP_1)
	v_cmpx_lt_i16_e32 0x7f, v21
	s_xor_b32 s17, exec_lo, s17
	s_cbranch_execnz .LBB6_4699
; %bb.3990:                             ;   in Loop: Header=BB6_3361 Depth=3
	s_or_saveexec_b32 s17, s17
	v_mov_b32_e32 v78, s16
	s_xor_b32 exec_lo, exec_lo, s17
	s_cbranch_execnz .LBB6_4702
.LBB6_3991:                             ;   in Loop: Header=BB6_3361 Depth=3
	s_or_b32 exec_lo, exec_lo, s17
	s_and_saveexec_b32 s16, s13
	s_cbranch_execz .LBB6_3993
.LBB6_3992:                             ;   in Loop: Header=BB6_3361 Depth=3
	v_bfe_u32 v78, v17, 24, 3
	s_delay_alu instid0(VALU_DEP_1) | instskip(NEXT) | instid1(VALU_DEP_1)
	v_clz_i32_u32_e32 v79, v78
	v_min_u32_e32 v79, 32, v79
	s_delay_alu instid0(VALU_DEP_1) | instskip(SKIP_1) | instid1(VALU_DEP_2)
	v_subrev_nc_u32_e32 v88, 28, v79
	v_sub_nc_u32_e32 v79, 29, v79
	v_lshlrev_b32_e32 v21, v88, v21
	v_bfe_u32 v88, v17, 27, 4
	v_and_b32_e32 v17, 0x80000000, v17
	s_delay_alu instid0(VALU_DEP_3) | instskip(NEXT) | instid1(VALU_DEP_3)
	v_and_b32_e32 v21, 7, v21
	v_cmp_eq_u32_e32 vcc_lo, 0, v88
	v_cndmask_b32_e32 v79, v88, v79, vcc_lo
	s_delay_alu instid0(VALU_DEP_3) | instskip(NEXT) | instid1(VALU_DEP_2)
	v_cndmask_b32_e32 v21, v78, v21, vcc_lo
	v_lshl_add_u32 v78, v79, 23, 0x3b800000
	s_delay_alu instid0(VALU_DEP_2) | instskip(NEXT) | instid1(VALU_DEP_1)
	v_lshlrev_b32_e32 v21, 20, v21
	v_or3_b32 v78, v17, v78, v21
.LBB6_3993:                             ;   in Loop: Header=BB6_3361 Depth=3
	s_or_b32 exec_lo, exec_lo, s16
	s_delay_alu instid0(VALU_DEP_1) | instskip(NEXT) | instid1(VALU_DEP_1)
	v_add_f32_e32 v21, v77, v78
	v_and_b32_e32 v17, 0x7f800000, v21
	s_delay_alu instid0(VALU_DEP_1)
	v_cmp_ne_u32_e32 vcc_lo, 0x7f800000, v17
	v_mov_b32_e32 v17, 0x8000
	s_and_saveexec_b32 s16, vcc_lo
	s_cbranch_execz .LBB6_4001
; %bb.3994:                             ;   in Loop: Header=BB6_3361 Depth=3
	v_mov_b32_e32 v17, 0
	s_mov_b32 s17, exec_lo
	v_cmpx_ne_u32_e32 0, v21
	s_cbranch_execz .LBB6_4000
; %bb.3995:                             ;   in Loop: Header=BB6_3361 Depth=3
	v_bfe_u32 v17, v21, 23, 8
	s_delay_alu instid0(VALU_DEP_1) | instskip(SKIP_1) | instid1(VALU_DEP_2)
	v_sub_nc_u32_e32 v78, 0x78, v17
	v_cmp_gt_u32_e32 vcc_lo, 0x79, v17
	v_dual_cndmask_b32 v78, 0, v78 :: v_dual_and_b32 v77, 0x7fffff, v21
	s_delay_alu instid0(VALU_DEP_1) | instskip(SKIP_2) | instid1(VALU_DEP_4)
	v_or_b32_e32 v79, 0x800000, v77
	v_cmp_eq_u32_e32 vcc_lo, 0, v17
	v_add_nc_u32_e32 v17, 0xffffff89, v17
	v_cndmask_b32_e64 v78, v78, 0x77, vcc_lo
	s_delay_alu instid0(VALU_DEP_4) | instskip(NEXT) | instid1(VALU_DEP_3)
	v_cndmask_b32_e32 v77, v79, v77, vcc_lo
	v_cndmask_b32_e64 v17, v17, 0xffffff8a, vcc_lo
	s_delay_alu instid0(VALU_DEP_3) | instskip(NEXT) | instid1(VALU_DEP_3)
	v_lshl_add_u32 v79, 0x100000, v78, -1
	v_lshrrev_b32_e32 v88, v78, v77
	v_lshlrev_b32_e64 v90, v78, 0x80000
	s_delay_alu instid0(VALU_DEP_4) | instskip(NEXT) | instid1(VALU_DEP_4)
	v_add_nc_u32_e32 v78, v78, v17
	v_and_b32_e32 v77, v79, v77
	s_delay_alu instid0(VALU_DEP_4) | instskip(NEXT) | instid1(VALU_DEP_2)
	v_bfe_u32 v89, v88, 20, 1
	v_cmp_eq_u32_e64 s13, v77, v90
	s_delay_alu instid0(VALU_DEP_2) | instskip(NEXT) | instid1(VALU_DEP_1)
	v_add_nc_u32_e32 v79, -1, v89
	v_cndmask_b32_e64 v77, 0, v79, s13
	v_lshrrev_b32_e32 v79, 23, v88
	s_mov_b32 s13, exec_lo
	s_delay_alu instid0(VALU_DEP_2) | instskip(NEXT) | instid1(VALU_DEP_2)
	v_add_nc_u32_e32 v77, v77, v88
	v_xor_b32_e32 v79, 1, v79
	s_delay_alu instid0(VALU_DEP_2) | instskip(NEXT) | instid1(VALU_DEP_1)
	v_and_b32_e32 v17, 0xfffff, v77
	v_add_nc_u32_e32 v77, v17, v88
                                        ; implicit-def: $vgpr17
	s_delay_alu instid0(VALU_DEP_3)
	v_cmpx_ne_u32_e64 v78, v79
	s_xor_b32 s13, exec_lo, s13
; %bb.3996:                             ;   in Loop: Header=BB6_3361 Depth=3
	s_delay_alu instid0(VALU_DEP_2) | instskip(SKIP_2) | instid1(VALU_DEP_2)
	v_cmp_lt_u32_e32 vcc_lo, 0xffffff, v77
	v_sub_nc_u32_e32 v17, v78, v79
	v_cndmask_b32_e64 v78, 0, 1, vcc_lo
	v_add_co_ci_u32_e32 v17, vcc_lo, 0, v17, vcc_lo
	s_delay_alu instid0(VALU_DEP_2)
	v_lshrrev_b32_e32 v77, v78, v77
; %bb.3997:                             ;   in Loop: Header=BB6_3361 Depth=3
	s_and_not1_saveexec_b32 s13, s13
; %bb.3998:                             ;   in Loop: Header=BB6_3361 Depth=3
	s_delay_alu instid0(VALU_DEP_1)
	v_bfe_u32 v17, v77, 23, 1
; %bb.3999:                             ;   in Loop: Header=BB6_3361 Depth=3
	s_or_b32 exec_lo, exec_lo, s13
	v_lshrrev_b32_e32 v77, 20, v77
	s_delay_alu instid0(VALU_DEP_2) | instskip(SKIP_2) | instid1(VALU_DEP_2)
	v_cmp_gt_i32_e32 vcc_lo, 16, v17
	v_min_i32_e32 v78, 15, v17
	v_lshrrev_b32_e32 v21, 24, v21
	v_dual_cndmask_b32 v77, 7, v77 :: v_dual_lshlrev_b32 v78, 3, v78
	s_delay_alu instid0(VALU_DEP_2) | instskip(NEXT) | instid1(VALU_DEP_2)
	v_and_b32_e32 v21, 0x80, v21
	v_or_b32_e32 v17, v17, v77
	v_and_b32_e32 v79, 7, v77
	s_delay_alu instid0(VALU_DEP_2) | instskip(SKIP_1) | instid1(VALU_DEP_1)
	v_cmp_ne_u32_e32 vcc_lo, 0, v17
	v_and_b32_e32 v78, 0xf8, v78
	v_or3_b32 v21, v21, v78, v79
	s_delay_alu instid0(VALU_DEP_1) | instskip(NEXT) | instid1(VALU_DEP_1)
	v_lshlrev_b32_e32 v21, 8, v21
	v_cndmask_b32_e32 v17, 0, v21, vcc_lo
.LBB6_4000:                             ;   in Loop: Header=BB6_3361 Depth=3
	s_or_b32 exec_lo, exec_lo, s17
.LBB6_4001:                             ;   in Loop: Header=BB6_3361 Depth=3
	s_delay_alu instid0(SALU_CYCLE_1) | instskip(SKIP_3) | instid1(VALU_DEP_1)
	s_or_b32 exec_lo, exec_lo, s16
	v_and_b32_e32 v77, 0xff, v22
	s_mov_b32 s13, 0
	s_mov_b32 s17, exec_lo
                                        ; implicit-def: $sgpr16
	v_cmpx_lt_i16_e32 0x7f, v77
	s_xor_b32 s17, exec_lo, s17
	s_cbranch_execnz .LBB6_4703
; %bb.4002:                             ;   in Loop: Header=BB6_3361 Depth=3
	s_or_saveexec_b32 s17, s17
	v_mov_b32_e32 v21, s16
	s_xor_b32 exec_lo, exec_lo, s17
	s_cbranch_execnz .LBB6_4706
.LBB6_4003:                             ;   in Loop: Header=BB6_3361 Depth=3
	s_or_b32 exec_lo, exec_lo, s17
	s_and_saveexec_b32 s16, s13
	s_cbranch_execz .LBB6_4005
.LBB6_4004:                             ;   in Loop: Header=BB6_3361 Depth=3
	v_and_b32_e32 v21, 7, v22
	v_bfe_u32 v79, v22, 3, 4
	v_lshlrev_b32_e32 v88, 24, v22
	s_delay_alu instid0(VALU_DEP_3) | instskip(NEXT) | instid1(VALU_DEP_3)
	v_clz_i32_u32_e32 v77, v21
	v_cmp_eq_u32_e32 vcc_lo, 0, v79
	s_delay_alu instid0(VALU_DEP_2) | instskip(NEXT) | instid1(VALU_DEP_1)
	v_min_u32_e32 v77, 32, v77
	v_subrev_nc_u32_e32 v78, 28, v77
	v_sub_nc_u32_e32 v77, 29, v77
	s_delay_alu instid0(VALU_DEP_1) | instskip(NEXT) | instid1(VALU_DEP_1)
	v_dual_cndmask_b32 v77, v79, v77 :: v_dual_lshlrev_b32 v78, v78, v22
	v_and_b32_e32 v78, 7, v78
	s_delay_alu instid0(VALU_DEP_2) | instskip(NEXT) | instid1(VALU_DEP_2)
	v_lshl_add_u32 v77, v77, 23, 0x3b800000
	v_dual_cndmask_b32 v21, v21, v78 :: v_dual_and_b32 v78, 0x80000000, v88
	s_delay_alu instid0(VALU_DEP_1) | instskip(NEXT) | instid1(VALU_DEP_1)
	v_lshlrev_b32_e32 v21, 20, v21
	v_or3_b32 v21, v78, v77, v21
.LBB6_4005:                             ;   in Loop: Header=BB6_3361 Depth=3
	s_or_b32 exec_lo, exec_lo, s16
	v_and_b32_e32 v78, 0xff, v18
	s_mov_b32 s13, 0
	s_mov_b32 s17, exec_lo
                                        ; implicit-def: $sgpr16
	s_delay_alu instid0(VALU_DEP_1)
	v_cmpx_lt_i16_e32 0x7f, v78
	s_xor_b32 s17, exec_lo, s17
	s_cbranch_execnz .LBB6_4707
; %bb.4006:                             ;   in Loop: Header=BB6_3361 Depth=3
	s_or_saveexec_b32 s17, s17
	v_mov_b32_e32 v77, s16
	s_xor_b32 exec_lo, exec_lo, s17
	s_cbranch_execnz .LBB6_4710
.LBB6_4007:                             ;   in Loop: Header=BB6_3361 Depth=3
	s_or_b32 exec_lo, exec_lo, s17
	s_and_saveexec_b32 s16, s13
	s_cbranch_execz .LBB6_4009
.LBB6_4008:                             ;   in Loop: Header=BB6_3361 Depth=3
	v_and_b32_e32 v77, 7, v18
	v_bfe_u32 v88, v18, 3, 4
	v_lshlrev_b32_e32 v89, 24, v18
	s_delay_alu instid0(VALU_DEP_3) | instskip(NEXT) | instid1(VALU_DEP_3)
	v_clz_i32_u32_e32 v78, v77
	v_cmp_eq_u32_e32 vcc_lo, 0, v88
	s_delay_alu instid0(VALU_DEP_2) | instskip(NEXT) | instid1(VALU_DEP_1)
	v_min_u32_e32 v78, 32, v78
	v_subrev_nc_u32_e32 v79, 28, v78
	v_sub_nc_u32_e32 v78, 29, v78
	s_delay_alu instid0(VALU_DEP_2) | instskip(NEXT) | instid1(VALU_DEP_1)
	v_lshlrev_b32_e32 v79, v79, v18
	v_dual_cndmask_b32 v78, v88, v78 :: v_dual_and_b32 v79, 7, v79
	s_delay_alu instid0(VALU_DEP_1) | instskip(NEXT) | instid1(VALU_DEP_2)
	v_lshl_add_u32 v78, v78, 23, 0x3b800000
	v_cndmask_b32_e32 v77, v77, v79, vcc_lo
	v_and_b32_e32 v79, 0x80000000, v89
	s_delay_alu instid0(VALU_DEP_2) | instskip(NEXT) | instid1(VALU_DEP_1)
	v_lshlrev_b32_e32 v77, 20, v77
	v_or3_b32 v77, v79, v78, v77
.LBB6_4009:                             ;   in Loop: Header=BB6_3361 Depth=3
	s_or_b32 exec_lo, exec_lo, s16
	s_delay_alu instid0(VALU_DEP_1) | instskip(NEXT) | instid1(VALU_DEP_1)
	v_add_f32_e32 v77, v21, v77
	v_and_b32_e32 v21, 0x7f800000, v77
	s_delay_alu instid0(VALU_DEP_1)
	v_cmp_ne_u32_e32 vcc_lo, 0x7f800000, v21
	v_mov_b32_e32 v21, 0x80
	s_and_saveexec_b32 s16, vcc_lo
	s_cbranch_execz .LBB6_4017
; %bb.4010:                             ;   in Loop: Header=BB6_3361 Depth=3
	v_mov_b32_e32 v21, 0
	s_mov_b32 s17, exec_lo
	v_cmpx_ne_u32_e32 0, v77
	s_cbranch_execz .LBB6_4016
; %bb.4011:                             ;   in Loop: Header=BB6_3361 Depth=3
	v_bfe_u32 v21, v77, 23, 8
	s_delay_alu instid0(VALU_DEP_1) | instskip(SKIP_1) | instid1(VALU_DEP_2)
	v_sub_nc_u32_e32 v79, 0x78, v21
	v_cmp_gt_u32_e32 vcc_lo, 0x79, v21
	v_dual_cndmask_b32 v79, 0, v79 :: v_dual_and_b32 v78, 0x7fffff, v77
	s_delay_alu instid0(VALU_DEP_1) | instskip(SKIP_2) | instid1(VALU_DEP_4)
	v_or_b32_e32 v88, 0x800000, v78
	v_cmp_eq_u32_e32 vcc_lo, 0, v21
	v_add_nc_u32_e32 v21, 0xffffff89, v21
	v_cndmask_b32_e64 v79, v79, 0x77, vcc_lo
	s_delay_alu instid0(VALU_DEP_4) | instskip(NEXT) | instid1(VALU_DEP_3)
	v_cndmask_b32_e32 v78, v88, v78, vcc_lo
	v_cndmask_b32_e64 v21, v21, 0xffffff8a, vcc_lo
	s_delay_alu instid0(VALU_DEP_3) | instskip(NEXT) | instid1(VALU_DEP_3)
	v_lshl_add_u32 v88, 0x100000, v79, -1
	v_lshrrev_b32_e32 v89, v79, v78
	v_lshlrev_b32_e64 v91, v79, 0x80000
	s_delay_alu instid0(VALU_DEP_4) | instskip(NEXT) | instid1(VALU_DEP_4)
	v_add_nc_u32_e32 v79, v79, v21
	v_and_b32_e32 v78, v88, v78
	s_delay_alu instid0(VALU_DEP_4) | instskip(NEXT) | instid1(VALU_DEP_2)
	v_bfe_u32 v90, v89, 20, 1
	v_cmp_eq_u32_e64 s13, v78, v91
	s_delay_alu instid0(VALU_DEP_2) | instskip(NEXT) | instid1(VALU_DEP_1)
	v_add_nc_u32_e32 v88, -1, v90
	v_cndmask_b32_e64 v78, 0, v88, s13
	v_lshrrev_b32_e32 v88, 23, v89
	s_mov_b32 s13, exec_lo
	s_delay_alu instid0(VALU_DEP_2) | instskip(NEXT) | instid1(VALU_DEP_2)
	v_add_nc_u32_e32 v78, v78, v89
	v_xor_b32_e32 v88, 1, v88
	s_delay_alu instid0(VALU_DEP_2) | instskip(NEXT) | instid1(VALU_DEP_1)
	v_and_b32_e32 v21, 0xfffff, v78
	v_add_nc_u32_e32 v78, v21, v89
                                        ; implicit-def: $vgpr21
	s_delay_alu instid0(VALU_DEP_3)
	v_cmpx_ne_u32_e64 v79, v88
	s_xor_b32 s13, exec_lo, s13
; %bb.4012:                             ;   in Loop: Header=BB6_3361 Depth=3
	s_delay_alu instid0(VALU_DEP_2) | instskip(SKIP_2) | instid1(VALU_DEP_2)
	v_cmp_lt_u32_e32 vcc_lo, 0xffffff, v78
	v_sub_nc_u32_e32 v21, v79, v88
	v_cndmask_b32_e64 v79, 0, 1, vcc_lo
	v_add_co_ci_u32_e32 v21, vcc_lo, 0, v21, vcc_lo
	s_delay_alu instid0(VALU_DEP_2)
	v_lshrrev_b32_e32 v78, v79, v78
; %bb.4013:                             ;   in Loop: Header=BB6_3361 Depth=3
	s_and_not1_saveexec_b32 s13, s13
; %bb.4014:                             ;   in Loop: Header=BB6_3361 Depth=3
	s_delay_alu instid0(VALU_DEP_1)
	v_bfe_u32 v21, v78, 23, 1
; %bb.4015:                             ;   in Loop: Header=BB6_3361 Depth=3
	s_or_b32 exec_lo, exec_lo, s13
	v_lshrrev_b32_e32 v78, 20, v78
	s_delay_alu instid0(VALU_DEP_2) | instskip(SKIP_2) | instid1(VALU_DEP_2)
	v_cmp_gt_i32_e32 vcc_lo, 16, v21
	v_lshrrev_b32_e32 v77, 24, v77
	v_min_i32_e32 v79, 15, v21
	v_dual_cndmask_b32 v78, 7, v78 :: v_dual_and_b32 v77, 0x80, v77
	s_delay_alu instid0(VALU_DEP_2) | instskip(NEXT) | instid1(VALU_DEP_2)
	v_lshlrev_b32_e32 v79, 3, v79
	v_or_b32_e32 v21, v21, v78
	s_delay_alu instid0(VALU_DEP_1) | instskip(SKIP_1) | instid1(VALU_DEP_1)
	v_cmp_ne_u32_e32 vcc_lo, 0, v21
	v_and_b32_e32 v88, 7, v78
	v_or3_b32 v77, v79, v77, v88
	s_delay_alu instid0(VALU_DEP_1)
	v_cndmask_b32_e32 v21, 0, v77, vcc_lo
.LBB6_4016:                             ;   in Loop: Header=BB6_3361 Depth=3
	s_or_b32 exec_lo, exec_lo, s17
.LBB6_4017:                             ;   in Loop: Header=BB6_3361 Depth=3
	s_delay_alu instid0(SALU_CYCLE_1) | instskip(SKIP_3) | instid1(VALU_DEP_1)
	s_or_b32 exec_lo, exec_lo, s16
	v_lshrrev_b16 v78, 8, v22
	s_mov_b32 s13, 0
	s_mov_b32 s17, exec_lo
                                        ; implicit-def: $sgpr16
	v_cmpx_lt_i16_e32 0x7f, v78
	s_xor_b32 s17, exec_lo, s17
	s_cbranch_execnz .LBB6_4711
; %bb.4018:                             ;   in Loop: Header=BB6_3361 Depth=3
	s_or_saveexec_b32 s17, s17
	v_mov_b32_e32 v77, s16
	s_xor_b32 exec_lo, exec_lo, s17
	s_cbranch_execnz .LBB6_4714
.LBB6_4019:                             ;   in Loop: Header=BB6_3361 Depth=3
	s_or_b32 exec_lo, exec_lo, s17
	s_and_saveexec_b32 s16, s13
	s_cbranch_execz .LBB6_4021
.LBB6_4020:                             ;   in Loop: Header=BB6_3361 Depth=3
	v_and_b32_e32 v77, 0xffff, v78
	s_delay_alu instid0(VALU_DEP_1) | instskip(NEXT) | instid1(VALU_DEP_1)
	v_and_b32_e32 v79, 7, v77
	v_clz_i32_u32_e32 v88, v79
	s_delay_alu instid0(VALU_DEP_1) | instskip(NEXT) | instid1(VALU_DEP_1)
	v_min_u32_e32 v88, 32, v88
	v_subrev_nc_u32_e32 v89, 28, v88
	v_sub_nc_u32_e32 v88, 29, v88
	s_delay_alu instid0(VALU_DEP_2) | instskip(SKIP_1) | instid1(VALU_DEP_2)
	v_lshlrev_b32_e32 v89, v89, v77
	v_bfe_u32 v77, v77, 3, 4
	v_and_b32_e32 v89, 7, v89
	s_delay_alu instid0(VALU_DEP_2) | instskip(SKIP_1) | instid1(VALU_DEP_1)
	v_cmp_eq_u32_e32 vcc_lo, 0, v77
	v_dual_cndmask_b32 v77, v77, v88 :: v_dual_lshlrev_b32 v78, 24, v78
	v_dual_cndmask_b32 v79, v79, v89 :: v_dual_and_b32 v78, 0x80000000, v78
	s_delay_alu instid0(VALU_DEP_2) | instskip(NEXT) | instid1(VALU_DEP_2)
	v_lshl_add_u32 v77, v77, 23, 0x3b800000
	v_lshlrev_b32_e32 v79, 20, v79
	s_delay_alu instid0(VALU_DEP_1)
	v_or3_b32 v77, v78, v77, v79
.LBB6_4021:                             ;   in Loop: Header=BB6_3361 Depth=3
	s_or_b32 exec_lo, exec_lo, s16
	v_lshrrev_b16 v78, 8, v18
	s_mov_b32 s13, 0
	s_mov_b32 s17, exec_lo
                                        ; implicit-def: $sgpr16
	s_delay_alu instid0(VALU_DEP_1)
	v_cmpx_lt_i16_e32 0x7f, v78
	s_xor_b32 s17, exec_lo, s17
	s_cbranch_execnz .LBB6_4715
; %bb.4022:                             ;   in Loop: Header=BB6_3361 Depth=3
	s_or_saveexec_b32 s17, s17
	v_mov_b32_e32 v79, s16
	s_xor_b32 exec_lo, exec_lo, s17
	s_cbranch_execnz .LBB6_4718
.LBB6_4023:                             ;   in Loop: Header=BB6_3361 Depth=3
	s_or_b32 exec_lo, exec_lo, s17
	s_and_saveexec_b32 s16, s13
	s_cbranch_execz .LBB6_4025
.LBB6_4024:                             ;   in Loop: Header=BB6_3361 Depth=3
	v_and_b32_e32 v79, 0xffff, v78
	v_lshlrev_b32_e32 v78, 24, v78
	s_delay_alu instid0(VALU_DEP_2) | instskip(NEXT) | instid1(VALU_DEP_2)
	v_and_b32_e32 v88, 7, v79
	v_and_b32_e32 v78, 0x80000000, v78
	s_delay_alu instid0(VALU_DEP_2) | instskip(NEXT) | instid1(VALU_DEP_1)
	v_clz_i32_u32_e32 v89, v88
	v_min_u32_e32 v89, 32, v89
	s_delay_alu instid0(VALU_DEP_1) | instskip(SKIP_1) | instid1(VALU_DEP_2)
	v_subrev_nc_u32_e32 v90, 28, v89
	v_sub_nc_u32_e32 v89, 29, v89
	v_lshlrev_b32_e32 v90, v90, v79
	v_bfe_u32 v79, v79, 3, 4
	s_delay_alu instid0(VALU_DEP_2) | instskip(NEXT) | instid1(VALU_DEP_2)
	v_and_b32_e32 v90, 7, v90
	v_cmp_eq_u32_e32 vcc_lo, 0, v79
	s_delay_alu instid0(VALU_DEP_2) | instskip(NEXT) | instid1(VALU_DEP_1)
	v_dual_cndmask_b32 v79, v79, v89 :: v_dual_cndmask_b32 v88, v88, v90
	v_lshl_add_u32 v79, v79, 23, 0x3b800000
	s_delay_alu instid0(VALU_DEP_2) | instskip(NEXT) | instid1(VALU_DEP_1)
	v_lshlrev_b32_e32 v88, 20, v88
	v_or3_b32 v79, v78, v79, v88
.LBB6_4025:                             ;   in Loop: Header=BB6_3361 Depth=3
	s_or_b32 exec_lo, exec_lo, s16
	s_delay_alu instid0(VALU_DEP_1) | instskip(NEXT) | instid1(VALU_DEP_1)
	v_add_f32_e32 v78, v77, v79
	v_and_b32_e32 v77, 0x7f800000, v78
	s_delay_alu instid0(VALU_DEP_1)
	v_cmp_ne_u32_e32 vcc_lo, 0x7f800000, v77
	v_mov_b32_e32 v77, 0x80
	s_and_saveexec_b32 s16, vcc_lo
	s_cbranch_execz .LBB6_4033
; %bb.4026:                             ;   in Loop: Header=BB6_3361 Depth=3
	v_mov_b32_e32 v77, 0
	s_mov_b32 s17, exec_lo
	v_cmpx_ne_u32_e32 0, v78
	s_cbranch_execz .LBB6_4032
; %bb.4027:                             ;   in Loop: Header=BB6_3361 Depth=3
	v_bfe_u32 v77, v78, 23, 8
	s_delay_alu instid0(VALU_DEP_1) | instskip(SKIP_1) | instid1(VALU_DEP_2)
	v_sub_nc_u32_e32 v88, 0x78, v77
	v_cmp_gt_u32_e32 vcc_lo, 0x79, v77
	v_dual_cndmask_b32 v88, 0, v88 :: v_dual_and_b32 v79, 0x7fffff, v78
	s_delay_alu instid0(VALU_DEP_1) | instskip(SKIP_2) | instid1(VALU_DEP_4)
	v_or_b32_e32 v89, 0x800000, v79
	v_cmp_eq_u32_e32 vcc_lo, 0, v77
	v_add_nc_u32_e32 v77, 0xffffff89, v77
	v_cndmask_b32_e64 v88, v88, 0x77, vcc_lo
	s_delay_alu instid0(VALU_DEP_2) | instskip(SKIP_1) | instid1(VALU_DEP_3)
	v_cndmask_b32_e64 v77, v77, 0xffffff8a, vcc_lo
	v_cndmask_b32_e32 v79, v89, v79, vcc_lo
	v_lshl_add_u32 v89, 0x100000, v88, -1
	v_lshlrev_b32_e64 v92, v88, 0x80000
	s_delay_alu instid0(VALU_DEP_3) | instskip(SKIP_1) | instid1(VALU_DEP_4)
	v_lshrrev_b32_e32 v90, v88, v79
	v_add_nc_u32_e32 v88, v88, v77
	v_and_b32_e32 v79, v89, v79
	s_delay_alu instid0(VALU_DEP_3) | instskip(NEXT) | instid1(VALU_DEP_2)
	v_bfe_u32 v91, v90, 20, 1
	v_cmp_eq_u32_e64 s13, v79, v92
	s_delay_alu instid0(VALU_DEP_2) | instskip(NEXT) | instid1(VALU_DEP_1)
	v_add_nc_u32_e32 v89, -1, v91
	v_cndmask_b32_e64 v79, 0, v89, s13
	v_lshrrev_b32_e32 v89, 23, v90
	s_mov_b32 s13, exec_lo
	s_delay_alu instid0(VALU_DEP_2) | instskip(NEXT) | instid1(VALU_DEP_2)
	v_add_nc_u32_e32 v79, v79, v90
	v_xor_b32_e32 v89, 1, v89
	s_delay_alu instid0(VALU_DEP_2) | instskip(NEXT) | instid1(VALU_DEP_1)
	v_and_b32_e32 v77, 0xfffff, v79
	v_add_nc_u32_e32 v79, v77, v90
                                        ; implicit-def: $vgpr77
	s_delay_alu instid0(VALU_DEP_3)
	v_cmpx_ne_u32_e64 v88, v89
	s_xor_b32 s13, exec_lo, s13
; %bb.4028:                             ;   in Loop: Header=BB6_3361 Depth=3
	s_delay_alu instid0(VALU_DEP_2) | instskip(SKIP_2) | instid1(VALU_DEP_2)
	v_cmp_lt_u32_e32 vcc_lo, 0xffffff, v79
	v_sub_nc_u32_e32 v77, v88, v89
	v_cndmask_b32_e64 v88, 0, 1, vcc_lo
	v_add_co_ci_u32_e32 v77, vcc_lo, 0, v77, vcc_lo
	s_delay_alu instid0(VALU_DEP_2)
	v_lshrrev_b32_e32 v79, v88, v79
; %bb.4029:                             ;   in Loop: Header=BB6_3361 Depth=3
	s_and_not1_saveexec_b32 s13, s13
; %bb.4030:                             ;   in Loop: Header=BB6_3361 Depth=3
	s_delay_alu instid0(VALU_DEP_1)
	v_bfe_u32 v77, v79, 23, 1
; %bb.4031:                             ;   in Loop: Header=BB6_3361 Depth=3
	s_or_b32 exec_lo, exec_lo, s13
	v_lshrrev_b32_e32 v79, 20, v79
	s_delay_alu instid0(VALU_DEP_2) | instskip(SKIP_2) | instid1(VALU_DEP_2)
	v_cmp_gt_i32_e32 vcc_lo, 16, v77
	v_lshrrev_b32_e32 v78, 24, v78
	v_min_i32_e32 v88, 15, v77
	v_dual_cndmask_b32 v79, 7, v79 :: v_dual_and_b32 v78, 0x80, v78
	s_delay_alu instid0(VALU_DEP_1) | instskip(SKIP_1) | instid1(VALU_DEP_2)
	v_or_b32_e32 v77, v77, v79
	v_and_b32_e32 v89, 7, v79
	v_cmp_ne_u32_e32 vcc_lo, 0, v77
	v_lshlrev_b32_e32 v88, 3, v88
	s_delay_alu instid0(VALU_DEP_1) | instskip(NEXT) | instid1(VALU_DEP_1)
	v_or3_b32 v78, v88, v78, v89
	v_cndmask_b32_e32 v77, 0, v78, vcc_lo
.LBB6_4032:                             ;   in Loop: Header=BB6_3361 Depth=3
	s_or_b32 exec_lo, exec_lo, s17
.LBB6_4033:                             ;   in Loop: Header=BB6_3361 Depth=3
	s_delay_alu instid0(SALU_CYCLE_1) | instskip(SKIP_3) | instid1(VALU_DEP_1)
	s_or_b32 exec_lo, exec_lo, s16
	v_lshrrev_b32_e32 v79, 16, v22
	s_mov_b32 s13, 0
	s_mov_b32 s17, exec_lo
                                        ; implicit-def: $sgpr16
	v_and_b32_e32 v88, 0xff, v79
	s_delay_alu instid0(VALU_DEP_1)
	v_cmpx_lt_i16_e32 0x7f, v88
	s_xor_b32 s17, exec_lo, s17
	s_cbranch_execnz .LBB6_4719
; %bb.4034:                             ;   in Loop: Header=BB6_3361 Depth=3
	s_or_saveexec_b32 s17, s17
	v_mov_b32_e32 v78, s16
	s_xor_b32 exec_lo, exec_lo, s17
	s_cbranch_execnz .LBB6_4722
.LBB6_4035:                             ;   in Loop: Header=BB6_3361 Depth=3
	s_or_b32 exec_lo, exec_lo, s17
	s_and_saveexec_b32 s16, s13
	s_cbranch_execz .LBB6_4037
.LBB6_4036:                             ;   in Loop: Header=BB6_3361 Depth=3
	v_bfe_u32 v78, v22, 16, 3
	v_lshlrev_b32_e32 v90, 8, v22
	s_delay_alu instid0(VALU_DEP_2) | instskip(NEXT) | instid1(VALU_DEP_1)
	v_clz_i32_u32_e32 v88, v78
	v_min_u32_e32 v88, 32, v88
	s_delay_alu instid0(VALU_DEP_1) | instskip(SKIP_1) | instid1(VALU_DEP_2)
	v_subrev_nc_u32_e32 v89, 28, v88
	v_sub_nc_u32_e32 v88, 29, v88
	v_lshlrev_b32_e32 v79, v89, v79
	v_bfe_u32 v89, v22, 19, 4
	s_delay_alu instid0(VALU_DEP_1) | instskip(NEXT) | instid1(VALU_DEP_3)
	v_cmp_eq_u32_e32 vcc_lo, 0, v89
	v_dual_cndmask_b32 v88, v89, v88 :: v_dual_and_b32 v79, 7, v79
	s_delay_alu instid0(VALU_DEP_1) | instskip(NEXT) | instid1(VALU_DEP_2)
	v_dual_cndmask_b32 v78, v78, v79 :: v_dual_and_b32 v79, 0x80000000, v90
	v_lshl_add_u32 v88, v88, 23, 0x3b800000
	s_delay_alu instid0(VALU_DEP_2) | instskip(NEXT) | instid1(VALU_DEP_1)
	v_lshlrev_b32_e32 v78, 20, v78
	v_or3_b32 v78, v79, v88, v78
.LBB6_4037:                             ;   in Loop: Header=BB6_3361 Depth=3
	s_or_b32 exec_lo, exec_lo, s16
	v_lshrrev_b32_e32 v79, 16, v18
	s_mov_b32 s13, 0
	s_mov_b32 s17, exec_lo
                                        ; implicit-def: $sgpr16
	s_delay_alu instid0(VALU_DEP_1) | instskip(NEXT) | instid1(VALU_DEP_1)
	v_and_b32_e32 v89, 0xff, v79
	v_cmpx_lt_i16_e32 0x7f, v89
	s_xor_b32 s17, exec_lo, s17
	s_cbranch_execnz .LBB6_4723
; %bb.4038:                             ;   in Loop: Header=BB6_3361 Depth=3
	s_or_saveexec_b32 s17, s17
	v_mov_b32_e32 v88, s16
	s_xor_b32 exec_lo, exec_lo, s17
	s_cbranch_execnz .LBB6_4726
.LBB6_4039:                             ;   in Loop: Header=BB6_3361 Depth=3
	s_or_b32 exec_lo, exec_lo, s17
	s_and_saveexec_b32 s16, s13
	s_cbranch_execz .LBB6_4041
.LBB6_4040:                             ;   in Loop: Header=BB6_3361 Depth=3
	v_bfe_u32 v88, v18, 16, 3
	v_lshlrev_b32_e32 v91, 8, v18
	s_delay_alu instid0(VALU_DEP_2) | instskip(NEXT) | instid1(VALU_DEP_1)
	v_clz_i32_u32_e32 v89, v88
	v_min_u32_e32 v89, 32, v89
	s_delay_alu instid0(VALU_DEP_1) | instskip(SKIP_1) | instid1(VALU_DEP_2)
	v_subrev_nc_u32_e32 v90, 28, v89
	v_sub_nc_u32_e32 v89, 29, v89
	v_lshlrev_b32_e32 v79, v90, v79
	v_bfe_u32 v90, v18, 19, 4
	s_delay_alu instid0(VALU_DEP_2) | instskip(NEXT) | instid1(VALU_DEP_2)
	v_and_b32_e32 v79, 7, v79
	v_cmp_eq_u32_e32 vcc_lo, 0, v90
	v_cndmask_b32_e32 v89, v90, v89, vcc_lo
	s_delay_alu instid0(VALU_DEP_3) | instskip(SKIP_1) | instid1(VALU_DEP_3)
	v_cndmask_b32_e32 v79, v88, v79, vcc_lo
	v_and_b32_e32 v88, 0x80000000, v91
	v_lshl_add_u32 v89, v89, 23, 0x3b800000
	s_delay_alu instid0(VALU_DEP_3) | instskip(NEXT) | instid1(VALU_DEP_1)
	v_lshlrev_b32_e32 v79, 20, v79
	v_or3_b32 v88, v88, v89, v79
.LBB6_4041:                             ;   in Loop: Header=BB6_3361 Depth=3
	s_or_b32 exec_lo, exec_lo, s16
	s_delay_alu instid0(VALU_DEP_1) | instskip(NEXT) | instid1(VALU_DEP_1)
	v_add_f32_e32 v79, v78, v88
	v_and_b32_e32 v78, 0x7f800000, v79
	s_delay_alu instid0(VALU_DEP_1)
	v_cmp_ne_u32_e32 vcc_lo, 0x7f800000, v78
	v_mov_b32_e32 v78, 0x80
	s_and_saveexec_b32 s16, vcc_lo
	s_cbranch_execz .LBB6_4049
; %bb.4042:                             ;   in Loop: Header=BB6_3361 Depth=3
	v_mov_b32_e32 v78, 0
	s_mov_b32 s17, exec_lo
	v_cmpx_ne_u32_e32 0, v79
	s_cbranch_execz .LBB6_4048
; %bb.4043:                             ;   in Loop: Header=BB6_3361 Depth=3
	v_bfe_u32 v78, v79, 23, 8
	s_delay_alu instid0(VALU_DEP_1) | instskip(SKIP_1) | instid1(VALU_DEP_2)
	v_sub_nc_u32_e32 v89, 0x78, v78
	v_cmp_gt_u32_e32 vcc_lo, 0x79, v78
	v_dual_cndmask_b32 v89, 0, v89 :: v_dual_and_b32 v88, 0x7fffff, v79
	s_delay_alu instid0(VALU_DEP_1) | instskip(SKIP_2) | instid1(VALU_DEP_4)
	v_or_b32_e32 v90, 0x800000, v88
	v_cmp_eq_u32_e32 vcc_lo, 0, v78
	v_add_nc_u32_e32 v78, 0xffffff89, v78
	v_cndmask_b32_e64 v89, v89, 0x77, vcc_lo
	s_delay_alu instid0(VALU_DEP_2) | instskip(SKIP_1) | instid1(VALU_DEP_3)
	v_cndmask_b32_e64 v78, v78, 0xffffff8a, vcc_lo
	v_cndmask_b32_e32 v88, v90, v88, vcc_lo
	v_lshl_add_u32 v90, 0x100000, v89, -1
	v_lshlrev_b32_e64 v93, v89, 0x80000
	s_delay_alu instid0(VALU_DEP_3) | instskip(SKIP_1) | instid1(VALU_DEP_4)
	v_lshrrev_b32_e32 v91, v89, v88
	v_add_nc_u32_e32 v89, v89, v78
	v_and_b32_e32 v88, v90, v88
	s_delay_alu instid0(VALU_DEP_3) | instskip(NEXT) | instid1(VALU_DEP_2)
	v_bfe_u32 v92, v91, 20, 1
	v_cmp_eq_u32_e64 s13, v88, v93
	s_delay_alu instid0(VALU_DEP_2) | instskip(NEXT) | instid1(VALU_DEP_1)
	v_add_nc_u32_e32 v90, -1, v92
	v_cndmask_b32_e64 v88, 0, v90, s13
	v_lshrrev_b32_e32 v90, 23, v91
	s_mov_b32 s13, exec_lo
	s_delay_alu instid0(VALU_DEP_2) | instskip(NEXT) | instid1(VALU_DEP_2)
	v_add_nc_u32_e32 v88, v88, v91
	v_xor_b32_e32 v90, 1, v90
	s_delay_alu instid0(VALU_DEP_2) | instskip(NEXT) | instid1(VALU_DEP_1)
	v_and_b32_e32 v78, 0xfffff, v88
	v_add_nc_u32_e32 v88, v78, v91
                                        ; implicit-def: $vgpr78
	s_delay_alu instid0(VALU_DEP_3)
	v_cmpx_ne_u32_e64 v89, v90
	s_xor_b32 s13, exec_lo, s13
; %bb.4044:                             ;   in Loop: Header=BB6_3361 Depth=3
	s_delay_alu instid0(VALU_DEP_2) | instskip(SKIP_2) | instid1(VALU_DEP_2)
	v_cmp_lt_u32_e32 vcc_lo, 0xffffff, v88
	v_sub_nc_u32_e32 v78, v89, v90
	v_cndmask_b32_e64 v89, 0, 1, vcc_lo
	v_add_co_ci_u32_e32 v78, vcc_lo, 0, v78, vcc_lo
	s_delay_alu instid0(VALU_DEP_2)
	v_lshrrev_b32_e32 v88, v89, v88
; %bb.4045:                             ;   in Loop: Header=BB6_3361 Depth=3
	s_and_not1_saveexec_b32 s13, s13
; %bb.4046:                             ;   in Loop: Header=BB6_3361 Depth=3
	s_delay_alu instid0(VALU_DEP_1)
	v_bfe_u32 v78, v88, 23, 1
; %bb.4047:                             ;   in Loop: Header=BB6_3361 Depth=3
	s_or_b32 exec_lo, exec_lo, s13
	v_lshrrev_b32_e32 v88, 20, v88
	s_delay_alu instid0(VALU_DEP_2) | instskip(SKIP_2) | instid1(VALU_DEP_2)
	v_cmp_gt_i32_e32 vcc_lo, 16, v78
	v_lshrrev_b32_e32 v79, 24, v79
	v_min_i32_e32 v89, 15, v78
	v_dual_cndmask_b32 v88, 7, v88 :: v_dual_and_b32 v79, 0x80, v79
	s_delay_alu instid0(VALU_DEP_1) | instskip(SKIP_1) | instid1(VALU_DEP_2)
	v_or_b32_e32 v78, v78, v88
	v_and_b32_e32 v90, 7, v88
	v_cmp_ne_u32_e32 vcc_lo, 0, v78
	v_lshlrev_b32_e32 v89, 3, v89
	s_delay_alu instid0(VALU_DEP_1) | instskip(NEXT) | instid1(VALU_DEP_1)
	v_or3_b32 v79, v89, v79, v90
	v_cndmask_b32_e32 v78, 0, v79, vcc_lo
.LBB6_4048:                             ;   in Loop: Header=BB6_3361 Depth=3
	s_or_b32 exec_lo, exec_lo, s17
.LBB6_4049:                             ;   in Loop: Header=BB6_3361 Depth=3
	s_delay_alu instid0(SALU_CYCLE_1) | instskip(SKIP_3) | instid1(VALU_DEP_1)
	s_or_b32 exec_lo, exec_lo, s16
	v_lshrrev_b32_e32 v88, 24, v22
	s_mov_b32 s13, 0
	s_mov_b32 s17, exec_lo
                                        ; implicit-def: $sgpr16
	v_cmpx_lt_i16_e32 0x7f, v88
	s_xor_b32 s17, exec_lo, s17
	s_cbranch_execnz .LBB6_4727
; %bb.4050:                             ;   in Loop: Header=BB6_3361 Depth=3
	s_or_saveexec_b32 s17, s17
	v_mov_b32_e32 v79, s16
	s_xor_b32 exec_lo, exec_lo, s17
	s_cbranch_execnz .LBB6_4730
.LBB6_4051:                             ;   in Loop: Header=BB6_3361 Depth=3
	s_or_b32 exec_lo, exec_lo, s17
	s_and_saveexec_b32 s16, s13
	s_cbranch_execz .LBB6_4053
.LBB6_4052:                             ;   in Loop: Header=BB6_3361 Depth=3
	v_bfe_u32 v79, v22, 24, 3
	s_delay_alu instid0(VALU_DEP_1) | instskip(NEXT) | instid1(VALU_DEP_1)
	v_clz_i32_u32_e32 v89, v79
	v_min_u32_e32 v89, 32, v89
	s_delay_alu instid0(VALU_DEP_1) | instskip(SKIP_1) | instid1(VALU_DEP_2)
	v_subrev_nc_u32_e32 v90, 28, v89
	v_sub_nc_u32_e32 v89, 29, v89
	v_lshlrev_b32_e32 v88, v90, v88
	v_bfe_u32 v90, v22, 27, 4
	v_and_b32_e32 v22, 0x80000000, v22
	s_delay_alu instid0(VALU_DEP_2) | instskip(NEXT) | instid1(VALU_DEP_4)
	v_cmp_eq_u32_e32 vcc_lo, 0, v90
	v_dual_cndmask_b32 v89, v90, v89 :: v_dual_and_b32 v88, 7, v88
	s_delay_alu instid0(VALU_DEP_1) | instskip(NEXT) | instid1(VALU_DEP_2)
	v_cndmask_b32_e32 v79, v79, v88, vcc_lo
	v_lshl_add_u32 v88, v89, 23, 0x3b800000
	s_delay_alu instid0(VALU_DEP_2) | instskip(NEXT) | instid1(VALU_DEP_1)
	v_lshlrev_b32_e32 v79, 20, v79
	v_or3_b32 v79, v22, v88, v79
.LBB6_4053:                             ;   in Loop: Header=BB6_3361 Depth=3
	s_or_b32 exec_lo, exec_lo, s16
	v_lshrrev_b32_e32 v22, 24, v18
	s_mov_b32 s13, 0
	s_mov_b32 s17, exec_lo
                                        ; implicit-def: $sgpr16
	s_delay_alu instid0(VALU_DEP_1)
	v_cmpx_lt_i16_e32 0x7f, v22
	s_xor_b32 s17, exec_lo, s17
	s_cbranch_execnz .LBB6_4731
; %bb.4054:                             ;   in Loop: Header=BB6_3361 Depth=3
	s_or_saveexec_b32 s17, s17
	v_mov_b32_e32 v88, s16
	s_xor_b32 exec_lo, exec_lo, s17
	s_cbranch_execnz .LBB6_4734
.LBB6_4055:                             ;   in Loop: Header=BB6_3361 Depth=3
	s_or_b32 exec_lo, exec_lo, s17
	s_and_saveexec_b32 s16, s13
	s_cbranch_execz .LBB6_4057
.LBB6_4056:                             ;   in Loop: Header=BB6_3361 Depth=3
	v_bfe_u32 v88, v18, 24, 3
	s_delay_alu instid0(VALU_DEP_1) | instskip(NEXT) | instid1(VALU_DEP_1)
	v_clz_i32_u32_e32 v89, v88
	v_min_u32_e32 v89, 32, v89
	s_delay_alu instid0(VALU_DEP_1) | instskip(SKIP_1) | instid1(VALU_DEP_2)
	v_subrev_nc_u32_e32 v90, 28, v89
	v_sub_nc_u32_e32 v89, 29, v89
	v_lshlrev_b32_e32 v22, v90, v22
	v_bfe_u32 v90, v18, 27, 4
	v_and_b32_e32 v18, 0x80000000, v18
	s_delay_alu instid0(VALU_DEP_2) | instskip(NEXT) | instid1(VALU_DEP_4)
	v_cmp_eq_u32_e32 vcc_lo, 0, v90
	v_dual_cndmask_b32 v89, v90, v89 :: v_dual_and_b32 v22, 7, v22
	s_delay_alu instid0(VALU_DEP_1) | instskip(NEXT) | instid1(VALU_DEP_2)
	v_cndmask_b32_e32 v22, v88, v22, vcc_lo
	v_lshl_add_u32 v88, v89, 23, 0x3b800000
	s_delay_alu instid0(VALU_DEP_2) | instskip(NEXT) | instid1(VALU_DEP_1)
	v_lshlrev_b32_e32 v22, 20, v22
	v_or3_b32 v88, v18, v88, v22
.LBB6_4057:                             ;   in Loop: Header=BB6_3361 Depth=3
	s_or_b32 exec_lo, exec_lo, s16
	s_delay_alu instid0(VALU_DEP_1) | instskip(NEXT) | instid1(VALU_DEP_1)
	v_add_f32_e32 v22, v79, v88
	v_and_b32_e32 v18, 0x7f800000, v22
	s_delay_alu instid0(VALU_DEP_1)
	v_cmp_ne_u32_e32 vcc_lo, 0x7f800000, v18
	v_mov_b32_e32 v18, 0x80
	s_and_saveexec_b32 s16, vcc_lo
	s_cbranch_execz .LBB6_4065
; %bb.4058:                             ;   in Loop: Header=BB6_3361 Depth=3
	v_mov_b32_e32 v18, 0
	s_mov_b32 s17, exec_lo
	v_cmpx_ne_u32_e32 0, v22
	s_cbranch_execz .LBB6_4064
; %bb.4059:                             ;   in Loop: Header=BB6_3361 Depth=3
	v_bfe_u32 v18, v22, 23, 8
	s_delay_alu instid0(VALU_DEP_1) | instskip(SKIP_1) | instid1(VALU_DEP_2)
	v_sub_nc_u32_e32 v88, 0x78, v18
	v_cmp_gt_u32_e32 vcc_lo, 0x79, v18
	v_dual_cndmask_b32 v88, 0, v88 :: v_dual_and_b32 v79, 0x7fffff, v22
	s_delay_alu instid0(VALU_DEP_1) | instskip(SKIP_2) | instid1(VALU_DEP_4)
	v_or_b32_e32 v89, 0x800000, v79
	v_cmp_eq_u32_e32 vcc_lo, 0, v18
	v_add_nc_u32_e32 v18, 0xffffff89, v18
	v_cndmask_b32_e64 v88, v88, 0x77, vcc_lo
	s_delay_alu instid0(VALU_DEP_4) | instskip(NEXT) | instid1(VALU_DEP_3)
	v_cndmask_b32_e32 v79, v89, v79, vcc_lo
	v_cndmask_b32_e64 v18, v18, 0xffffff8a, vcc_lo
	s_delay_alu instid0(VALU_DEP_3) | instskip(NEXT) | instid1(VALU_DEP_3)
	v_lshl_add_u32 v89, 0x100000, v88, -1
	v_lshrrev_b32_e32 v90, v88, v79
	v_lshlrev_b32_e64 v92, v88, 0x80000
	s_delay_alu instid0(VALU_DEP_4) | instskip(NEXT) | instid1(VALU_DEP_4)
	v_add_nc_u32_e32 v88, v88, v18
	v_and_b32_e32 v79, v89, v79
	s_delay_alu instid0(VALU_DEP_4) | instskip(NEXT) | instid1(VALU_DEP_2)
	v_bfe_u32 v91, v90, 20, 1
	v_cmp_eq_u32_e64 s13, v79, v92
	s_delay_alu instid0(VALU_DEP_2) | instskip(NEXT) | instid1(VALU_DEP_1)
	v_add_nc_u32_e32 v89, -1, v91
	v_cndmask_b32_e64 v79, 0, v89, s13
	v_lshrrev_b32_e32 v89, 23, v90
	s_mov_b32 s13, exec_lo
	s_delay_alu instid0(VALU_DEP_2) | instskip(NEXT) | instid1(VALU_DEP_2)
	v_add_nc_u32_e32 v79, v79, v90
	v_xor_b32_e32 v89, 1, v89
	s_delay_alu instid0(VALU_DEP_2) | instskip(NEXT) | instid1(VALU_DEP_1)
	v_and_b32_e32 v18, 0xfffff, v79
	v_add_nc_u32_e32 v79, v18, v90
                                        ; implicit-def: $vgpr18
	s_delay_alu instid0(VALU_DEP_3)
	v_cmpx_ne_u32_e64 v88, v89
	s_xor_b32 s13, exec_lo, s13
; %bb.4060:                             ;   in Loop: Header=BB6_3361 Depth=3
	s_delay_alu instid0(VALU_DEP_2) | instskip(SKIP_2) | instid1(VALU_DEP_2)
	v_cmp_lt_u32_e32 vcc_lo, 0xffffff, v79
	v_sub_nc_u32_e32 v18, v88, v89
	v_cndmask_b32_e64 v88, 0, 1, vcc_lo
	v_add_co_ci_u32_e32 v18, vcc_lo, 0, v18, vcc_lo
	s_delay_alu instid0(VALU_DEP_2)
	v_lshrrev_b32_e32 v79, v88, v79
; %bb.4061:                             ;   in Loop: Header=BB6_3361 Depth=3
	s_and_not1_saveexec_b32 s13, s13
; %bb.4062:                             ;   in Loop: Header=BB6_3361 Depth=3
	s_delay_alu instid0(VALU_DEP_1)
	v_bfe_u32 v18, v79, 23, 1
; %bb.4063:                             ;   in Loop: Header=BB6_3361 Depth=3
	s_or_b32 exec_lo, exec_lo, s13
	v_lshrrev_b32_e32 v79, 20, v79
	s_delay_alu instid0(VALU_DEP_2) | instskip(SKIP_2) | instid1(VALU_DEP_2)
	v_cmp_gt_i32_e32 vcc_lo, 16, v18
	v_lshrrev_b32_e32 v22, 24, v22
	v_min_i32_e32 v88, 15, v18
	v_dual_cndmask_b32 v79, 7, v79 :: v_dual_and_b32 v22, 0x80, v22
	s_delay_alu instid0(VALU_DEP_2) | instskip(NEXT) | instid1(VALU_DEP_2)
	v_lshlrev_b32_e32 v88, 3, v88
	v_or_b32_e32 v18, v18, v79
	s_delay_alu instid0(VALU_DEP_1) | instskip(SKIP_1) | instid1(VALU_DEP_1)
	v_cmp_ne_u32_e32 vcc_lo, 0, v18
	v_and_b32_e32 v89, 7, v79
	v_or3_b32 v22, v88, v22, v89
	s_delay_alu instid0(VALU_DEP_1)
	v_cndmask_b32_e32 v18, 0, v22, vcc_lo
.LBB6_4064:                             ;   in Loop: Header=BB6_3361 Depth=3
	s_or_b32 exec_lo, exec_lo, s17
.LBB6_4065:                             ;   in Loop: Header=BB6_3361 Depth=3
	s_delay_alu instid0(SALU_CYCLE_1) | instskip(SKIP_3) | instid1(VALU_DEP_1)
	s_or_b32 exec_lo, exec_lo, s16
	v_and_b32_e32 v79, 0xff, v23
	s_mov_b32 s13, 0
	s_mov_b32 s17, exec_lo
                                        ; implicit-def: $sgpr16
	v_cmpx_lt_i16_e32 0x7f, v79
	s_xor_b32 s17, exec_lo, s17
	s_cbranch_execnz .LBB6_4735
; %bb.4066:                             ;   in Loop: Header=BB6_3361 Depth=3
	s_or_saveexec_b32 s17, s17
	v_mov_b32_e32 v22, s16
	s_xor_b32 exec_lo, exec_lo, s17
	s_cbranch_execnz .LBB6_4738
.LBB6_4067:                             ;   in Loop: Header=BB6_3361 Depth=3
	s_or_b32 exec_lo, exec_lo, s17
	s_and_saveexec_b32 s16, s13
	s_cbranch_execz .LBB6_4069
.LBB6_4068:                             ;   in Loop: Header=BB6_3361 Depth=3
	v_and_b32_e32 v22, 7, v23
	v_bfe_u32 v89, v23, 3, 4
	v_lshlrev_b32_e32 v90, 24, v23
	s_delay_alu instid0(VALU_DEP_3) | instskip(NEXT) | instid1(VALU_DEP_3)
	v_clz_i32_u32_e32 v79, v22
	v_cmp_eq_u32_e32 vcc_lo, 0, v89
	s_delay_alu instid0(VALU_DEP_2) | instskip(NEXT) | instid1(VALU_DEP_1)
	v_min_u32_e32 v79, 32, v79
	v_subrev_nc_u32_e32 v88, 28, v79
	v_sub_nc_u32_e32 v79, 29, v79
	s_delay_alu instid0(VALU_DEP_2) | instskip(NEXT) | instid1(VALU_DEP_1)
	v_lshlrev_b32_e32 v88, v88, v23
	v_dual_cndmask_b32 v79, v89, v79 :: v_dual_and_b32 v88, 7, v88
	s_delay_alu instid0(VALU_DEP_1) | instskip(NEXT) | instid1(VALU_DEP_2)
	v_lshl_add_u32 v79, v79, 23, 0x3b800000
	v_cndmask_b32_e32 v22, v22, v88, vcc_lo
	v_and_b32_e32 v88, 0x80000000, v90
	s_delay_alu instid0(VALU_DEP_2) | instskip(NEXT) | instid1(VALU_DEP_1)
	v_lshlrev_b32_e32 v22, 20, v22
	v_or3_b32 v22, v88, v79, v22
.LBB6_4069:                             ;   in Loop: Header=BB6_3361 Depth=3
	s_or_b32 exec_lo, exec_lo, s16
	v_and_b32_e32 v88, 0xff, v19
	s_mov_b32 s13, 0
	s_mov_b32 s17, exec_lo
                                        ; implicit-def: $sgpr16
	s_delay_alu instid0(VALU_DEP_1)
	v_cmpx_lt_i16_e32 0x7f, v88
	s_xor_b32 s17, exec_lo, s17
	s_cbranch_execnz .LBB6_4739
; %bb.4070:                             ;   in Loop: Header=BB6_3361 Depth=3
	s_or_saveexec_b32 s17, s17
	v_mov_b32_e32 v79, s16
	s_xor_b32 exec_lo, exec_lo, s17
	s_cbranch_execnz .LBB6_4742
.LBB6_4071:                             ;   in Loop: Header=BB6_3361 Depth=3
	s_or_b32 exec_lo, exec_lo, s17
	s_and_saveexec_b32 s16, s13
	s_cbranch_execz .LBB6_4073
.LBB6_4072:                             ;   in Loop: Header=BB6_3361 Depth=3
	v_bfe_u32 v90, v19, 3, 4
	v_lshlrev_b32_e32 v91, 24, v19
	s_delay_alu instid0(VALU_DEP_2) | instskip(SKIP_1) | instid1(VALU_DEP_1)
	v_cmp_eq_u32_e32 vcc_lo, 0, v90
	v_and_b32_e32 v79, 7, v19
	v_clz_i32_u32_e32 v88, v79
	s_delay_alu instid0(VALU_DEP_1) | instskip(NEXT) | instid1(VALU_DEP_1)
	v_min_u32_e32 v88, 32, v88
	v_subrev_nc_u32_e32 v89, 28, v88
	v_sub_nc_u32_e32 v88, 29, v88
	s_delay_alu instid0(VALU_DEP_1) | instskip(NEXT) | instid1(VALU_DEP_1)
	v_dual_cndmask_b32 v88, v90, v88 :: v_dual_lshlrev_b32 v89, v89, v19
	v_and_b32_e32 v89, 7, v89
	s_delay_alu instid0(VALU_DEP_2) | instskip(NEXT) | instid1(VALU_DEP_2)
	v_lshl_add_u32 v88, v88, 23, 0x3b800000
	v_cndmask_b32_e32 v79, v79, v89, vcc_lo
	v_and_b32_e32 v89, 0x80000000, v91
	s_delay_alu instid0(VALU_DEP_2) | instskip(NEXT) | instid1(VALU_DEP_1)
	v_lshlrev_b32_e32 v79, 20, v79
	v_or3_b32 v79, v89, v88, v79
.LBB6_4073:                             ;   in Loop: Header=BB6_3361 Depth=3
	s_or_b32 exec_lo, exec_lo, s16
	s_delay_alu instid0(VALU_DEP_1) | instskip(NEXT) | instid1(VALU_DEP_1)
	v_add_f32_e32 v79, v22, v79
	v_and_b32_e32 v22, 0x7f800000, v79
	s_delay_alu instid0(VALU_DEP_1)
	v_cmp_ne_u32_e32 vcc_lo, 0x7f800000, v22
	v_mov_b32_e32 v22, 0x80
	s_and_saveexec_b32 s16, vcc_lo
	s_cbranch_execz .LBB6_4081
; %bb.4074:                             ;   in Loop: Header=BB6_3361 Depth=3
	v_mov_b32_e32 v22, 0
	s_mov_b32 s17, exec_lo
	v_cmpx_ne_u32_e32 0, v79
	s_cbranch_execz .LBB6_4080
; %bb.4075:                             ;   in Loop: Header=BB6_3361 Depth=3
	v_bfe_u32 v22, v79, 23, 8
	s_delay_alu instid0(VALU_DEP_1) | instskip(SKIP_1) | instid1(VALU_DEP_2)
	v_sub_nc_u32_e32 v89, 0x78, v22
	v_cmp_gt_u32_e32 vcc_lo, 0x79, v22
	v_dual_cndmask_b32 v89, 0, v89 :: v_dual_and_b32 v88, 0x7fffff, v79
	s_delay_alu instid0(VALU_DEP_1) | instskip(SKIP_2) | instid1(VALU_DEP_4)
	v_or_b32_e32 v90, 0x800000, v88
	v_cmp_eq_u32_e32 vcc_lo, 0, v22
	v_add_nc_u32_e32 v22, 0xffffff89, v22
	v_cndmask_b32_e64 v89, v89, 0x77, vcc_lo
	s_delay_alu instid0(VALU_DEP_2) | instskip(SKIP_1) | instid1(VALU_DEP_3)
	v_cndmask_b32_e64 v22, v22, 0xffffff8a, vcc_lo
	v_cndmask_b32_e32 v88, v90, v88, vcc_lo
	v_lshl_add_u32 v90, 0x100000, v89, -1
	v_lshlrev_b32_e64 v93, v89, 0x80000
	s_delay_alu instid0(VALU_DEP_3) | instskip(SKIP_1) | instid1(VALU_DEP_4)
	v_lshrrev_b32_e32 v91, v89, v88
	v_add_nc_u32_e32 v89, v89, v22
	v_and_b32_e32 v88, v90, v88
	s_delay_alu instid0(VALU_DEP_3) | instskip(NEXT) | instid1(VALU_DEP_2)
	v_bfe_u32 v92, v91, 20, 1
	v_cmp_eq_u32_e64 s13, v88, v93
	s_delay_alu instid0(VALU_DEP_2) | instskip(NEXT) | instid1(VALU_DEP_1)
	v_add_nc_u32_e32 v90, -1, v92
	v_cndmask_b32_e64 v88, 0, v90, s13
	v_lshrrev_b32_e32 v90, 23, v91
	s_mov_b32 s13, exec_lo
	s_delay_alu instid0(VALU_DEP_2) | instskip(NEXT) | instid1(VALU_DEP_2)
	v_add_nc_u32_e32 v88, v88, v91
	v_xor_b32_e32 v90, 1, v90
	s_delay_alu instid0(VALU_DEP_2) | instskip(NEXT) | instid1(VALU_DEP_1)
	v_and_b32_e32 v22, 0xfffff, v88
	v_add_nc_u32_e32 v88, v22, v91
                                        ; implicit-def: $vgpr22
	s_delay_alu instid0(VALU_DEP_3)
	v_cmpx_ne_u32_e64 v89, v90
	s_xor_b32 s13, exec_lo, s13
; %bb.4076:                             ;   in Loop: Header=BB6_3361 Depth=3
	s_delay_alu instid0(VALU_DEP_2) | instskip(SKIP_2) | instid1(VALU_DEP_2)
	v_cmp_lt_u32_e32 vcc_lo, 0xffffff, v88
	v_sub_nc_u32_e32 v22, v89, v90
	v_cndmask_b32_e64 v89, 0, 1, vcc_lo
	v_add_co_ci_u32_e32 v22, vcc_lo, 0, v22, vcc_lo
	s_delay_alu instid0(VALU_DEP_2)
	v_lshrrev_b32_e32 v88, v89, v88
; %bb.4077:                             ;   in Loop: Header=BB6_3361 Depth=3
	s_and_not1_saveexec_b32 s13, s13
; %bb.4078:                             ;   in Loop: Header=BB6_3361 Depth=3
	s_delay_alu instid0(VALU_DEP_1)
	v_bfe_u32 v22, v88, 23, 1
; %bb.4079:                             ;   in Loop: Header=BB6_3361 Depth=3
	s_or_b32 exec_lo, exec_lo, s13
	v_lshrrev_b32_e32 v88, 20, v88
	s_delay_alu instid0(VALU_DEP_2) | instskip(SKIP_2) | instid1(VALU_DEP_2)
	v_cmp_gt_i32_e32 vcc_lo, 16, v22
	v_lshrrev_b32_e32 v79, 24, v79
	v_min_i32_e32 v89, 15, v22
	v_dual_cndmask_b32 v88, 7, v88 :: v_dual_and_b32 v79, 0x80, v79
	s_delay_alu instid0(VALU_DEP_1) | instskip(SKIP_1) | instid1(VALU_DEP_2)
	v_or_b32_e32 v22, v22, v88
	v_and_b32_e32 v90, 7, v88
	v_cmp_ne_u32_e32 vcc_lo, 0, v22
	v_lshlrev_b32_e32 v89, 3, v89
	s_delay_alu instid0(VALU_DEP_1) | instskip(NEXT) | instid1(VALU_DEP_1)
	v_or3_b32 v79, v89, v79, v90
	v_cndmask_b32_e32 v22, 0, v79, vcc_lo
.LBB6_4080:                             ;   in Loop: Header=BB6_3361 Depth=3
	s_or_b32 exec_lo, exec_lo, s17
.LBB6_4081:                             ;   in Loop: Header=BB6_3361 Depth=3
	s_delay_alu instid0(SALU_CYCLE_1) | instskip(SKIP_3) | instid1(VALU_DEP_1)
	s_or_b32 exec_lo, exec_lo, s16
	v_lshrrev_b16 v88, 8, v23
	s_mov_b32 s13, 0
	s_mov_b32 s17, exec_lo
                                        ; implicit-def: $sgpr16
	v_cmpx_lt_i16_e32 0x7f, v88
	s_xor_b32 s17, exec_lo, s17
	s_cbranch_execnz .LBB6_4743
; %bb.4082:                             ;   in Loop: Header=BB6_3361 Depth=3
	s_or_saveexec_b32 s17, s17
	v_mov_b32_e32 v79, s16
	s_xor_b32 exec_lo, exec_lo, s17
	s_cbranch_execnz .LBB6_4746
.LBB6_4083:                             ;   in Loop: Header=BB6_3361 Depth=3
	s_or_b32 exec_lo, exec_lo, s17
	s_and_saveexec_b32 s16, s13
	s_cbranch_execz .LBB6_4085
.LBB6_4084:                             ;   in Loop: Header=BB6_3361 Depth=3
	v_and_b32_e32 v79, 0xffff, v88
	s_delay_alu instid0(VALU_DEP_1) | instskip(NEXT) | instid1(VALU_DEP_1)
	v_and_b32_e32 v89, 7, v79
	v_clz_i32_u32_e32 v90, v89
	s_delay_alu instid0(VALU_DEP_1) | instskip(NEXT) | instid1(VALU_DEP_1)
	v_min_u32_e32 v90, 32, v90
	v_subrev_nc_u32_e32 v91, 28, v90
	v_sub_nc_u32_e32 v90, 29, v90
	s_delay_alu instid0(VALU_DEP_2) | instskip(SKIP_1) | instid1(VALU_DEP_2)
	v_lshlrev_b32_e32 v91, v91, v79
	v_bfe_u32 v79, v79, 3, 4
	v_and_b32_e32 v91, 7, v91
	s_delay_alu instid0(VALU_DEP_2) | instskip(SKIP_1) | instid1(VALU_DEP_1)
	v_cmp_eq_u32_e32 vcc_lo, 0, v79
	v_dual_cndmask_b32 v79, v79, v90 :: v_dual_lshlrev_b32 v88, 24, v88
	v_dual_cndmask_b32 v89, v89, v91 :: v_dual_and_b32 v88, 0x80000000, v88
	s_delay_alu instid0(VALU_DEP_2) | instskip(NEXT) | instid1(VALU_DEP_2)
	v_lshl_add_u32 v79, v79, 23, 0x3b800000
	v_lshlrev_b32_e32 v89, 20, v89
	s_delay_alu instid0(VALU_DEP_1)
	v_or3_b32 v79, v88, v79, v89
.LBB6_4085:                             ;   in Loop: Header=BB6_3361 Depth=3
	s_or_b32 exec_lo, exec_lo, s16
	v_lshrrev_b16 v88, 8, v19
	s_mov_b32 s13, 0
	s_mov_b32 s17, exec_lo
                                        ; implicit-def: $sgpr16
	s_delay_alu instid0(VALU_DEP_1)
	v_cmpx_lt_i16_e32 0x7f, v88
	s_xor_b32 s17, exec_lo, s17
	s_cbranch_execnz .LBB6_4747
; %bb.4086:                             ;   in Loop: Header=BB6_3361 Depth=3
	s_or_saveexec_b32 s17, s17
	v_mov_b32_e32 v89, s16
	s_xor_b32 exec_lo, exec_lo, s17
	s_cbranch_execnz .LBB6_4750
.LBB6_4087:                             ;   in Loop: Header=BB6_3361 Depth=3
	s_or_b32 exec_lo, exec_lo, s17
	s_and_saveexec_b32 s16, s13
	s_cbranch_execz .LBB6_4089
.LBB6_4088:                             ;   in Loop: Header=BB6_3361 Depth=3
	v_and_b32_e32 v89, 0xffff, v88
	v_lshlrev_b32_e32 v88, 24, v88
	s_delay_alu instid0(VALU_DEP_2) | instskip(NEXT) | instid1(VALU_DEP_2)
	v_and_b32_e32 v90, 7, v89
	v_and_b32_e32 v88, 0x80000000, v88
	s_delay_alu instid0(VALU_DEP_2) | instskip(NEXT) | instid1(VALU_DEP_1)
	v_clz_i32_u32_e32 v91, v90
	v_min_u32_e32 v91, 32, v91
	s_delay_alu instid0(VALU_DEP_1) | instskip(SKIP_1) | instid1(VALU_DEP_2)
	v_subrev_nc_u32_e32 v92, 28, v91
	v_sub_nc_u32_e32 v91, 29, v91
	v_lshlrev_b32_e32 v92, v92, v89
	v_bfe_u32 v89, v89, 3, 4
	s_delay_alu instid0(VALU_DEP_2) | instskip(NEXT) | instid1(VALU_DEP_2)
	v_and_b32_e32 v92, 7, v92
	v_cmp_eq_u32_e32 vcc_lo, 0, v89
	s_delay_alu instid0(VALU_DEP_2) | instskip(NEXT) | instid1(VALU_DEP_1)
	v_dual_cndmask_b32 v89, v89, v91 :: v_dual_cndmask_b32 v90, v90, v92
	v_lshl_add_u32 v89, v89, 23, 0x3b800000
	s_delay_alu instid0(VALU_DEP_2) | instskip(NEXT) | instid1(VALU_DEP_1)
	v_lshlrev_b32_e32 v90, 20, v90
	v_or3_b32 v89, v88, v89, v90
.LBB6_4089:                             ;   in Loop: Header=BB6_3361 Depth=3
	s_or_b32 exec_lo, exec_lo, s16
	s_delay_alu instid0(VALU_DEP_1) | instskip(NEXT) | instid1(VALU_DEP_1)
	v_add_f32_e32 v88, v79, v89
	v_and_b32_e32 v79, 0x7f800000, v88
	s_delay_alu instid0(VALU_DEP_1)
	v_cmp_ne_u32_e32 vcc_lo, 0x7f800000, v79
	v_mov_b32_e32 v79, 0x8000
	s_and_saveexec_b32 s16, vcc_lo
	s_cbranch_execz .LBB6_4097
; %bb.4090:                             ;   in Loop: Header=BB6_3361 Depth=3
	v_mov_b32_e32 v79, 0
	s_mov_b32 s17, exec_lo
	v_cmpx_ne_u32_e32 0, v88
	s_cbranch_execz .LBB6_4096
; %bb.4091:                             ;   in Loop: Header=BB6_3361 Depth=3
	v_bfe_u32 v79, v88, 23, 8
	s_delay_alu instid0(VALU_DEP_1) | instskip(SKIP_1) | instid1(VALU_DEP_2)
	v_sub_nc_u32_e32 v90, 0x78, v79
	v_cmp_gt_u32_e32 vcc_lo, 0x79, v79
	v_dual_cndmask_b32 v90, 0, v90 :: v_dual_and_b32 v89, 0x7fffff, v88
	s_delay_alu instid0(VALU_DEP_1) | instskip(SKIP_2) | instid1(VALU_DEP_4)
	v_or_b32_e32 v91, 0x800000, v89
	v_cmp_eq_u32_e32 vcc_lo, 0, v79
	v_add_nc_u32_e32 v79, 0xffffff89, v79
	v_cndmask_b32_e64 v90, v90, 0x77, vcc_lo
	s_delay_alu instid0(VALU_DEP_2) | instskip(SKIP_1) | instid1(VALU_DEP_3)
	v_cndmask_b32_e64 v79, v79, 0xffffff8a, vcc_lo
	v_cndmask_b32_e32 v89, v91, v89, vcc_lo
	v_lshl_add_u32 v91, 0x100000, v90, -1
	v_lshlrev_b32_e64 v94, v90, 0x80000
	s_delay_alu instid0(VALU_DEP_3) | instskip(SKIP_1) | instid1(VALU_DEP_4)
	v_lshrrev_b32_e32 v92, v90, v89
	v_add_nc_u32_e32 v90, v90, v79
	v_and_b32_e32 v89, v91, v89
	s_delay_alu instid0(VALU_DEP_3) | instskip(NEXT) | instid1(VALU_DEP_2)
	v_bfe_u32 v93, v92, 20, 1
	v_cmp_eq_u32_e64 s13, v89, v94
	s_delay_alu instid0(VALU_DEP_2) | instskip(NEXT) | instid1(VALU_DEP_1)
	v_add_nc_u32_e32 v91, -1, v93
	v_cndmask_b32_e64 v89, 0, v91, s13
	v_lshrrev_b32_e32 v91, 23, v92
	s_mov_b32 s13, exec_lo
	s_delay_alu instid0(VALU_DEP_2) | instskip(NEXT) | instid1(VALU_DEP_2)
	v_add_nc_u32_e32 v89, v89, v92
	v_xor_b32_e32 v91, 1, v91
	s_delay_alu instid0(VALU_DEP_2) | instskip(NEXT) | instid1(VALU_DEP_1)
	v_and_b32_e32 v79, 0xfffff, v89
	v_add_nc_u32_e32 v89, v79, v92
                                        ; implicit-def: $vgpr79
	s_delay_alu instid0(VALU_DEP_3)
	v_cmpx_ne_u32_e64 v90, v91
	s_xor_b32 s13, exec_lo, s13
; %bb.4092:                             ;   in Loop: Header=BB6_3361 Depth=3
	s_delay_alu instid0(VALU_DEP_2) | instskip(SKIP_2) | instid1(VALU_DEP_2)
	v_cmp_lt_u32_e32 vcc_lo, 0xffffff, v89
	v_sub_nc_u32_e32 v79, v90, v91
	v_cndmask_b32_e64 v90, 0, 1, vcc_lo
	v_add_co_ci_u32_e32 v79, vcc_lo, 0, v79, vcc_lo
	s_delay_alu instid0(VALU_DEP_2)
	v_lshrrev_b32_e32 v89, v90, v89
; %bb.4093:                             ;   in Loop: Header=BB6_3361 Depth=3
	s_and_not1_saveexec_b32 s13, s13
; %bb.4094:                             ;   in Loop: Header=BB6_3361 Depth=3
	s_delay_alu instid0(VALU_DEP_1)
	v_bfe_u32 v79, v89, 23, 1
; %bb.4095:                             ;   in Loop: Header=BB6_3361 Depth=3
	s_or_b32 exec_lo, exec_lo, s13
	v_lshrrev_b32_e32 v89, 20, v89
	s_delay_alu instid0(VALU_DEP_2) | instskip(SKIP_2) | instid1(VALU_DEP_2)
	v_cmp_gt_i32_e32 vcc_lo, 16, v79
	v_min_i32_e32 v90, 15, v79
	v_lshrrev_b32_e32 v88, 24, v88
	v_dual_cndmask_b32 v89, 7, v89 :: v_dual_lshlrev_b32 v90, 3, v90
	s_delay_alu instid0(VALU_DEP_2) | instskip(NEXT) | instid1(VALU_DEP_2)
	v_and_b32_e32 v88, 0x80, v88
	v_or_b32_e32 v79, v79, v89
	v_and_b32_e32 v91, 7, v89
	s_delay_alu instid0(VALU_DEP_2) | instskip(SKIP_1) | instid1(VALU_DEP_1)
	v_cmp_ne_u32_e32 vcc_lo, 0, v79
	v_and_b32_e32 v90, 0xf8, v90
	v_or3_b32 v88, v88, v90, v91
	s_delay_alu instid0(VALU_DEP_1) | instskip(NEXT) | instid1(VALU_DEP_1)
	v_lshlrev_b32_e32 v88, 8, v88
	v_cndmask_b32_e32 v79, 0, v88, vcc_lo
.LBB6_4096:                             ;   in Loop: Header=BB6_3361 Depth=3
	s_or_b32 exec_lo, exec_lo, s17
.LBB6_4097:                             ;   in Loop: Header=BB6_3361 Depth=3
	s_delay_alu instid0(SALU_CYCLE_1) | instskip(SKIP_3) | instid1(VALU_DEP_1)
	s_or_b32 exec_lo, exec_lo, s16
	v_lshrrev_b32_e32 v89, 16, v23
	s_mov_b32 s13, 0
	s_mov_b32 s17, exec_lo
                                        ; implicit-def: $sgpr16
	v_and_b32_e32 v90, 0xff, v89
	s_delay_alu instid0(VALU_DEP_1)
	v_cmpx_lt_i16_e32 0x7f, v90
	s_xor_b32 s17, exec_lo, s17
	s_cbranch_execnz .LBB6_4751
; %bb.4098:                             ;   in Loop: Header=BB6_3361 Depth=3
	s_or_saveexec_b32 s17, s17
	v_mov_b32_e32 v88, s16
	s_xor_b32 exec_lo, exec_lo, s17
	s_cbranch_execnz .LBB6_4754
.LBB6_4099:                             ;   in Loop: Header=BB6_3361 Depth=3
	s_or_b32 exec_lo, exec_lo, s17
	s_and_saveexec_b32 s16, s13
	s_cbranch_execz .LBB6_4101
.LBB6_4100:                             ;   in Loop: Header=BB6_3361 Depth=3
	v_bfe_u32 v88, v23, 16, 3
	v_lshlrev_b32_e32 v92, 8, v23
	s_delay_alu instid0(VALU_DEP_2) | instskip(NEXT) | instid1(VALU_DEP_1)
	v_clz_i32_u32_e32 v90, v88
	v_min_u32_e32 v90, 32, v90
	s_delay_alu instid0(VALU_DEP_1) | instskip(SKIP_1) | instid1(VALU_DEP_2)
	v_subrev_nc_u32_e32 v91, 28, v90
	v_sub_nc_u32_e32 v90, 29, v90
	v_lshlrev_b32_e32 v89, v91, v89
	v_bfe_u32 v91, v23, 19, 4
	s_delay_alu instid0(VALU_DEP_1) | instskip(NEXT) | instid1(VALU_DEP_3)
	v_cmp_eq_u32_e32 vcc_lo, 0, v91
	v_dual_cndmask_b32 v90, v91, v90 :: v_dual_and_b32 v89, 7, v89
	s_delay_alu instid0(VALU_DEP_1) | instskip(NEXT) | instid1(VALU_DEP_2)
	v_dual_cndmask_b32 v88, v88, v89 :: v_dual_and_b32 v89, 0x80000000, v92
	v_lshl_add_u32 v90, v90, 23, 0x3b800000
	s_delay_alu instid0(VALU_DEP_2) | instskip(NEXT) | instid1(VALU_DEP_1)
	v_lshlrev_b32_e32 v88, 20, v88
	v_or3_b32 v88, v89, v90, v88
.LBB6_4101:                             ;   in Loop: Header=BB6_3361 Depth=3
	s_or_b32 exec_lo, exec_lo, s16
	v_lshrrev_b32_e32 v89, 16, v19
	s_mov_b32 s13, 0
	s_mov_b32 s17, exec_lo
                                        ; implicit-def: $sgpr16
	s_delay_alu instid0(VALU_DEP_1) | instskip(NEXT) | instid1(VALU_DEP_1)
	v_and_b32_e32 v91, 0xff, v89
	v_cmpx_lt_i16_e32 0x7f, v91
	s_xor_b32 s17, exec_lo, s17
	s_cbranch_execnz .LBB6_4755
; %bb.4102:                             ;   in Loop: Header=BB6_3361 Depth=3
	s_or_saveexec_b32 s17, s17
	v_mov_b32_e32 v90, s16
	s_xor_b32 exec_lo, exec_lo, s17
	s_cbranch_execnz .LBB6_4758
.LBB6_4103:                             ;   in Loop: Header=BB6_3361 Depth=3
	s_or_b32 exec_lo, exec_lo, s17
	s_and_saveexec_b32 s16, s13
	s_cbranch_execz .LBB6_4105
.LBB6_4104:                             ;   in Loop: Header=BB6_3361 Depth=3
	v_bfe_u32 v90, v19, 16, 3
	v_lshlrev_b32_e32 v93, 8, v19
	s_delay_alu instid0(VALU_DEP_2) | instskip(NEXT) | instid1(VALU_DEP_1)
	v_clz_i32_u32_e32 v91, v90
	v_min_u32_e32 v91, 32, v91
	s_delay_alu instid0(VALU_DEP_1) | instskip(SKIP_1) | instid1(VALU_DEP_2)
	v_subrev_nc_u32_e32 v92, 28, v91
	v_sub_nc_u32_e32 v91, 29, v91
	v_lshlrev_b32_e32 v89, v92, v89
	v_bfe_u32 v92, v19, 19, 4
	s_delay_alu instid0(VALU_DEP_2) | instskip(NEXT) | instid1(VALU_DEP_2)
	v_and_b32_e32 v89, 7, v89
	v_cmp_eq_u32_e32 vcc_lo, 0, v92
	v_cndmask_b32_e32 v91, v92, v91, vcc_lo
	s_delay_alu instid0(VALU_DEP_3) | instskip(SKIP_1) | instid1(VALU_DEP_3)
	v_cndmask_b32_e32 v89, v90, v89, vcc_lo
	v_and_b32_e32 v90, 0x80000000, v93
	v_lshl_add_u32 v91, v91, 23, 0x3b800000
	s_delay_alu instid0(VALU_DEP_3) | instskip(NEXT) | instid1(VALU_DEP_1)
	v_lshlrev_b32_e32 v89, 20, v89
	v_or3_b32 v90, v90, v91, v89
.LBB6_4105:                             ;   in Loop: Header=BB6_3361 Depth=3
	s_or_b32 exec_lo, exec_lo, s16
	s_delay_alu instid0(VALU_DEP_1) | instskip(NEXT) | instid1(VALU_DEP_1)
	v_add_f32_e32 v89, v88, v90
	v_and_b32_e32 v88, 0x7f800000, v89
	s_delay_alu instid0(VALU_DEP_1)
	v_cmp_ne_u32_e32 vcc_lo, 0x7f800000, v88
	v_mov_b32_e32 v88, 0x80
	s_and_saveexec_b32 s16, vcc_lo
	s_cbranch_execz .LBB6_4113
; %bb.4106:                             ;   in Loop: Header=BB6_3361 Depth=3
	v_mov_b32_e32 v88, 0
	s_mov_b32 s17, exec_lo
	v_cmpx_ne_u32_e32 0, v89
	s_cbranch_execz .LBB6_4112
; %bb.4107:                             ;   in Loop: Header=BB6_3361 Depth=3
	v_bfe_u32 v88, v89, 23, 8
	s_delay_alu instid0(VALU_DEP_1) | instskip(SKIP_1) | instid1(VALU_DEP_2)
	v_sub_nc_u32_e32 v91, 0x78, v88
	v_cmp_gt_u32_e32 vcc_lo, 0x79, v88
	v_dual_cndmask_b32 v91, 0, v91 :: v_dual_and_b32 v90, 0x7fffff, v89
	s_delay_alu instid0(VALU_DEP_1) | instskip(SKIP_2) | instid1(VALU_DEP_4)
	v_or_b32_e32 v92, 0x800000, v90
	v_cmp_eq_u32_e32 vcc_lo, 0, v88
	v_add_nc_u32_e32 v88, 0xffffff89, v88
	v_cndmask_b32_e64 v91, v91, 0x77, vcc_lo
	s_delay_alu instid0(VALU_DEP_2) | instskip(SKIP_1) | instid1(VALU_DEP_3)
	v_cndmask_b32_e64 v88, v88, 0xffffff8a, vcc_lo
	v_cndmask_b32_e32 v90, v92, v90, vcc_lo
	v_lshl_add_u32 v92, 0x100000, v91, -1
	v_lshlrev_b32_e64 v95, v91, 0x80000
	s_delay_alu instid0(VALU_DEP_3) | instskip(SKIP_1) | instid1(VALU_DEP_4)
	v_lshrrev_b32_e32 v93, v91, v90
	v_add_nc_u32_e32 v91, v91, v88
	v_and_b32_e32 v90, v92, v90
	s_delay_alu instid0(VALU_DEP_3) | instskip(NEXT) | instid1(VALU_DEP_2)
	v_bfe_u32 v94, v93, 20, 1
	v_cmp_eq_u32_e64 s13, v90, v95
	s_delay_alu instid0(VALU_DEP_2) | instskip(NEXT) | instid1(VALU_DEP_1)
	v_add_nc_u32_e32 v92, -1, v94
	v_cndmask_b32_e64 v90, 0, v92, s13
	v_lshrrev_b32_e32 v92, 23, v93
	s_mov_b32 s13, exec_lo
	s_delay_alu instid0(VALU_DEP_2) | instskip(NEXT) | instid1(VALU_DEP_2)
	v_add_nc_u32_e32 v90, v90, v93
	v_xor_b32_e32 v92, 1, v92
	s_delay_alu instid0(VALU_DEP_2) | instskip(NEXT) | instid1(VALU_DEP_1)
	v_and_b32_e32 v88, 0xfffff, v90
	v_add_nc_u32_e32 v90, v88, v93
                                        ; implicit-def: $vgpr88
	s_delay_alu instid0(VALU_DEP_3)
	v_cmpx_ne_u32_e64 v91, v92
	s_xor_b32 s13, exec_lo, s13
; %bb.4108:                             ;   in Loop: Header=BB6_3361 Depth=3
	s_delay_alu instid0(VALU_DEP_2) | instskip(SKIP_2) | instid1(VALU_DEP_2)
	v_cmp_lt_u32_e32 vcc_lo, 0xffffff, v90
	v_sub_nc_u32_e32 v88, v91, v92
	v_cndmask_b32_e64 v91, 0, 1, vcc_lo
	v_add_co_ci_u32_e32 v88, vcc_lo, 0, v88, vcc_lo
	s_delay_alu instid0(VALU_DEP_2)
	v_lshrrev_b32_e32 v90, v91, v90
; %bb.4109:                             ;   in Loop: Header=BB6_3361 Depth=3
	s_and_not1_saveexec_b32 s13, s13
; %bb.4110:                             ;   in Loop: Header=BB6_3361 Depth=3
	s_delay_alu instid0(VALU_DEP_1)
	v_bfe_u32 v88, v90, 23, 1
; %bb.4111:                             ;   in Loop: Header=BB6_3361 Depth=3
	s_or_b32 exec_lo, exec_lo, s13
	v_lshrrev_b32_e32 v90, 20, v90
	s_delay_alu instid0(VALU_DEP_2) | instskip(SKIP_2) | instid1(VALU_DEP_2)
	v_cmp_gt_i32_e32 vcc_lo, 16, v88
	v_min_i32_e32 v91, 15, v88
	v_lshrrev_b32_e32 v89, 24, v89
	v_dual_cndmask_b32 v90, 7, v90 :: v_dual_lshlrev_b32 v91, 3, v91
	s_delay_alu instid0(VALU_DEP_2) | instskip(NEXT) | instid1(VALU_DEP_2)
	v_and_b32_e32 v89, 0x80, v89
	v_or_b32_e32 v88, v88, v90
	v_and_b32_e32 v92, 7, v90
	s_delay_alu instid0(VALU_DEP_2) | instskip(SKIP_1) | instid1(VALU_DEP_1)
	v_cmp_ne_u32_e32 vcc_lo, 0, v88
	v_and_b32_e32 v91, 0xf8, v91
	v_or3_b32 v89, v91, v89, v92
	s_delay_alu instid0(VALU_DEP_1)
	v_cndmask_b32_e32 v88, 0, v89, vcc_lo
.LBB6_4112:                             ;   in Loop: Header=BB6_3361 Depth=3
	s_or_b32 exec_lo, exec_lo, s17
.LBB6_4113:                             ;   in Loop: Header=BB6_3361 Depth=3
	s_delay_alu instid0(SALU_CYCLE_1) | instskip(SKIP_3) | instid1(VALU_DEP_1)
	s_or_b32 exec_lo, exec_lo, s16
	v_lshrrev_b32_e32 v90, 24, v23
	s_mov_b32 s13, 0
	s_mov_b32 s17, exec_lo
                                        ; implicit-def: $sgpr16
	v_cmpx_lt_i16_e32 0x7f, v90
	s_xor_b32 s17, exec_lo, s17
	s_cbranch_execnz .LBB6_4759
; %bb.4114:                             ;   in Loop: Header=BB6_3361 Depth=3
	s_or_saveexec_b32 s17, s17
	v_mov_b32_e32 v89, s16
	s_xor_b32 exec_lo, exec_lo, s17
	s_cbranch_execnz .LBB6_4762
.LBB6_4115:                             ;   in Loop: Header=BB6_3361 Depth=3
	s_or_b32 exec_lo, exec_lo, s17
	s_and_saveexec_b32 s16, s13
	s_cbranch_execz .LBB6_4117
.LBB6_4116:                             ;   in Loop: Header=BB6_3361 Depth=3
	v_bfe_u32 v89, v23, 24, 3
	s_delay_alu instid0(VALU_DEP_1) | instskip(NEXT) | instid1(VALU_DEP_1)
	v_clz_i32_u32_e32 v91, v89
	v_min_u32_e32 v91, 32, v91
	s_delay_alu instid0(VALU_DEP_1) | instskip(SKIP_1) | instid1(VALU_DEP_2)
	v_subrev_nc_u32_e32 v92, 28, v91
	v_sub_nc_u32_e32 v91, 29, v91
	v_lshlrev_b32_e32 v90, v92, v90
	v_bfe_u32 v92, v23, 27, 4
	v_and_b32_e32 v23, 0x80000000, v23
	s_delay_alu instid0(VALU_DEP_2) | instskip(NEXT) | instid1(VALU_DEP_4)
	v_cmp_eq_u32_e32 vcc_lo, 0, v92
	v_dual_cndmask_b32 v91, v92, v91 :: v_dual_and_b32 v90, 7, v90
	s_delay_alu instid0(VALU_DEP_1) | instskip(NEXT) | instid1(VALU_DEP_2)
	v_cndmask_b32_e32 v89, v89, v90, vcc_lo
	v_lshl_add_u32 v90, v91, 23, 0x3b800000
	s_delay_alu instid0(VALU_DEP_2) | instskip(NEXT) | instid1(VALU_DEP_1)
	v_lshlrev_b32_e32 v89, 20, v89
	v_or3_b32 v89, v23, v90, v89
.LBB6_4117:                             ;   in Loop: Header=BB6_3361 Depth=3
	s_or_b32 exec_lo, exec_lo, s16
	v_lshrrev_b32_e32 v23, 24, v19
	s_mov_b32 s13, 0
	s_mov_b32 s17, exec_lo
                                        ; implicit-def: $sgpr16
	s_delay_alu instid0(VALU_DEP_1)
	v_cmpx_lt_i16_e32 0x7f, v23
	s_xor_b32 s17, exec_lo, s17
	s_cbranch_execnz .LBB6_4763
; %bb.4118:                             ;   in Loop: Header=BB6_3361 Depth=3
	s_or_saveexec_b32 s17, s17
	v_mov_b32_e32 v90, s16
	s_xor_b32 exec_lo, exec_lo, s17
	s_cbranch_execnz .LBB6_4766
.LBB6_4119:                             ;   in Loop: Header=BB6_3361 Depth=3
	s_or_b32 exec_lo, exec_lo, s17
	s_and_saveexec_b32 s16, s13
	s_cbranch_execz .LBB6_4121
.LBB6_4120:                             ;   in Loop: Header=BB6_3361 Depth=3
	v_bfe_u32 v90, v19, 24, 3
	s_delay_alu instid0(VALU_DEP_1) | instskip(NEXT) | instid1(VALU_DEP_1)
	v_clz_i32_u32_e32 v91, v90
	v_min_u32_e32 v91, 32, v91
	s_delay_alu instid0(VALU_DEP_1) | instskip(SKIP_1) | instid1(VALU_DEP_2)
	v_subrev_nc_u32_e32 v92, 28, v91
	v_sub_nc_u32_e32 v91, 29, v91
	v_lshlrev_b32_e32 v23, v92, v23
	v_bfe_u32 v92, v19, 27, 4
	v_and_b32_e32 v19, 0x80000000, v19
	s_delay_alu instid0(VALU_DEP_3) | instskip(NEXT) | instid1(VALU_DEP_3)
	v_and_b32_e32 v23, 7, v23
	v_cmp_eq_u32_e32 vcc_lo, 0, v92
	v_cndmask_b32_e32 v91, v92, v91, vcc_lo
	s_delay_alu instid0(VALU_DEP_3) | instskip(NEXT) | instid1(VALU_DEP_2)
	v_cndmask_b32_e32 v23, v90, v23, vcc_lo
	v_lshl_add_u32 v90, v91, 23, 0x3b800000
	s_delay_alu instid0(VALU_DEP_2) | instskip(NEXT) | instid1(VALU_DEP_1)
	v_lshlrev_b32_e32 v23, 20, v23
	v_or3_b32 v90, v19, v90, v23
.LBB6_4121:                             ;   in Loop: Header=BB6_3361 Depth=3
	s_or_b32 exec_lo, exec_lo, s16
	s_delay_alu instid0(VALU_DEP_1) | instskip(NEXT) | instid1(VALU_DEP_1)
	v_add_f32_e32 v23, v89, v90
	v_and_b32_e32 v19, 0x7f800000, v23
	s_delay_alu instid0(VALU_DEP_1)
	v_cmp_ne_u32_e32 vcc_lo, 0x7f800000, v19
	v_mov_b32_e32 v19, 0x8000
	s_and_saveexec_b32 s16, vcc_lo
	s_cbranch_execz .LBB6_4129
; %bb.4122:                             ;   in Loop: Header=BB6_3361 Depth=3
	v_mov_b32_e32 v19, 0
	s_mov_b32 s17, exec_lo
	v_cmpx_ne_u32_e32 0, v23
	s_cbranch_execz .LBB6_4128
; %bb.4123:                             ;   in Loop: Header=BB6_3361 Depth=3
	v_bfe_u32 v19, v23, 23, 8
	s_delay_alu instid0(VALU_DEP_1) | instskip(SKIP_1) | instid1(VALU_DEP_2)
	v_sub_nc_u32_e32 v90, 0x78, v19
	v_cmp_gt_u32_e32 vcc_lo, 0x79, v19
	v_dual_cndmask_b32 v90, 0, v90 :: v_dual_and_b32 v89, 0x7fffff, v23
	s_delay_alu instid0(VALU_DEP_1) | instskip(SKIP_2) | instid1(VALU_DEP_4)
	v_or_b32_e32 v91, 0x800000, v89
	v_cmp_eq_u32_e32 vcc_lo, 0, v19
	v_add_nc_u32_e32 v19, 0xffffff89, v19
	v_cndmask_b32_e64 v90, v90, 0x77, vcc_lo
	s_delay_alu instid0(VALU_DEP_2) | instskip(SKIP_1) | instid1(VALU_DEP_3)
	v_cndmask_b32_e64 v19, v19, 0xffffff8a, vcc_lo
	v_cndmask_b32_e32 v89, v91, v89, vcc_lo
	v_lshl_add_u32 v91, 0x100000, v90, -1
	v_lshlrev_b32_e64 v94, v90, 0x80000
	s_delay_alu instid0(VALU_DEP_3) | instskip(SKIP_1) | instid1(VALU_DEP_4)
	v_lshrrev_b32_e32 v92, v90, v89
	v_add_nc_u32_e32 v90, v90, v19
	v_and_b32_e32 v89, v91, v89
	s_delay_alu instid0(VALU_DEP_3) | instskip(NEXT) | instid1(VALU_DEP_2)
	v_bfe_u32 v93, v92, 20, 1
	v_cmp_eq_u32_e64 s13, v89, v94
	s_delay_alu instid0(VALU_DEP_2) | instskip(NEXT) | instid1(VALU_DEP_1)
	v_add_nc_u32_e32 v91, -1, v93
	v_cndmask_b32_e64 v89, 0, v91, s13
	v_lshrrev_b32_e32 v91, 23, v92
	s_mov_b32 s13, exec_lo
	s_delay_alu instid0(VALU_DEP_2) | instskip(NEXT) | instid1(VALU_DEP_2)
	v_add_nc_u32_e32 v89, v89, v92
	v_xor_b32_e32 v91, 1, v91
	s_delay_alu instid0(VALU_DEP_2) | instskip(NEXT) | instid1(VALU_DEP_1)
	v_and_b32_e32 v19, 0xfffff, v89
	v_add_nc_u32_e32 v89, v19, v92
                                        ; implicit-def: $vgpr19
	s_delay_alu instid0(VALU_DEP_3)
	v_cmpx_ne_u32_e64 v90, v91
	s_xor_b32 s13, exec_lo, s13
; %bb.4124:                             ;   in Loop: Header=BB6_3361 Depth=3
	s_delay_alu instid0(VALU_DEP_2) | instskip(SKIP_2) | instid1(VALU_DEP_2)
	v_cmp_lt_u32_e32 vcc_lo, 0xffffff, v89
	v_sub_nc_u32_e32 v19, v90, v91
	v_cndmask_b32_e64 v90, 0, 1, vcc_lo
	v_add_co_ci_u32_e32 v19, vcc_lo, 0, v19, vcc_lo
	s_delay_alu instid0(VALU_DEP_2)
	v_lshrrev_b32_e32 v89, v90, v89
; %bb.4125:                             ;   in Loop: Header=BB6_3361 Depth=3
	s_and_not1_saveexec_b32 s13, s13
; %bb.4126:                             ;   in Loop: Header=BB6_3361 Depth=3
	s_delay_alu instid0(VALU_DEP_1)
	v_bfe_u32 v19, v89, 23, 1
; %bb.4127:                             ;   in Loop: Header=BB6_3361 Depth=3
	s_or_b32 exec_lo, exec_lo, s13
	v_lshrrev_b32_e32 v89, 20, v89
	s_delay_alu instid0(VALU_DEP_2) | instskip(SKIP_2) | instid1(VALU_DEP_2)
	v_cmp_gt_i32_e32 vcc_lo, 16, v19
	v_min_i32_e32 v90, 15, v19
	v_lshrrev_b32_e32 v23, 24, v23
	v_dual_cndmask_b32 v89, 7, v89 :: v_dual_lshlrev_b32 v90, 3, v90
	s_delay_alu instid0(VALU_DEP_2) | instskip(NEXT) | instid1(VALU_DEP_2)
	v_and_b32_e32 v23, 0x80, v23
	v_or_b32_e32 v19, v19, v89
	v_and_b32_e32 v91, 7, v89
	s_delay_alu instid0(VALU_DEP_2) | instskip(SKIP_1) | instid1(VALU_DEP_1)
	v_cmp_ne_u32_e32 vcc_lo, 0, v19
	v_and_b32_e32 v90, 0xf8, v90
	v_or3_b32 v23, v23, v90, v91
	s_delay_alu instid0(VALU_DEP_1) | instskip(NEXT) | instid1(VALU_DEP_1)
	v_lshlrev_b32_e32 v23, 8, v23
	v_cndmask_b32_e32 v19, 0, v23, vcc_lo
.LBB6_4128:                             ;   in Loop: Header=BB6_3361 Depth=3
	s_or_b32 exec_lo, exec_lo, s17
.LBB6_4129:                             ;   in Loop: Header=BB6_3361 Depth=3
	s_delay_alu instid0(SALU_CYCLE_1) | instskip(SKIP_3) | instid1(VALU_DEP_1)
	s_or_b32 exec_lo, exec_lo, s16
	v_and_b32_e32 v89, 0xff, v12
	s_mov_b32 s13, 0
	s_mov_b32 s17, exec_lo
                                        ; implicit-def: $sgpr16
	v_cmpx_lt_i16_e32 0x7f, v89
	s_xor_b32 s17, exec_lo, s17
	s_cbranch_execnz .LBB6_4767
; %bb.4130:                             ;   in Loop: Header=BB6_3361 Depth=3
	s_or_saveexec_b32 s17, s17
	v_mov_b32_e32 v23, s16
	s_xor_b32 exec_lo, exec_lo, s17
	s_cbranch_execnz .LBB6_4770
.LBB6_4131:                             ;   in Loop: Header=BB6_3361 Depth=3
	s_or_b32 exec_lo, exec_lo, s17
	s_and_saveexec_b32 s16, s13
	s_cbranch_execz .LBB6_4133
.LBB6_4132:                             ;   in Loop: Header=BB6_3361 Depth=3
	v_and_b32_e32 v23, 7, v12
	v_bfe_u32 v91, v12, 3, 4
	s_delay_alu instid0(VALU_DEP_2) | instskip(NEXT) | instid1(VALU_DEP_2)
	v_clz_i32_u32_e32 v89, v23
	v_cmp_eq_u32_e32 vcc_lo, 0, v91
	s_delay_alu instid0(VALU_DEP_2) | instskip(NEXT) | instid1(VALU_DEP_1)
	v_min_u32_e32 v89, 32, v89
	v_subrev_nc_u32_e32 v90, 28, v89
	v_sub_nc_u32_e32 v89, 29, v89
	s_delay_alu instid0(VALU_DEP_1) | instskip(NEXT) | instid1(VALU_DEP_1)
	v_dual_cndmask_b32 v89, v91, v89 :: v_dual_lshlrev_b32 v90, v90, v12
	v_and_b32_e32 v90, 7, v90
	v_lshlrev_b32_e32 v92, 24, v12
	s_delay_alu instid0(VALU_DEP_3) | instskip(NEXT) | instid1(VALU_DEP_2)
	v_lshl_add_u32 v89, v89, 23, 0x3b800000
	v_dual_cndmask_b32 v23, v23, v90 :: v_dual_and_b32 v90, 0x80000000, v92
	s_delay_alu instid0(VALU_DEP_1) | instskip(NEXT) | instid1(VALU_DEP_1)
	v_lshlrev_b32_e32 v23, 20, v23
	v_or3_b32 v23, v90, v89, v23
.LBB6_4133:                             ;   in Loop: Header=BB6_3361 Depth=3
	s_or_b32 exec_lo, exec_lo, s16
	s_waitcnt vmcnt(0)
	v_and_b32_e32 v90, 0xff, v8
	s_mov_b32 s13, 0
	s_mov_b32 s17, exec_lo
                                        ; implicit-def: $sgpr16
	s_delay_alu instid0(VALU_DEP_1)
	v_cmpx_lt_i16_e32 0x7f, v90
	s_xor_b32 s17, exec_lo, s17
	s_cbranch_execnz .LBB6_4771
; %bb.4134:                             ;   in Loop: Header=BB6_3361 Depth=3
	s_or_saveexec_b32 s17, s17
	v_mov_b32_e32 v89, s16
	s_xor_b32 exec_lo, exec_lo, s17
	s_cbranch_execnz .LBB6_4774
.LBB6_4135:                             ;   in Loop: Header=BB6_3361 Depth=3
	s_or_b32 exec_lo, exec_lo, s17
	s_and_saveexec_b32 s16, s13
	s_cbranch_execz .LBB6_4137
.LBB6_4136:                             ;   in Loop: Header=BB6_3361 Depth=3
	v_bfe_u32 v92, v8, 3, 4
	v_lshlrev_b32_e32 v93, 24, v8
	s_delay_alu instid0(VALU_DEP_2) | instskip(SKIP_1) | instid1(VALU_DEP_1)
	v_cmp_eq_u32_e32 vcc_lo, 0, v92
	v_and_b32_e32 v89, 7, v8
	v_clz_i32_u32_e32 v90, v89
	s_delay_alu instid0(VALU_DEP_1) | instskip(NEXT) | instid1(VALU_DEP_1)
	v_min_u32_e32 v90, 32, v90
	v_subrev_nc_u32_e32 v91, 28, v90
	v_sub_nc_u32_e32 v90, 29, v90
	s_delay_alu instid0(VALU_DEP_1) | instskip(NEXT) | instid1(VALU_DEP_1)
	v_dual_cndmask_b32 v90, v92, v90 :: v_dual_lshlrev_b32 v91, v91, v8
	v_and_b32_e32 v91, 7, v91
	s_delay_alu instid0(VALU_DEP_2) | instskip(NEXT) | instid1(VALU_DEP_2)
	v_lshl_add_u32 v90, v90, 23, 0x3b800000
	v_cndmask_b32_e32 v89, v89, v91, vcc_lo
	v_and_b32_e32 v91, 0x80000000, v93
	s_delay_alu instid0(VALU_DEP_2) | instskip(NEXT) | instid1(VALU_DEP_1)
	v_lshlrev_b32_e32 v89, 20, v89
	v_or3_b32 v89, v91, v90, v89
.LBB6_4137:                             ;   in Loop: Header=BB6_3361 Depth=3
	s_or_b32 exec_lo, exec_lo, s16
	s_delay_alu instid0(VALU_DEP_1) | instskip(NEXT) | instid1(VALU_DEP_1)
	v_add_f32_e32 v89, v23, v89
	v_and_b32_e32 v23, 0x7f800000, v89
	s_delay_alu instid0(VALU_DEP_1)
	v_cmp_ne_u32_e32 vcc_lo, 0x7f800000, v23
	v_mov_b32_e32 v23, 0x80
	s_and_saveexec_b32 s16, vcc_lo
	s_cbranch_execz .LBB6_4145
; %bb.4138:                             ;   in Loop: Header=BB6_3361 Depth=3
	v_mov_b32_e32 v23, 0
	s_mov_b32 s17, exec_lo
	v_cmpx_ne_u32_e32 0, v89
	s_cbranch_execz .LBB6_4144
; %bb.4139:                             ;   in Loop: Header=BB6_3361 Depth=3
	v_bfe_u32 v23, v89, 23, 8
	s_delay_alu instid0(VALU_DEP_1) | instskip(SKIP_1) | instid1(VALU_DEP_2)
	v_sub_nc_u32_e32 v91, 0x78, v23
	v_cmp_gt_u32_e32 vcc_lo, 0x79, v23
	v_dual_cndmask_b32 v91, 0, v91 :: v_dual_and_b32 v90, 0x7fffff, v89
	s_delay_alu instid0(VALU_DEP_1) | instskip(SKIP_2) | instid1(VALU_DEP_4)
	v_or_b32_e32 v92, 0x800000, v90
	v_cmp_eq_u32_e32 vcc_lo, 0, v23
	v_add_nc_u32_e32 v23, 0xffffff89, v23
	v_cndmask_b32_e64 v91, v91, 0x77, vcc_lo
	s_delay_alu instid0(VALU_DEP_4) | instskip(NEXT) | instid1(VALU_DEP_3)
	v_cndmask_b32_e32 v90, v92, v90, vcc_lo
	v_cndmask_b32_e64 v23, v23, 0xffffff8a, vcc_lo
	s_delay_alu instid0(VALU_DEP_3) | instskip(NEXT) | instid1(VALU_DEP_3)
	v_lshl_add_u32 v92, 0x100000, v91, -1
	v_lshrrev_b32_e32 v93, v91, v90
	v_lshlrev_b32_e64 v95, v91, 0x80000
	s_delay_alu instid0(VALU_DEP_4) | instskip(NEXT) | instid1(VALU_DEP_4)
	v_add_nc_u32_e32 v91, v91, v23
	v_and_b32_e32 v90, v92, v90
	s_delay_alu instid0(VALU_DEP_4) | instskip(NEXT) | instid1(VALU_DEP_2)
	v_bfe_u32 v94, v93, 20, 1
	v_cmp_eq_u32_e64 s13, v90, v95
	s_delay_alu instid0(VALU_DEP_2) | instskip(NEXT) | instid1(VALU_DEP_1)
	v_add_nc_u32_e32 v92, -1, v94
	v_cndmask_b32_e64 v90, 0, v92, s13
	v_lshrrev_b32_e32 v92, 23, v93
	s_mov_b32 s13, exec_lo
	s_delay_alu instid0(VALU_DEP_2) | instskip(NEXT) | instid1(VALU_DEP_2)
	v_add_nc_u32_e32 v90, v90, v93
	v_xor_b32_e32 v92, 1, v92
	s_delay_alu instid0(VALU_DEP_2) | instskip(NEXT) | instid1(VALU_DEP_1)
	v_and_b32_e32 v23, 0xfffff, v90
	v_add_nc_u32_e32 v90, v23, v93
                                        ; implicit-def: $vgpr23
	s_delay_alu instid0(VALU_DEP_3)
	v_cmpx_ne_u32_e64 v91, v92
	s_xor_b32 s13, exec_lo, s13
; %bb.4140:                             ;   in Loop: Header=BB6_3361 Depth=3
	s_delay_alu instid0(VALU_DEP_2) | instskip(SKIP_2) | instid1(VALU_DEP_2)
	v_cmp_lt_u32_e32 vcc_lo, 0xffffff, v90
	v_sub_nc_u32_e32 v23, v91, v92
	v_cndmask_b32_e64 v91, 0, 1, vcc_lo
	v_add_co_ci_u32_e32 v23, vcc_lo, 0, v23, vcc_lo
	s_delay_alu instid0(VALU_DEP_2)
	v_lshrrev_b32_e32 v90, v91, v90
; %bb.4141:                             ;   in Loop: Header=BB6_3361 Depth=3
	s_and_not1_saveexec_b32 s13, s13
; %bb.4142:                             ;   in Loop: Header=BB6_3361 Depth=3
	s_delay_alu instid0(VALU_DEP_1)
	v_bfe_u32 v23, v90, 23, 1
; %bb.4143:                             ;   in Loop: Header=BB6_3361 Depth=3
	s_or_b32 exec_lo, exec_lo, s13
	v_lshrrev_b32_e32 v90, 20, v90
	s_delay_alu instid0(VALU_DEP_2) | instskip(SKIP_2) | instid1(VALU_DEP_2)
	v_cmp_gt_i32_e32 vcc_lo, 16, v23
	v_lshrrev_b32_e32 v89, 24, v89
	v_min_i32_e32 v91, 15, v23
	v_dual_cndmask_b32 v90, 7, v90 :: v_dual_and_b32 v89, 0x80, v89
	s_delay_alu instid0(VALU_DEP_2) | instskip(NEXT) | instid1(VALU_DEP_2)
	v_lshlrev_b32_e32 v91, 3, v91
	v_or_b32_e32 v23, v23, v90
	s_delay_alu instid0(VALU_DEP_1) | instskip(SKIP_1) | instid1(VALU_DEP_1)
	v_cmp_ne_u32_e32 vcc_lo, 0, v23
	v_and_b32_e32 v92, 7, v90
	v_or3_b32 v89, v91, v89, v92
	s_delay_alu instid0(VALU_DEP_1)
	v_cndmask_b32_e32 v23, 0, v89, vcc_lo
.LBB6_4144:                             ;   in Loop: Header=BB6_3361 Depth=3
	s_or_b32 exec_lo, exec_lo, s17
.LBB6_4145:                             ;   in Loop: Header=BB6_3361 Depth=3
	s_delay_alu instid0(SALU_CYCLE_1) | instskip(SKIP_3) | instid1(VALU_DEP_1)
	s_or_b32 exec_lo, exec_lo, s16
	v_lshrrev_b16 v90, 8, v12
	s_mov_b32 s13, 0
	s_mov_b32 s17, exec_lo
                                        ; implicit-def: $sgpr16
	v_cmpx_lt_i16_e32 0x7f, v90
	s_xor_b32 s17, exec_lo, s17
	s_cbranch_execnz .LBB6_4775
; %bb.4146:                             ;   in Loop: Header=BB6_3361 Depth=3
	s_or_saveexec_b32 s17, s17
	v_mov_b32_e32 v89, s16
	s_xor_b32 exec_lo, exec_lo, s17
	s_cbranch_execnz .LBB6_4778
.LBB6_4147:                             ;   in Loop: Header=BB6_3361 Depth=3
	s_or_b32 exec_lo, exec_lo, s17
	s_and_saveexec_b32 s16, s13
	s_cbranch_execz .LBB6_4149
.LBB6_4148:                             ;   in Loop: Header=BB6_3361 Depth=3
	v_and_b32_e32 v89, 0xffff, v90
	s_delay_alu instid0(VALU_DEP_1) | instskip(NEXT) | instid1(VALU_DEP_1)
	v_and_b32_e32 v91, 7, v89
	v_clz_i32_u32_e32 v92, v91
	s_delay_alu instid0(VALU_DEP_1) | instskip(NEXT) | instid1(VALU_DEP_1)
	v_min_u32_e32 v92, 32, v92
	v_subrev_nc_u32_e32 v93, 28, v92
	v_sub_nc_u32_e32 v92, 29, v92
	s_delay_alu instid0(VALU_DEP_2) | instskip(SKIP_1) | instid1(VALU_DEP_2)
	v_lshlrev_b32_e32 v93, v93, v89
	v_bfe_u32 v89, v89, 3, 4
	v_and_b32_e32 v93, 7, v93
	s_delay_alu instid0(VALU_DEP_2) | instskip(SKIP_1) | instid1(VALU_DEP_1)
	v_cmp_eq_u32_e32 vcc_lo, 0, v89
	v_dual_cndmask_b32 v89, v89, v92 :: v_dual_lshlrev_b32 v90, 24, v90
	v_dual_cndmask_b32 v91, v91, v93 :: v_dual_and_b32 v90, 0x80000000, v90
	s_delay_alu instid0(VALU_DEP_2) | instskip(NEXT) | instid1(VALU_DEP_2)
	v_lshl_add_u32 v89, v89, 23, 0x3b800000
	v_lshlrev_b32_e32 v91, 20, v91
	s_delay_alu instid0(VALU_DEP_1)
	v_or3_b32 v89, v90, v89, v91
.LBB6_4149:                             ;   in Loop: Header=BB6_3361 Depth=3
	s_or_b32 exec_lo, exec_lo, s16
	v_lshrrev_b16 v90, 8, v8
	s_mov_b32 s13, 0
	s_mov_b32 s17, exec_lo
                                        ; implicit-def: $sgpr16
	s_delay_alu instid0(VALU_DEP_1)
	v_cmpx_lt_i16_e32 0x7f, v90
	s_xor_b32 s17, exec_lo, s17
	s_cbranch_execnz .LBB6_4779
; %bb.4150:                             ;   in Loop: Header=BB6_3361 Depth=3
	s_or_saveexec_b32 s17, s17
	v_mov_b32_e32 v91, s16
	s_xor_b32 exec_lo, exec_lo, s17
	s_cbranch_execnz .LBB6_4782
.LBB6_4151:                             ;   in Loop: Header=BB6_3361 Depth=3
	s_or_b32 exec_lo, exec_lo, s17
	s_and_saveexec_b32 s16, s13
	s_cbranch_execz .LBB6_4153
.LBB6_4152:                             ;   in Loop: Header=BB6_3361 Depth=3
	v_and_b32_e32 v91, 0xffff, v90
	v_lshlrev_b32_e32 v90, 24, v90
	s_delay_alu instid0(VALU_DEP_2) | instskip(NEXT) | instid1(VALU_DEP_2)
	v_and_b32_e32 v92, 7, v91
	v_and_b32_e32 v90, 0x80000000, v90
	s_delay_alu instid0(VALU_DEP_2) | instskip(NEXT) | instid1(VALU_DEP_1)
	v_clz_i32_u32_e32 v93, v92
	v_min_u32_e32 v93, 32, v93
	s_delay_alu instid0(VALU_DEP_1) | instskip(SKIP_1) | instid1(VALU_DEP_2)
	v_subrev_nc_u32_e32 v94, 28, v93
	v_sub_nc_u32_e32 v93, 29, v93
	v_lshlrev_b32_e32 v94, v94, v91
	v_bfe_u32 v91, v91, 3, 4
	s_delay_alu instid0(VALU_DEP_2) | instskip(NEXT) | instid1(VALU_DEP_2)
	v_and_b32_e32 v94, 7, v94
	v_cmp_eq_u32_e32 vcc_lo, 0, v91
	s_delay_alu instid0(VALU_DEP_2) | instskip(NEXT) | instid1(VALU_DEP_1)
	v_dual_cndmask_b32 v91, v91, v93 :: v_dual_cndmask_b32 v92, v92, v94
	v_lshl_add_u32 v91, v91, 23, 0x3b800000
	s_delay_alu instid0(VALU_DEP_2) | instskip(NEXT) | instid1(VALU_DEP_1)
	v_lshlrev_b32_e32 v92, 20, v92
	v_or3_b32 v91, v90, v91, v92
.LBB6_4153:                             ;   in Loop: Header=BB6_3361 Depth=3
	s_or_b32 exec_lo, exec_lo, s16
	s_delay_alu instid0(VALU_DEP_1) | instskip(NEXT) | instid1(VALU_DEP_1)
	v_add_f32_e32 v90, v89, v91
	v_and_b32_e32 v89, 0x7f800000, v90
	s_delay_alu instid0(VALU_DEP_1)
	v_cmp_ne_u32_e32 vcc_lo, 0x7f800000, v89
	v_mov_b32_e32 v89, 0x80
	s_and_saveexec_b32 s16, vcc_lo
	s_cbranch_execz .LBB6_4161
; %bb.4154:                             ;   in Loop: Header=BB6_3361 Depth=3
	v_mov_b32_e32 v89, 0
	s_mov_b32 s17, exec_lo
	v_cmpx_ne_u32_e32 0, v90
	s_cbranch_execz .LBB6_4160
; %bb.4155:                             ;   in Loop: Header=BB6_3361 Depth=3
	v_bfe_u32 v89, v90, 23, 8
	s_delay_alu instid0(VALU_DEP_1) | instskip(SKIP_1) | instid1(VALU_DEP_2)
	v_sub_nc_u32_e32 v92, 0x78, v89
	v_cmp_gt_u32_e32 vcc_lo, 0x79, v89
	v_dual_cndmask_b32 v92, 0, v92 :: v_dual_and_b32 v91, 0x7fffff, v90
	s_delay_alu instid0(VALU_DEP_1) | instskip(SKIP_2) | instid1(VALU_DEP_4)
	v_or_b32_e32 v93, 0x800000, v91
	v_cmp_eq_u32_e32 vcc_lo, 0, v89
	v_add_nc_u32_e32 v89, 0xffffff89, v89
	v_cndmask_b32_e64 v92, v92, 0x77, vcc_lo
	s_delay_alu instid0(VALU_DEP_2) | instskip(SKIP_1) | instid1(VALU_DEP_3)
	v_cndmask_b32_e64 v89, v89, 0xffffff8a, vcc_lo
	v_cndmask_b32_e32 v91, v93, v91, vcc_lo
	v_lshl_add_u32 v93, 0x100000, v92, -1
	v_lshlrev_b32_e64 v104, v92, 0x80000
	s_delay_alu instid0(VALU_DEP_3) | instskip(SKIP_1) | instid1(VALU_DEP_4)
	v_lshrrev_b32_e32 v94, v92, v91
	v_add_nc_u32_e32 v92, v92, v89
	v_and_b32_e32 v91, v93, v91
	s_delay_alu instid0(VALU_DEP_3) | instskip(NEXT) | instid1(VALU_DEP_2)
	v_bfe_u32 v95, v94, 20, 1
	v_cmp_eq_u32_e64 s13, v91, v104
	s_delay_alu instid0(VALU_DEP_2) | instskip(NEXT) | instid1(VALU_DEP_1)
	v_add_nc_u32_e32 v93, -1, v95
	v_cndmask_b32_e64 v91, 0, v93, s13
	v_lshrrev_b32_e32 v93, 23, v94
	s_mov_b32 s13, exec_lo
	s_delay_alu instid0(VALU_DEP_2) | instskip(NEXT) | instid1(VALU_DEP_2)
	v_add_nc_u32_e32 v91, v91, v94
	v_xor_b32_e32 v93, 1, v93
	s_delay_alu instid0(VALU_DEP_2) | instskip(NEXT) | instid1(VALU_DEP_1)
	v_and_b32_e32 v89, 0xfffff, v91
	v_add_nc_u32_e32 v91, v89, v94
                                        ; implicit-def: $vgpr89
	s_delay_alu instid0(VALU_DEP_3)
	v_cmpx_ne_u32_e64 v92, v93
	s_xor_b32 s13, exec_lo, s13
; %bb.4156:                             ;   in Loop: Header=BB6_3361 Depth=3
	s_delay_alu instid0(VALU_DEP_2) | instskip(SKIP_2) | instid1(VALU_DEP_2)
	v_cmp_lt_u32_e32 vcc_lo, 0xffffff, v91
	v_sub_nc_u32_e32 v89, v92, v93
	v_cndmask_b32_e64 v92, 0, 1, vcc_lo
	v_add_co_ci_u32_e32 v89, vcc_lo, 0, v89, vcc_lo
	s_delay_alu instid0(VALU_DEP_2)
	v_lshrrev_b32_e32 v91, v92, v91
; %bb.4157:                             ;   in Loop: Header=BB6_3361 Depth=3
	s_and_not1_saveexec_b32 s13, s13
; %bb.4158:                             ;   in Loop: Header=BB6_3361 Depth=3
	s_delay_alu instid0(VALU_DEP_1)
	v_bfe_u32 v89, v91, 23, 1
; %bb.4159:                             ;   in Loop: Header=BB6_3361 Depth=3
	s_or_b32 exec_lo, exec_lo, s13
	v_lshrrev_b32_e32 v91, 20, v91
	s_delay_alu instid0(VALU_DEP_2) | instskip(SKIP_2) | instid1(VALU_DEP_2)
	v_cmp_gt_i32_e32 vcc_lo, 16, v89
	v_lshrrev_b32_e32 v90, 24, v90
	v_min_i32_e32 v92, 15, v89
	v_dual_cndmask_b32 v91, 7, v91 :: v_dual_and_b32 v90, 0x80, v90
	s_delay_alu instid0(VALU_DEP_1) | instskip(SKIP_1) | instid1(VALU_DEP_2)
	v_or_b32_e32 v89, v89, v91
	v_and_b32_e32 v93, 7, v91
	v_cmp_ne_u32_e32 vcc_lo, 0, v89
	v_lshlrev_b32_e32 v92, 3, v92
	s_delay_alu instid0(VALU_DEP_1) | instskip(NEXT) | instid1(VALU_DEP_1)
	v_or3_b32 v90, v92, v90, v93
	v_cndmask_b32_e32 v89, 0, v90, vcc_lo
.LBB6_4160:                             ;   in Loop: Header=BB6_3361 Depth=3
	s_or_b32 exec_lo, exec_lo, s17
.LBB6_4161:                             ;   in Loop: Header=BB6_3361 Depth=3
	s_delay_alu instid0(SALU_CYCLE_1) | instskip(SKIP_3) | instid1(VALU_DEP_1)
	s_or_b32 exec_lo, exec_lo, s16
	v_lshrrev_b32_e32 v91, 16, v12
	s_mov_b32 s13, 0
	s_mov_b32 s17, exec_lo
                                        ; implicit-def: $sgpr16
	v_and_b32_e32 v92, 0xff, v91
	s_delay_alu instid0(VALU_DEP_1)
	v_cmpx_lt_i16_e32 0x7f, v92
	s_xor_b32 s17, exec_lo, s17
	s_cbranch_execnz .LBB6_4783
; %bb.4162:                             ;   in Loop: Header=BB6_3361 Depth=3
	s_or_saveexec_b32 s17, s17
	v_mov_b32_e32 v90, s16
	s_xor_b32 exec_lo, exec_lo, s17
	s_cbranch_execnz .LBB6_4786
.LBB6_4163:                             ;   in Loop: Header=BB6_3361 Depth=3
	s_or_b32 exec_lo, exec_lo, s17
	s_and_saveexec_b32 s16, s13
	s_cbranch_execz .LBB6_4165
.LBB6_4164:                             ;   in Loop: Header=BB6_3361 Depth=3
	v_bfe_u32 v90, v12, 16, 3
	v_lshlrev_b32_e32 v94, 8, v12
	s_delay_alu instid0(VALU_DEP_2) | instskip(NEXT) | instid1(VALU_DEP_1)
	v_clz_i32_u32_e32 v92, v90
	v_min_u32_e32 v92, 32, v92
	s_delay_alu instid0(VALU_DEP_1) | instskip(SKIP_1) | instid1(VALU_DEP_2)
	v_subrev_nc_u32_e32 v93, 28, v92
	v_sub_nc_u32_e32 v92, 29, v92
	v_lshlrev_b32_e32 v91, v93, v91
	v_bfe_u32 v93, v12, 19, 4
	s_delay_alu instid0(VALU_DEP_1) | instskip(NEXT) | instid1(VALU_DEP_3)
	v_cmp_eq_u32_e32 vcc_lo, 0, v93
	v_dual_cndmask_b32 v92, v93, v92 :: v_dual_and_b32 v91, 7, v91
	s_delay_alu instid0(VALU_DEP_1) | instskip(NEXT) | instid1(VALU_DEP_2)
	v_dual_cndmask_b32 v90, v90, v91 :: v_dual_and_b32 v91, 0x80000000, v94
	v_lshl_add_u32 v92, v92, 23, 0x3b800000
	s_delay_alu instid0(VALU_DEP_2) | instskip(NEXT) | instid1(VALU_DEP_1)
	v_lshlrev_b32_e32 v90, 20, v90
	v_or3_b32 v90, v91, v92, v90
.LBB6_4165:                             ;   in Loop: Header=BB6_3361 Depth=3
	s_or_b32 exec_lo, exec_lo, s16
	v_lshrrev_b32_e32 v91, 16, v8
	s_mov_b32 s13, 0
	s_mov_b32 s17, exec_lo
                                        ; implicit-def: $sgpr16
	s_delay_alu instid0(VALU_DEP_1) | instskip(NEXT) | instid1(VALU_DEP_1)
	v_and_b32_e32 v93, 0xff, v91
	v_cmpx_lt_i16_e32 0x7f, v93
	s_xor_b32 s17, exec_lo, s17
	s_cbranch_execnz .LBB6_4787
; %bb.4166:                             ;   in Loop: Header=BB6_3361 Depth=3
	s_or_saveexec_b32 s17, s17
	v_mov_b32_e32 v92, s16
	s_xor_b32 exec_lo, exec_lo, s17
	s_cbranch_execnz .LBB6_4790
.LBB6_4167:                             ;   in Loop: Header=BB6_3361 Depth=3
	s_or_b32 exec_lo, exec_lo, s17
	s_and_saveexec_b32 s16, s13
	s_cbranch_execz .LBB6_4169
.LBB6_4168:                             ;   in Loop: Header=BB6_3361 Depth=3
	v_bfe_u32 v92, v8, 16, 3
	v_lshlrev_b32_e32 v95, 8, v8
	s_delay_alu instid0(VALU_DEP_2) | instskip(NEXT) | instid1(VALU_DEP_1)
	v_clz_i32_u32_e32 v93, v92
	v_min_u32_e32 v93, 32, v93
	s_delay_alu instid0(VALU_DEP_1) | instskip(SKIP_1) | instid1(VALU_DEP_2)
	v_subrev_nc_u32_e32 v94, 28, v93
	v_sub_nc_u32_e32 v93, 29, v93
	v_lshlrev_b32_e32 v91, v94, v91
	v_bfe_u32 v94, v8, 19, 4
	s_delay_alu instid0(VALU_DEP_2) | instskip(NEXT) | instid1(VALU_DEP_2)
	v_and_b32_e32 v91, 7, v91
	v_cmp_eq_u32_e32 vcc_lo, 0, v94
	v_cndmask_b32_e32 v93, v94, v93, vcc_lo
	s_delay_alu instid0(VALU_DEP_3) | instskip(SKIP_1) | instid1(VALU_DEP_3)
	v_cndmask_b32_e32 v91, v92, v91, vcc_lo
	v_and_b32_e32 v92, 0x80000000, v95
	v_lshl_add_u32 v93, v93, 23, 0x3b800000
	s_delay_alu instid0(VALU_DEP_3) | instskip(NEXT) | instid1(VALU_DEP_1)
	v_lshlrev_b32_e32 v91, 20, v91
	v_or3_b32 v92, v92, v93, v91
.LBB6_4169:                             ;   in Loop: Header=BB6_3361 Depth=3
	s_or_b32 exec_lo, exec_lo, s16
	s_delay_alu instid0(VALU_DEP_1) | instskip(NEXT) | instid1(VALU_DEP_1)
	v_add_f32_e32 v91, v90, v92
	v_and_b32_e32 v90, 0x7f800000, v91
	s_delay_alu instid0(VALU_DEP_1)
	v_cmp_ne_u32_e32 vcc_lo, 0x7f800000, v90
	v_mov_b32_e32 v90, 0x80
	s_and_saveexec_b32 s16, vcc_lo
	s_cbranch_execz .LBB6_4177
; %bb.4170:                             ;   in Loop: Header=BB6_3361 Depth=3
	v_mov_b32_e32 v90, 0
	s_mov_b32 s17, exec_lo
	v_cmpx_ne_u32_e32 0, v91
	s_cbranch_execz .LBB6_4176
; %bb.4171:                             ;   in Loop: Header=BB6_3361 Depth=3
	v_bfe_u32 v90, v91, 23, 8
	s_delay_alu instid0(VALU_DEP_1) | instskip(SKIP_1) | instid1(VALU_DEP_2)
	v_sub_nc_u32_e32 v93, 0x78, v90
	v_cmp_gt_u32_e32 vcc_lo, 0x79, v90
	v_dual_cndmask_b32 v93, 0, v93 :: v_dual_and_b32 v92, 0x7fffff, v91
	s_delay_alu instid0(VALU_DEP_1) | instskip(SKIP_2) | instid1(VALU_DEP_4)
	v_or_b32_e32 v94, 0x800000, v92
	v_cmp_eq_u32_e32 vcc_lo, 0, v90
	v_add_nc_u32_e32 v90, 0xffffff89, v90
	v_cndmask_b32_e64 v93, v93, 0x77, vcc_lo
	s_delay_alu instid0(VALU_DEP_2) | instskip(SKIP_1) | instid1(VALU_DEP_3)
	v_cndmask_b32_e64 v90, v90, 0xffffff8a, vcc_lo
	v_cndmask_b32_e32 v92, v94, v92, vcc_lo
	v_lshl_add_u32 v94, 0x100000, v93, -1
	v_lshlrev_b32_e64 v105, v93, 0x80000
	s_delay_alu instid0(VALU_DEP_3) | instskip(SKIP_1) | instid1(VALU_DEP_4)
	v_lshrrev_b32_e32 v95, v93, v92
	v_add_nc_u32_e32 v93, v93, v90
	v_and_b32_e32 v92, v94, v92
	s_delay_alu instid0(VALU_DEP_3) | instskip(NEXT) | instid1(VALU_DEP_2)
	v_bfe_u32 v104, v95, 20, 1
	v_cmp_eq_u32_e64 s13, v92, v105
	s_delay_alu instid0(VALU_DEP_2) | instskip(NEXT) | instid1(VALU_DEP_1)
	v_add_nc_u32_e32 v94, -1, v104
	v_cndmask_b32_e64 v92, 0, v94, s13
	v_lshrrev_b32_e32 v94, 23, v95
	s_mov_b32 s13, exec_lo
	s_delay_alu instid0(VALU_DEP_2) | instskip(NEXT) | instid1(VALU_DEP_2)
	v_add_nc_u32_e32 v92, v92, v95
	v_xor_b32_e32 v94, 1, v94
	s_delay_alu instid0(VALU_DEP_2) | instskip(NEXT) | instid1(VALU_DEP_1)
	v_and_b32_e32 v90, 0xfffff, v92
	v_add_nc_u32_e32 v92, v90, v95
                                        ; implicit-def: $vgpr90
	s_delay_alu instid0(VALU_DEP_3)
	v_cmpx_ne_u32_e64 v93, v94
	s_xor_b32 s13, exec_lo, s13
; %bb.4172:                             ;   in Loop: Header=BB6_3361 Depth=3
	s_delay_alu instid0(VALU_DEP_2) | instskip(SKIP_2) | instid1(VALU_DEP_2)
	v_cmp_lt_u32_e32 vcc_lo, 0xffffff, v92
	v_sub_nc_u32_e32 v90, v93, v94
	v_cndmask_b32_e64 v93, 0, 1, vcc_lo
	v_add_co_ci_u32_e32 v90, vcc_lo, 0, v90, vcc_lo
	s_delay_alu instid0(VALU_DEP_2)
	v_lshrrev_b32_e32 v92, v93, v92
; %bb.4173:                             ;   in Loop: Header=BB6_3361 Depth=3
	s_and_not1_saveexec_b32 s13, s13
; %bb.4174:                             ;   in Loop: Header=BB6_3361 Depth=3
	s_delay_alu instid0(VALU_DEP_1)
	v_bfe_u32 v90, v92, 23, 1
; %bb.4175:                             ;   in Loop: Header=BB6_3361 Depth=3
	s_or_b32 exec_lo, exec_lo, s13
	v_lshrrev_b32_e32 v92, 20, v92
	s_delay_alu instid0(VALU_DEP_2) | instskip(SKIP_2) | instid1(VALU_DEP_2)
	v_cmp_gt_i32_e32 vcc_lo, 16, v90
	v_lshrrev_b32_e32 v91, 24, v91
	v_min_i32_e32 v93, 15, v90
	v_dual_cndmask_b32 v92, 7, v92 :: v_dual_and_b32 v91, 0x80, v91
	s_delay_alu instid0(VALU_DEP_1) | instskip(SKIP_1) | instid1(VALU_DEP_2)
	v_or_b32_e32 v90, v90, v92
	v_and_b32_e32 v94, 7, v92
	v_cmp_ne_u32_e32 vcc_lo, 0, v90
	v_lshlrev_b32_e32 v93, 3, v93
	s_delay_alu instid0(VALU_DEP_1) | instskip(NEXT) | instid1(VALU_DEP_1)
	v_or3_b32 v91, v93, v91, v94
	v_cndmask_b32_e32 v90, 0, v91, vcc_lo
.LBB6_4176:                             ;   in Loop: Header=BB6_3361 Depth=3
	s_or_b32 exec_lo, exec_lo, s17
.LBB6_4177:                             ;   in Loop: Header=BB6_3361 Depth=3
	s_delay_alu instid0(SALU_CYCLE_1) | instskip(SKIP_3) | instid1(VALU_DEP_1)
	s_or_b32 exec_lo, exec_lo, s16
	v_lshrrev_b32_e32 v92, 24, v12
	s_mov_b32 s13, 0
	s_mov_b32 s17, exec_lo
                                        ; implicit-def: $sgpr16
	v_cmpx_lt_i16_e32 0x7f, v92
	s_xor_b32 s17, exec_lo, s17
	s_cbranch_execnz .LBB6_4791
; %bb.4178:                             ;   in Loop: Header=BB6_3361 Depth=3
	s_or_saveexec_b32 s17, s17
	v_mov_b32_e32 v91, s16
	s_xor_b32 exec_lo, exec_lo, s17
	s_cbranch_execnz .LBB6_4794
.LBB6_4179:                             ;   in Loop: Header=BB6_3361 Depth=3
	s_or_b32 exec_lo, exec_lo, s17
	s_and_saveexec_b32 s16, s13
	s_cbranch_execz .LBB6_4181
.LBB6_4180:                             ;   in Loop: Header=BB6_3361 Depth=3
	v_bfe_u32 v91, v12, 24, 3
	s_delay_alu instid0(VALU_DEP_1) | instskip(NEXT) | instid1(VALU_DEP_1)
	v_clz_i32_u32_e32 v93, v91
	v_min_u32_e32 v93, 32, v93
	s_delay_alu instid0(VALU_DEP_1) | instskip(SKIP_1) | instid1(VALU_DEP_2)
	v_subrev_nc_u32_e32 v94, 28, v93
	v_sub_nc_u32_e32 v93, 29, v93
	v_lshlrev_b32_e32 v92, v94, v92
	v_bfe_u32 v94, v12, 27, 4
	v_and_b32_e32 v12, 0x80000000, v12
	s_delay_alu instid0(VALU_DEP_2) | instskip(NEXT) | instid1(VALU_DEP_4)
	v_cmp_eq_u32_e32 vcc_lo, 0, v94
	v_dual_cndmask_b32 v93, v94, v93 :: v_dual_and_b32 v92, 7, v92
	s_delay_alu instid0(VALU_DEP_1) | instskip(NEXT) | instid1(VALU_DEP_2)
	v_cndmask_b32_e32 v91, v91, v92, vcc_lo
	v_lshl_add_u32 v92, v93, 23, 0x3b800000
	s_delay_alu instid0(VALU_DEP_2) | instskip(NEXT) | instid1(VALU_DEP_1)
	v_lshlrev_b32_e32 v91, 20, v91
	v_or3_b32 v91, v12, v92, v91
.LBB6_4181:                             ;   in Loop: Header=BB6_3361 Depth=3
	s_or_b32 exec_lo, exec_lo, s16
	v_lshrrev_b32_e32 v12, 24, v8
	s_mov_b32 s13, 0
	s_mov_b32 s17, exec_lo
                                        ; implicit-def: $sgpr16
	s_delay_alu instid0(VALU_DEP_1)
	v_cmpx_lt_i16_e32 0x7f, v12
	s_xor_b32 s17, exec_lo, s17
	s_cbranch_execnz .LBB6_4795
; %bb.4182:                             ;   in Loop: Header=BB6_3361 Depth=3
	s_or_saveexec_b32 s17, s17
	v_mov_b32_e32 v92, s16
	s_xor_b32 exec_lo, exec_lo, s17
	s_cbranch_execnz .LBB6_4798
.LBB6_4183:                             ;   in Loop: Header=BB6_3361 Depth=3
	s_or_b32 exec_lo, exec_lo, s17
	s_and_saveexec_b32 s16, s13
	s_cbranch_execz .LBB6_4185
.LBB6_4184:                             ;   in Loop: Header=BB6_3361 Depth=3
	v_bfe_u32 v92, v8, 24, 3
	s_delay_alu instid0(VALU_DEP_1) | instskip(NEXT) | instid1(VALU_DEP_1)
	v_clz_i32_u32_e32 v93, v92
	v_min_u32_e32 v93, 32, v93
	s_delay_alu instid0(VALU_DEP_1) | instskip(SKIP_1) | instid1(VALU_DEP_2)
	v_subrev_nc_u32_e32 v94, 28, v93
	v_sub_nc_u32_e32 v93, 29, v93
	v_lshlrev_b32_e32 v12, v94, v12
	v_bfe_u32 v94, v8, 27, 4
	v_and_b32_e32 v8, 0x80000000, v8
	s_delay_alu instid0(VALU_DEP_2) | instskip(NEXT) | instid1(VALU_DEP_4)
	v_cmp_eq_u32_e32 vcc_lo, 0, v94
	v_dual_cndmask_b32 v93, v94, v93 :: v_dual_and_b32 v12, 7, v12
	s_delay_alu instid0(VALU_DEP_1) | instskip(NEXT) | instid1(VALU_DEP_2)
	v_cndmask_b32_e32 v12, v92, v12, vcc_lo
	v_lshl_add_u32 v92, v93, 23, 0x3b800000
	s_delay_alu instid0(VALU_DEP_2) | instskip(NEXT) | instid1(VALU_DEP_1)
	v_lshlrev_b32_e32 v12, 20, v12
	v_or3_b32 v92, v8, v92, v12
.LBB6_4185:                             ;   in Loop: Header=BB6_3361 Depth=3
	s_or_b32 exec_lo, exec_lo, s16
	s_delay_alu instid0(VALU_DEP_1) | instskip(NEXT) | instid1(VALU_DEP_1)
	v_add_f32_e32 v12, v91, v92
	v_and_b32_e32 v8, 0x7f800000, v12
	s_delay_alu instid0(VALU_DEP_1)
	v_cmp_ne_u32_e32 vcc_lo, 0x7f800000, v8
	v_mov_b32_e32 v8, 0x80
	s_and_saveexec_b32 s16, vcc_lo
	s_cbranch_execz .LBB6_4193
; %bb.4186:                             ;   in Loop: Header=BB6_3361 Depth=3
	v_mov_b32_e32 v8, 0
	s_mov_b32 s17, exec_lo
	v_cmpx_ne_u32_e32 0, v12
	s_cbranch_execz .LBB6_4192
; %bb.4187:                             ;   in Loop: Header=BB6_3361 Depth=3
	v_bfe_u32 v8, v12, 23, 8
	v_and_b32_e32 v91, 0x7fffff, v12
	s_delay_alu instid0(VALU_DEP_2) | instskip(SKIP_1) | instid1(VALU_DEP_3)
	v_sub_nc_u32_e32 v92, 0x78, v8
	v_cmp_gt_u32_e32 vcc_lo, 0x79, v8
	v_or_b32_e32 v93, 0x800000, v91
	s_delay_alu instid0(VALU_DEP_3) | instskip(SKIP_1) | instid1(VALU_DEP_3)
	v_cndmask_b32_e32 v92, 0, v92, vcc_lo
	v_cmp_eq_u32_e32 vcc_lo, 0, v8
	v_dual_cndmask_b32 v91, v93, v91 :: v_dual_add_nc_u32 v8, 0xffffff89, v8
	s_delay_alu instid0(VALU_DEP_3) | instskip(NEXT) | instid1(VALU_DEP_2)
	v_cndmask_b32_e64 v92, v92, 0x77, vcc_lo
	v_cndmask_b32_e64 v8, v8, 0xffffff8a, vcc_lo
	s_delay_alu instid0(VALU_DEP_2) | instskip(SKIP_2) | instid1(VALU_DEP_4)
	v_lshrrev_b32_e32 v94, v92, v91
	v_lshl_add_u32 v93, 0x100000, v92, -1
	v_lshlrev_b32_e64 v104, v92, 0x80000
	v_add_nc_u32_e32 v92, v92, v8
	s_delay_alu instid0(VALU_DEP_4) | instskip(NEXT) | instid1(VALU_DEP_4)
	v_bfe_u32 v95, v94, 20, 1
	v_and_b32_e32 v91, v93, v91
	s_delay_alu instid0(VALU_DEP_2) | instskip(NEXT) | instid1(VALU_DEP_2)
	v_add_nc_u32_e32 v93, -1, v95
	v_cmp_eq_u32_e64 s13, v91, v104
	s_delay_alu instid0(VALU_DEP_1) | instskip(SKIP_2) | instid1(VALU_DEP_2)
	v_cndmask_b32_e64 v91, 0, v93, s13
	v_lshrrev_b32_e32 v93, 23, v94
	s_mov_b32 s13, exec_lo
	v_add_nc_u32_e32 v91, v91, v94
	s_delay_alu instid0(VALU_DEP_2) | instskip(NEXT) | instid1(VALU_DEP_2)
	v_xor_b32_e32 v93, 1, v93
	v_and_b32_e32 v8, 0xfffff, v91
	s_delay_alu instid0(VALU_DEP_1) | instskip(NEXT) | instid1(VALU_DEP_3)
	v_add_nc_u32_e32 v91, v8, v94
                                        ; implicit-def: $vgpr8
	v_cmpx_ne_u32_e64 v92, v93
	s_xor_b32 s13, exec_lo, s13
; %bb.4188:                             ;   in Loop: Header=BB6_3361 Depth=3
	s_delay_alu instid0(VALU_DEP_2) | instskip(SKIP_2) | instid1(VALU_DEP_2)
	v_cmp_lt_u32_e32 vcc_lo, 0xffffff, v91
	v_sub_nc_u32_e32 v8, v92, v93
	v_cndmask_b32_e64 v92, 0, 1, vcc_lo
	v_add_co_ci_u32_e32 v8, vcc_lo, 0, v8, vcc_lo
	s_delay_alu instid0(VALU_DEP_2)
	v_lshrrev_b32_e32 v91, v92, v91
; %bb.4189:                             ;   in Loop: Header=BB6_3361 Depth=3
	s_and_not1_saveexec_b32 s13, s13
; %bb.4190:                             ;   in Loop: Header=BB6_3361 Depth=3
	s_delay_alu instid0(VALU_DEP_1)
	v_bfe_u32 v8, v91, 23, 1
; %bb.4191:                             ;   in Loop: Header=BB6_3361 Depth=3
	s_or_b32 exec_lo, exec_lo, s13
	v_lshrrev_b32_e32 v91, 20, v91
	s_delay_alu instid0(VALU_DEP_2) | instskip(SKIP_2) | instid1(VALU_DEP_2)
	v_cmp_gt_i32_e32 vcc_lo, 16, v8
	v_lshrrev_b32_e32 v12, 24, v12
	v_min_i32_e32 v92, 15, v8
	v_dual_cndmask_b32 v91, 7, v91 :: v_dual_and_b32 v12, 0x80, v12
	s_delay_alu instid0(VALU_DEP_2) | instskip(NEXT) | instid1(VALU_DEP_2)
	v_lshlrev_b32_e32 v92, 3, v92
	v_or_b32_e32 v8, v8, v91
	s_delay_alu instid0(VALU_DEP_1) | instskip(SKIP_1) | instid1(VALU_DEP_1)
	v_cmp_ne_u32_e32 vcc_lo, 0, v8
	v_and_b32_e32 v93, 7, v91
	v_or3_b32 v12, v92, v12, v93
	s_delay_alu instid0(VALU_DEP_1)
	v_cndmask_b32_e32 v8, 0, v12, vcc_lo
.LBB6_4192:                             ;   in Loop: Header=BB6_3361 Depth=3
	s_or_b32 exec_lo, exec_lo, s17
.LBB6_4193:                             ;   in Loop: Header=BB6_3361 Depth=3
	s_delay_alu instid0(SALU_CYCLE_1) | instskip(SKIP_3) | instid1(VALU_DEP_1)
	s_or_b32 exec_lo, exec_lo, s16
	v_and_b32_e32 v91, 0xff, v13
	s_mov_b32 s13, 0
	s_mov_b32 s17, exec_lo
                                        ; implicit-def: $sgpr16
	v_cmpx_lt_i16_e32 0x7f, v91
	s_xor_b32 s17, exec_lo, s17
	s_cbranch_execnz .LBB6_4799
; %bb.4194:                             ;   in Loop: Header=BB6_3361 Depth=3
	s_or_saveexec_b32 s17, s17
	v_mov_b32_e32 v12, s16
	s_xor_b32 exec_lo, exec_lo, s17
	s_cbranch_execnz .LBB6_4802
.LBB6_4195:                             ;   in Loop: Header=BB6_3361 Depth=3
	s_or_b32 exec_lo, exec_lo, s17
	s_and_saveexec_b32 s16, s13
	s_cbranch_execz .LBB6_4197
.LBB6_4196:                             ;   in Loop: Header=BB6_3361 Depth=3
	v_bfe_u32 v93, v13, 3, 4
	v_lshlrev_b32_e32 v94, 24, v13
	s_delay_alu instid0(VALU_DEP_2) | instskip(SKIP_1) | instid1(VALU_DEP_1)
	v_cmp_eq_u32_e32 vcc_lo, 0, v93
	v_and_b32_e32 v12, 7, v13
	v_clz_i32_u32_e32 v91, v12
	s_delay_alu instid0(VALU_DEP_1) | instskip(NEXT) | instid1(VALU_DEP_1)
	v_min_u32_e32 v91, 32, v91
	v_subrev_nc_u32_e32 v92, 28, v91
	v_sub_nc_u32_e32 v91, 29, v91
	s_delay_alu instid0(VALU_DEP_1) | instskip(NEXT) | instid1(VALU_DEP_1)
	v_dual_cndmask_b32 v91, v93, v91 :: v_dual_lshlrev_b32 v92, v92, v13
	v_and_b32_e32 v92, 7, v92
	s_delay_alu instid0(VALU_DEP_2) | instskip(NEXT) | instid1(VALU_DEP_2)
	v_lshl_add_u32 v91, v91, 23, 0x3b800000
	v_cndmask_b32_e32 v12, v12, v92, vcc_lo
	v_and_b32_e32 v92, 0x80000000, v94
	s_delay_alu instid0(VALU_DEP_2) | instskip(NEXT) | instid1(VALU_DEP_1)
	v_lshlrev_b32_e32 v12, 20, v12
	v_or3_b32 v12, v92, v91, v12
.LBB6_4197:                             ;   in Loop: Header=BB6_3361 Depth=3
	s_or_b32 exec_lo, exec_lo, s16
	v_and_b32_e32 v92, 0xff, v9
	s_mov_b32 s13, 0
	s_mov_b32 s17, exec_lo
                                        ; implicit-def: $sgpr16
	s_delay_alu instid0(VALU_DEP_1)
	v_cmpx_lt_i16_e32 0x7f, v92
	s_xor_b32 s17, exec_lo, s17
	s_cbranch_execnz .LBB6_4803
; %bb.4198:                             ;   in Loop: Header=BB6_3361 Depth=3
	s_or_saveexec_b32 s17, s17
	v_mov_b32_e32 v91, s16
	s_xor_b32 exec_lo, exec_lo, s17
	s_cbranch_execnz .LBB6_4806
.LBB6_4199:                             ;   in Loop: Header=BB6_3361 Depth=3
	s_or_b32 exec_lo, exec_lo, s17
	s_and_saveexec_b32 s16, s13
	s_cbranch_execz .LBB6_4201
.LBB6_4200:                             ;   in Loop: Header=BB6_3361 Depth=3
	v_bfe_u32 v94, v9, 3, 4
	v_lshlrev_b32_e32 v95, 24, v9
	s_delay_alu instid0(VALU_DEP_2) | instskip(SKIP_1) | instid1(VALU_DEP_1)
	v_cmp_eq_u32_e32 vcc_lo, 0, v94
	v_and_b32_e32 v91, 7, v9
	v_clz_i32_u32_e32 v92, v91
	s_delay_alu instid0(VALU_DEP_1) | instskip(NEXT) | instid1(VALU_DEP_1)
	v_min_u32_e32 v92, 32, v92
	v_subrev_nc_u32_e32 v93, 28, v92
	v_sub_nc_u32_e32 v92, 29, v92
	s_delay_alu instid0(VALU_DEP_1) | instskip(NEXT) | instid1(VALU_DEP_1)
	v_dual_cndmask_b32 v92, v94, v92 :: v_dual_lshlrev_b32 v93, v93, v9
	v_and_b32_e32 v93, 7, v93
	s_delay_alu instid0(VALU_DEP_2) | instskip(NEXT) | instid1(VALU_DEP_2)
	v_lshl_add_u32 v92, v92, 23, 0x3b800000
	v_cndmask_b32_e32 v91, v91, v93, vcc_lo
	v_and_b32_e32 v93, 0x80000000, v95
	s_delay_alu instid0(VALU_DEP_2) | instskip(NEXT) | instid1(VALU_DEP_1)
	v_lshlrev_b32_e32 v91, 20, v91
	v_or3_b32 v91, v93, v92, v91
.LBB6_4201:                             ;   in Loop: Header=BB6_3361 Depth=3
	s_or_b32 exec_lo, exec_lo, s16
	s_delay_alu instid0(VALU_DEP_1) | instskip(NEXT) | instid1(VALU_DEP_1)
	v_add_f32_e32 v91, v12, v91
	v_and_b32_e32 v12, 0x7f800000, v91
	s_delay_alu instid0(VALU_DEP_1)
	v_cmp_ne_u32_e32 vcc_lo, 0x7f800000, v12
	v_mov_b32_e32 v12, 0x80
	s_and_saveexec_b32 s16, vcc_lo
	s_cbranch_execz .LBB6_4209
; %bb.4202:                             ;   in Loop: Header=BB6_3361 Depth=3
	v_mov_b32_e32 v12, 0
	s_mov_b32 s17, exec_lo
	v_cmpx_ne_u32_e32 0, v91
	s_cbranch_execz .LBB6_4208
; %bb.4203:                             ;   in Loop: Header=BB6_3361 Depth=3
	v_bfe_u32 v12, v91, 23, 8
	s_delay_alu instid0(VALU_DEP_1) | instskip(SKIP_1) | instid1(VALU_DEP_2)
	v_sub_nc_u32_e32 v93, 0x78, v12
	v_cmp_gt_u32_e32 vcc_lo, 0x79, v12
	v_dual_cndmask_b32 v93, 0, v93 :: v_dual_and_b32 v92, 0x7fffff, v91
	s_delay_alu instid0(VALU_DEP_1) | instskip(SKIP_2) | instid1(VALU_DEP_4)
	v_or_b32_e32 v94, 0x800000, v92
	v_cmp_eq_u32_e32 vcc_lo, 0, v12
	v_add_nc_u32_e32 v12, 0xffffff89, v12
	v_cndmask_b32_e64 v93, v93, 0x77, vcc_lo
	s_delay_alu instid0(VALU_DEP_4) | instskip(NEXT) | instid1(VALU_DEP_3)
	v_cndmask_b32_e32 v92, v94, v92, vcc_lo
	v_cndmask_b32_e64 v12, v12, 0xffffff8a, vcc_lo
	s_delay_alu instid0(VALU_DEP_3) | instskip(NEXT) | instid1(VALU_DEP_3)
	v_lshl_add_u32 v94, 0x100000, v93, -1
	v_lshrrev_b32_e32 v95, v93, v92
	v_lshlrev_b32_e64 v105, v93, 0x80000
	s_delay_alu instid0(VALU_DEP_4) | instskip(NEXT) | instid1(VALU_DEP_4)
	v_add_nc_u32_e32 v93, v93, v12
	v_and_b32_e32 v92, v94, v92
	s_delay_alu instid0(VALU_DEP_4) | instskip(NEXT) | instid1(VALU_DEP_2)
	v_bfe_u32 v104, v95, 20, 1
	v_cmp_eq_u32_e64 s13, v92, v105
	s_delay_alu instid0(VALU_DEP_2) | instskip(NEXT) | instid1(VALU_DEP_1)
	v_add_nc_u32_e32 v94, -1, v104
	v_cndmask_b32_e64 v92, 0, v94, s13
	v_lshrrev_b32_e32 v94, 23, v95
	s_mov_b32 s13, exec_lo
	s_delay_alu instid0(VALU_DEP_2) | instskip(NEXT) | instid1(VALU_DEP_2)
	v_add_nc_u32_e32 v92, v92, v95
	v_xor_b32_e32 v94, 1, v94
	s_delay_alu instid0(VALU_DEP_2) | instskip(NEXT) | instid1(VALU_DEP_1)
	v_and_b32_e32 v12, 0xfffff, v92
	v_add_nc_u32_e32 v92, v12, v95
                                        ; implicit-def: $vgpr12
	s_delay_alu instid0(VALU_DEP_3)
	v_cmpx_ne_u32_e64 v93, v94
	s_xor_b32 s13, exec_lo, s13
; %bb.4204:                             ;   in Loop: Header=BB6_3361 Depth=3
	s_delay_alu instid0(VALU_DEP_2) | instskip(SKIP_2) | instid1(VALU_DEP_2)
	v_cmp_lt_u32_e32 vcc_lo, 0xffffff, v92
	v_sub_nc_u32_e32 v12, v93, v94
	v_cndmask_b32_e64 v93, 0, 1, vcc_lo
	v_add_co_ci_u32_e32 v12, vcc_lo, 0, v12, vcc_lo
	s_delay_alu instid0(VALU_DEP_2)
	v_lshrrev_b32_e32 v92, v93, v92
; %bb.4205:                             ;   in Loop: Header=BB6_3361 Depth=3
	s_and_not1_saveexec_b32 s13, s13
; %bb.4206:                             ;   in Loop: Header=BB6_3361 Depth=3
	s_delay_alu instid0(VALU_DEP_1)
	v_bfe_u32 v12, v92, 23, 1
; %bb.4207:                             ;   in Loop: Header=BB6_3361 Depth=3
	s_or_b32 exec_lo, exec_lo, s13
	v_lshrrev_b32_e32 v92, 20, v92
	s_delay_alu instid0(VALU_DEP_2) | instskip(SKIP_2) | instid1(VALU_DEP_2)
	v_cmp_gt_i32_e32 vcc_lo, 16, v12
	v_lshrrev_b32_e32 v91, 24, v91
	v_min_i32_e32 v93, 15, v12
	v_dual_cndmask_b32 v92, 7, v92 :: v_dual_and_b32 v91, 0x80, v91
	s_delay_alu instid0(VALU_DEP_1) | instskip(SKIP_1) | instid1(VALU_DEP_2)
	v_or_b32_e32 v12, v12, v92
	v_and_b32_e32 v94, 7, v92
	v_cmp_ne_u32_e32 vcc_lo, 0, v12
	v_lshlrev_b32_e32 v93, 3, v93
	s_delay_alu instid0(VALU_DEP_1) | instskip(NEXT) | instid1(VALU_DEP_1)
	v_or3_b32 v91, v93, v91, v94
	v_cndmask_b32_e32 v12, 0, v91, vcc_lo
.LBB6_4208:                             ;   in Loop: Header=BB6_3361 Depth=3
	s_or_b32 exec_lo, exec_lo, s17
.LBB6_4209:                             ;   in Loop: Header=BB6_3361 Depth=3
	s_delay_alu instid0(SALU_CYCLE_1) | instskip(SKIP_3) | instid1(VALU_DEP_1)
	s_or_b32 exec_lo, exec_lo, s16
	v_lshrrev_b16 v92, 8, v13
	s_mov_b32 s13, 0
	s_mov_b32 s17, exec_lo
                                        ; implicit-def: $sgpr16
	v_cmpx_lt_i16_e32 0x7f, v92
	s_xor_b32 s17, exec_lo, s17
	s_cbranch_execnz .LBB6_4807
; %bb.4210:                             ;   in Loop: Header=BB6_3361 Depth=3
	s_or_saveexec_b32 s17, s17
	v_mov_b32_e32 v91, s16
	s_xor_b32 exec_lo, exec_lo, s17
	s_cbranch_execnz .LBB6_4810
.LBB6_4211:                             ;   in Loop: Header=BB6_3361 Depth=3
	s_or_b32 exec_lo, exec_lo, s17
	s_and_saveexec_b32 s16, s13
	s_cbranch_execz .LBB6_4213
.LBB6_4212:                             ;   in Loop: Header=BB6_3361 Depth=3
	v_and_b32_e32 v91, 0xffff, v92
	s_delay_alu instid0(VALU_DEP_1) | instskip(NEXT) | instid1(VALU_DEP_1)
	v_and_b32_e32 v93, 7, v91
	v_clz_i32_u32_e32 v94, v93
	s_delay_alu instid0(VALU_DEP_1) | instskip(NEXT) | instid1(VALU_DEP_1)
	v_min_u32_e32 v94, 32, v94
	v_subrev_nc_u32_e32 v95, 28, v94
	v_sub_nc_u32_e32 v94, 29, v94
	s_delay_alu instid0(VALU_DEP_2) | instskip(SKIP_1) | instid1(VALU_DEP_2)
	v_lshlrev_b32_e32 v95, v95, v91
	v_bfe_u32 v91, v91, 3, 4
	v_and_b32_e32 v95, 7, v95
	s_delay_alu instid0(VALU_DEP_2) | instskip(SKIP_1) | instid1(VALU_DEP_1)
	v_cmp_eq_u32_e32 vcc_lo, 0, v91
	v_dual_cndmask_b32 v91, v91, v94 :: v_dual_lshlrev_b32 v92, 24, v92
	v_dual_cndmask_b32 v93, v93, v95 :: v_dual_and_b32 v92, 0x80000000, v92
	s_delay_alu instid0(VALU_DEP_2) | instskip(NEXT) | instid1(VALU_DEP_2)
	v_lshl_add_u32 v91, v91, 23, 0x3b800000
	v_lshlrev_b32_e32 v93, 20, v93
	s_delay_alu instid0(VALU_DEP_1)
	v_or3_b32 v91, v92, v91, v93
.LBB6_4213:                             ;   in Loop: Header=BB6_3361 Depth=3
	s_or_b32 exec_lo, exec_lo, s16
	v_lshrrev_b16 v92, 8, v9
	s_mov_b32 s13, 0
	s_mov_b32 s17, exec_lo
                                        ; implicit-def: $sgpr16
	s_delay_alu instid0(VALU_DEP_1)
	v_cmpx_lt_i16_e32 0x7f, v92
	s_xor_b32 s17, exec_lo, s17
	s_cbranch_execnz .LBB6_4811
; %bb.4214:                             ;   in Loop: Header=BB6_3361 Depth=3
	s_or_saveexec_b32 s17, s17
	v_mov_b32_e32 v93, s16
	s_xor_b32 exec_lo, exec_lo, s17
	s_cbranch_execnz .LBB6_4814
.LBB6_4215:                             ;   in Loop: Header=BB6_3361 Depth=3
	s_or_b32 exec_lo, exec_lo, s17
	s_and_saveexec_b32 s16, s13
	s_cbranch_execz .LBB6_4217
.LBB6_4216:                             ;   in Loop: Header=BB6_3361 Depth=3
	v_and_b32_e32 v93, 0xffff, v92
	v_lshlrev_b32_e32 v92, 24, v92
	s_delay_alu instid0(VALU_DEP_2) | instskip(NEXT) | instid1(VALU_DEP_2)
	v_and_b32_e32 v94, 7, v93
	v_and_b32_e32 v92, 0x80000000, v92
	s_delay_alu instid0(VALU_DEP_2) | instskip(NEXT) | instid1(VALU_DEP_1)
	v_clz_i32_u32_e32 v95, v94
	v_min_u32_e32 v95, 32, v95
	s_delay_alu instid0(VALU_DEP_1) | instskip(SKIP_1) | instid1(VALU_DEP_2)
	v_subrev_nc_u32_e32 v104, 28, v95
	v_sub_nc_u32_e32 v95, 29, v95
	v_lshlrev_b32_e32 v104, v104, v93
	v_bfe_u32 v93, v93, 3, 4
	s_delay_alu instid0(VALU_DEP_2) | instskip(NEXT) | instid1(VALU_DEP_2)
	v_and_b32_e32 v104, 7, v104
	v_cmp_eq_u32_e32 vcc_lo, 0, v93
	s_delay_alu instid0(VALU_DEP_2) | instskip(NEXT) | instid1(VALU_DEP_1)
	v_dual_cndmask_b32 v93, v93, v95 :: v_dual_cndmask_b32 v94, v94, v104
	v_lshl_add_u32 v93, v93, 23, 0x3b800000
	s_delay_alu instid0(VALU_DEP_2) | instskip(NEXT) | instid1(VALU_DEP_1)
	v_lshlrev_b32_e32 v94, 20, v94
	v_or3_b32 v93, v92, v93, v94
.LBB6_4217:                             ;   in Loop: Header=BB6_3361 Depth=3
	s_or_b32 exec_lo, exec_lo, s16
	s_delay_alu instid0(VALU_DEP_1) | instskip(NEXT) | instid1(VALU_DEP_1)
	v_add_f32_e32 v92, v91, v93
	v_and_b32_e32 v91, 0x7f800000, v92
	s_delay_alu instid0(VALU_DEP_1)
	v_cmp_ne_u32_e32 vcc_lo, 0x7f800000, v91
	v_mov_b32_e32 v91, 0x8000
	s_and_saveexec_b32 s16, vcc_lo
	s_cbranch_execz .LBB6_4225
; %bb.4218:                             ;   in Loop: Header=BB6_3361 Depth=3
	v_mov_b32_e32 v91, 0
	s_mov_b32 s17, exec_lo
	v_cmpx_ne_u32_e32 0, v92
	s_cbranch_execz .LBB6_4224
; %bb.4219:                             ;   in Loop: Header=BB6_3361 Depth=3
	v_bfe_u32 v91, v92, 23, 8
	s_delay_alu instid0(VALU_DEP_1) | instskip(SKIP_1) | instid1(VALU_DEP_2)
	v_sub_nc_u32_e32 v94, 0x78, v91
	v_cmp_gt_u32_e32 vcc_lo, 0x79, v91
	v_dual_cndmask_b32 v94, 0, v94 :: v_dual_and_b32 v93, 0x7fffff, v92
	s_delay_alu instid0(VALU_DEP_1) | instskip(SKIP_2) | instid1(VALU_DEP_4)
	v_or_b32_e32 v95, 0x800000, v93
	v_cmp_eq_u32_e32 vcc_lo, 0, v91
	v_add_nc_u32_e32 v91, 0xffffff89, v91
	v_cndmask_b32_e64 v94, v94, 0x77, vcc_lo
	s_delay_alu instid0(VALU_DEP_2) | instskip(SKIP_1) | instid1(VALU_DEP_3)
	v_cndmask_b32_e64 v91, v91, 0xffffff8a, vcc_lo
	v_cndmask_b32_e32 v93, v95, v93, vcc_lo
	v_lshl_add_u32 v95, 0x100000, v94, -1
	v_lshlrev_b32_e64 v106, v94, 0x80000
	s_delay_alu instid0(VALU_DEP_3) | instskip(SKIP_1) | instid1(VALU_DEP_4)
	v_lshrrev_b32_e32 v104, v94, v93
	v_add_nc_u32_e32 v94, v94, v91
	v_and_b32_e32 v93, v95, v93
	s_delay_alu instid0(VALU_DEP_3) | instskip(NEXT) | instid1(VALU_DEP_2)
	v_bfe_u32 v105, v104, 20, 1
	v_cmp_eq_u32_e64 s13, v93, v106
	s_delay_alu instid0(VALU_DEP_2) | instskip(NEXT) | instid1(VALU_DEP_1)
	v_add_nc_u32_e32 v95, -1, v105
	v_cndmask_b32_e64 v93, 0, v95, s13
	v_lshrrev_b32_e32 v95, 23, v104
	s_mov_b32 s13, exec_lo
	s_delay_alu instid0(VALU_DEP_2) | instskip(NEXT) | instid1(VALU_DEP_2)
	v_add_nc_u32_e32 v93, v93, v104
	v_xor_b32_e32 v95, 1, v95
	s_delay_alu instid0(VALU_DEP_2) | instskip(NEXT) | instid1(VALU_DEP_1)
	v_and_b32_e32 v91, 0xfffff, v93
	v_add_nc_u32_e32 v93, v91, v104
                                        ; implicit-def: $vgpr91
	s_delay_alu instid0(VALU_DEP_3)
	v_cmpx_ne_u32_e64 v94, v95
	s_xor_b32 s13, exec_lo, s13
; %bb.4220:                             ;   in Loop: Header=BB6_3361 Depth=3
	s_delay_alu instid0(VALU_DEP_2) | instskip(SKIP_2) | instid1(VALU_DEP_2)
	v_cmp_lt_u32_e32 vcc_lo, 0xffffff, v93
	v_sub_nc_u32_e32 v91, v94, v95
	v_cndmask_b32_e64 v94, 0, 1, vcc_lo
	v_add_co_ci_u32_e32 v91, vcc_lo, 0, v91, vcc_lo
	s_delay_alu instid0(VALU_DEP_2)
	v_lshrrev_b32_e32 v93, v94, v93
; %bb.4221:                             ;   in Loop: Header=BB6_3361 Depth=3
	s_and_not1_saveexec_b32 s13, s13
; %bb.4222:                             ;   in Loop: Header=BB6_3361 Depth=3
	s_delay_alu instid0(VALU_DEP_1)
	v_bfe_u32 v91, v93, 23, 1
; %bb.4223:                             ;   in Loop: Header=BB6_3361 Depth=3
	s_or_b32 exec_lo, exec_lo, s13
	v_lshrrev_b32_e32 v93, 20, v93
	s_delay_alu instid0(VALU_DEP_2) | instskip(SKIP_2) | instid1(VALU_DEP_2)
	v_cmp_gt_i32_e32 vcc_lo, 16, v91
	v_min_i32_e32 v94, 15, v91
	v_lshrrev_b32_e32 v92, 24, v92
	v_dual_cndmask_b32 v93, 7, v93 :: v_dual_lshlrev_b32 v94, 3, v94
	s_delay_alu instid0(VALU_DEP_2) | instskip(NEXT) | instid1(VALU_DEP_2)
	v_and_b32_e32 v92, 0x80, v92
	v_or_b32_e32 v91, v91, v93
	v_and_b32_e32 v95, 7, v93
	s_delay_alu instid0(VALU_DEP_2) | instskip(SKIP_1) | instid1(VALU_DEP_1)
	v_cmp_ne_u32_e32 vcc_lo, 0, v91
	v_and_b32_e32 v94, 0xf8, v94
	v_or3_b32 v92, v92, v94, v95
	s_delay_alu instid0(VALU_DEP_1) | instskip(NEXT) | instid1(VALU_DEP_1)
	v_lshlrev_b32_e32 v92, 8, v92
	v_cndmask_b32_e32 v91, 0, v92, vcc_lo
.LBB6_4224:                             ;   in Loop: Header=BB6_3361 Depth=3
	s_or_b32 exec_lo, exec_lo, s17
.LBB6_4225:                             ;   in Loop: Header=BB6_3361 Depth=3
	s_delay_alu instid0(SALU_CYCLE_1) | instskip(SKIP_3) | instid1(VALU_DEP_1)
	s_or_b32 exec_lo, exec_lo, s16
	v_lshrrev_b32_e32 v93, 16, v13
	s_mov_b32 s13, 0
	s_mov_b32 s17, exec_lo
                                        ; implicit-def: $sgpr16
	v_and_b32_e32 v94, 0xff, v93
	s_delay_alu instid0(VALU_DEP_1)
	v_cmpx_lt_i16_e32 0x7f, v94
	s_xor_b32 s17, exec_lo, s17
	s_cbranch_execnz .LBB6_4815
; %bb.4226:                             ;   in Loop: Header=BB6_3361 Depth=3
	s_or_saveexec_b32 s17, s17
	v_mov_b32_e32 v92, s16
	s_xor_b32 exec_lo, exec_lo, s17
	s_cbranch_execnz .LBB6_4818
.LBB6_4227:                             ;   in Loop: Header=BB6_3361 Depth=3
	s_or_b32 exec_lo, exec_lo, s17
	s_and_saveexec_b32 s16, s13
	s_cbranch_execz .LBB6_4229
.LBB6_4228:                             ;   in Loop: Header=BB6_3361 Depth=3
	v_bfe_u32 v92, v13, 16, 3
	v_lshlrev_b32_e32 v104, 8, v13
	s_delay_alu instid0(VALU_DEP_2) | instskip(NEXT) | instid1(VALU_DEP_1)
	v_clz_i32_u32_e32 v94, v92
	v_min_u32_e32 v94, 32, v94
	s_delay_alu instid0(VALU_DEP_1) | instskip(SKIP_1) | instid1(VALU_DEP_2)
	v_subrev_nc_u32_e32 v95, 28, v94
	v_sub_nc_u32_e32 v94, 29, v94
	v_lshlrev_b32_e32 v93, v95, v93
	v_bfe_u32 v95, v13, 19, 4
	s_delay_alu instid0(VALU_DEP_1) | instskip(NEXT) | instid1(VALU_DEP_3)
	v_cmp_eq_u32_e32 vcc_lo, 0, v95
	v_dual_cndmask_b32 v94, v95, v94 :: v_dual_and_b32 v93, 7, v93
	s_delay_alu instid0(VALU_DEP_1) | instskip(NEXT) | instid1(VALU_DEP_2)
	v_dual_cndmask_b32 v92, v92, v93 :: v_dual_and_b32 v93, 0x80000000, v104
	v_lshl_add_u32 v94, v94, 23, 0x3b800000
	s_delay_alu instid0(VALU_DEP_2) | instskip(NEXT) | instid1(VALU_DEP_1)
	v_lshlrev_b32_e32 v92, 20, v92
	v_or3_b32 v92, v93, v94, v92
.LBB6_4229:                             ;   in Loop: Header=BB6_3361 Depth=3
	s_or_b32 exec_lo, exec_lo, s16
	v_lshrrev_b32_e32 v93, 16, v9
	s_mov_b32 s13, 0
	s_mov_b32 s17, exec_lo
                                        ; implicit-def: $sgpr16
	s_delay_alu instid0(VALU_DEP_1) | instskip(NEXT) | instid1(VALU_DEP_1)
	v_and_b32_e32 v95, 0xff, v93
	v_cmpx_lt_i16_e32 0x7f, v95
	s_xor_b32 s17, exec_lo, s17
	s_cbranch_execnz .LBB6_4819
; %bb.4230:                             ;   in Loop: Header=BB6_3361 Depth=3
	s_or_saveexec_b32 s17, s17
	v_mov_b32_e32 v94, s16
	s_xor_b32 exec_lo, exec_lo, s17
	s_cbranch_execnz .LBB6_4822
.LBB6_4231:                             ;   in Loop: Header=BB6_3361 Depth=3
	s_or_b32 exec_lo, exec_lo, s17
	s_and_saveexec_b32 s16, s13
	s_cbranch_execz .LBB6_4233
.LBB6_4232:                             ;   in Loop: Header=BB6_3361 Depth=3
	v_bfe_u32 v94, v9, 16, 3
	v_lshlrev_b32_e32 v105, 8, v9
	s_delay_alu instid0(VALU_DEP_2) | instskip(NEXT) | instid1(VALU_DEP_1)
	v_clz_i32_u32_e32 v95, v94
	v_min_u32_e32 v95, 32, v95
	s_delay_alu instid0(VALU_DEP_1) | instskip(SKIP_1) | instid1(VALU_DEP_2)
	v_subrev_nc_u32_e32 v104, 28, v95
	v_sub_nc_u32_e32 v95, 29, v95
	v_lshlrev_b32_e32 v93, v104, v93
	v_bfe_u32 v104, v9, 19, 4
	s_delay_alu instid0(VALU_DEP_2) | instskip(NEXT) | instid1(VALU_DEP_2)
	v_and_b32_e32 v93, 7, v93
	v_cmp_eq_u32_e32 vcc_lo, 0, v104
	v_cndmask_b32_e32 v95, v104, v95, vcc_lo
	s_delay_alu instid0(VALU_DEP_3) | instskip(SKIP_1) | instid1(VALU_DEP_3)
	v_cndmask_b32_e32 v93, v94, v93, vcc_lo
	v_and_b32_e32 v94, 0x80000000, v105
	v_lshl_add_u32 v95, v95, 23, 0x3b800000
	s_delay_alu instid0(VALU_DEP_3) | instskip(NEXT) | instid1(VALU_DEP_1)
	v_lshlrev_b32_e32 v93, 20, v93
	v_or3_b32 v94, v94, v95, v93
.LBB6_4233:                             ;   in Loop: Header=BB6_3361 Depth=3
	s_or_b32 exec_lo, exec_lo, s16
	s_delay_alu instid0(VALU_DEP_1) | instskip(NEXT) | instid1(VALU_DEP_1)
	v_add_f32_e32 v93, v92, v94
	v_and_b32_e32 v92, 0x7f800000, v93
	s_delay_alu instid0(VALU_DEP_1)
	v_cmp_ne_u32_e32 vcc_lo, 0x7f800000, v92
	v_mov_b32_e32 v92, 0x80
	s_and_saveexec_b32 s16, vcc_lo
	s_cbranch_execz .LBB6_4241
; %bb.4234:                             ;   in Loop: Header=BB6_3361 Depth=3
	v_mov_b32_e32 v92, 0
	s_mov_b32 s17, exec_lo
	v_cmpx_ne_u32_e32 0, v93
	s_cbranch_execz .LBB6_4240
; %bb.4235:                             ;   in Loop: Header=BB6_3361 Depth=3
	v_bfe_u32 v92, v93, 23, 8
	s_delay_alu instid0(VALU_DEP_1) | instskip(SKIP_1) | instid1(VALU_DEP_2)
	v_sub_nc_u32_e32 v95, 0x78, v92
	v_cmp_gt_u32_e32 vcc_lo, 0x79, v92
	v_dual_cndmask_b32 v95, 0, v95 :: v_dual_and_b32 v94, 0x7fffff, v93
	s_delay_alu instid0(VALU_DEP_1) | instskip(SKIP_2) | instid1(VALU_DEP_4)
	v_or_b32_e32 v104, 0x800000, v94
	v_cmp_eq_u32_e32 vcc_lo, 0, v92
	v_add_nc_u32_e32 v92, 0xffffff89, v92
	v_cndmask_b32_e64 v95, v95, 0x77, vcc_lo
	s_delay_alu instid0(VALU_DEP_2) | instskip(SKIP_1) | instid1(VALU_DEP_3)
	v_cndmask_b32_e64 v92, v92, 0xffffff8a, vcc_lo
	v_cndmask_b32_e32 v94, v104, v94, vcc_lo
	v_lshl_add_u32 v104, 0x100000, v95, -1
	v_lshlrev_b32_e64 v107, v95, 0x80000
	s_delay_alu instid0(VALU_DEP_3) | instskip(SKIP_1) | instid1(VALU_DEP_4)
	v_lshrrev_b32_e32 v105, v95, v94
	v_add_nc_u32_e32 v95, v95, v92
	v_and_b32_e32 v94, v104, v94
	s_delay_alu instid0(VALU_DEP_3) | instskip(NEXT) | instid1(VALU_DEP_2)
	v_bfe_u32 v106, v105, 20, 1
	v_cmp_eq_u32_e64 s13, v94, v107
	s_delay_alu instid0(VALU_DEP_2) | instskip(NEXT) | instid1(VALU_DEP_1)
	v_add_nc_u32_e32 v104, -1, v106
	v_cndmask_b32_e64 v94, 0, v104, s13
	v_lshrrev_b32_e32 v104, 23, v105
	s_mov_b32 s13, exec_lo
	s_delay_alu instid0(VALU_DEP_2) | instskip(NEXT) | instid1(VALU_DEP_2)
	v_add_nc_u32_e32 v94, v94, v105
	v_xor_b32_e32 v104, 1, v104
	s_delay_alu instid0(VALU_DEP_2) | instskip(NEXT) | instid1(VALU_DEP_1)
	v_and_b32_e32 v92, 0xfffff, v94
	v_add_nc_u32_e32 v94, v92, v105
                                        ; implicit-def: $vgpr92
	s_delay_alu instid0(VALU_DEP_3)
	v_cmpx_ne_u32_e64 v95, v104
	s_xor_b32 s13, exec_lo, s13
; %bb.4236:                             ;   in Loop: Header=BB6_3361 Depth=3
	s_delay_alu instid0(VALU_DEP_2) | instskip(SKIP_2) | instid1(VALU_DEP_2)
	v_cmp_lt_u32_e32 vcc_lo, 0xffffff, v94
	v_sub_nc_u32_e32 v92, v95, v104
	v_cndmask_b32_e64 v95, 0, 1, vcc_lo
	v_add_co_ci_u32_e32 v92, vcc_lo, 0, v92, vcc_lo
	s_delay_alu instid0(VALU_DEP_2)
	v_lshrrev_b32_e32 v94, v95, v94
; %bb.4237:                             ;   in Loop: Header=BB6_3361 Depth=3
	s_and_not1_saveexec_b32 s13, s13
; %bb.4238:                             ;   in Loop: Header=BB6_3361 Depth=3
	s_delay_alu instid0(VALU_DEP_1)
	v_bfe_u32 v92, v94, 23, 1
; %bb.4239:                             ;   in Loop: Header=BB6_3361 Depth=3
	s_or_b32 exec_lo, exec_lo, s13
	v_lshrrev_b32_e32 v94, 20, v94
	s_delay_alu instid0(VALU_DEP_2) | instskip(SKIP_2) | instid1(VALU_DEP_2)
	v_cmp_gt_i32_e32 vcc_lo, 16, v92
	v_min_i32_e32 v95, 15, v92
	v_lshrrev_b32_e32 v93, 24, v93
	v_dual_cndmask_b32 v94, 7, v94 :: v_dual_lshlrev_b32 v95, 3, v95
	s_delay_alu instid0(VALU_DEP_2) | instskip(NEXT) | instid1(VALU_DEP_2)
	v_and_b32_e32 v93, 0x80, v93
	v_or_b32_e32 v92, v92, v94
	v_and_b32_e32 v104, 7, v94
	s_delay_alu instid0(VALU_DEP_2) | instskip(SKIP_1) | instid1(VALU_DEP_1)
	v_cmp_ne_u32_e32 vcc_lo, 0, v92
	v_and_b32_e32 v95, 0xf8, v95
	v_or3_b32 v93, v95, v93, v104
	s_delay_alu instid0(VALU_DEP_1)
	v_cndmask_b32_e32 v92, 0, v93, vcc_lo
.LBB6_4240:                             ;   in Loop: Header=BB6_3361 Depth=3
	s_or_b32 exec_lo, exec_lo, s17
.LBB6_4241:                             ;   in Loop: Header=BB6_3361 Depth=3
	s_delay_alu instid0(SALU_CYCLE_1) | instskip(SKIP_3) | instid1(VALU_DEP_1)
	s_or_b32 exec_lo, exec_lo, s16
	v_lshrrev_b32_e32 v94, 24, v13
	s_mov_b32 s13, 0
	s_mov_b32 s17, exec_lo
                                        ; implicit-def: $sgpr16
	v_cmpx_lt_i16_e32 0x7f, v94
	s_xor_b32 s17, exec_lo, s17
	s_cbranch_execnz .LBB6_4823
; %bb.4242:                             ;   in Loop: Header=BB6_3361 Depth=3
	s_or_saveexec_b32 s17, s17
	v_mov_b32_e32 v93, s16
	s_xor_b32 exec_lo, exec_lo, s17
	s_cbranch_execnz .LBB6_4826
.LBB6_4243:                             ;   in Loop: Header=BB6_3361 Depth=3
	s_or_b32 exec_lo, exec_lo, s17
	s_and_saveexec_b32 s16, s13
	s_cbranch_execz .LBB6_4245
.LBB6_4244:                             ;   in Loop: Header=BB6_3361 Depth=3
	v_bfe_u32 v93, v13, 24, 3
	s_delay_alu instid0(VALU_DEP_1) | instskip(NEXT) | instid1(VALU_DEP_1)
	v_clz_i32_u32_e32 v95, v93
	v_min_u32_e32 v95, 32, v95
	s_delay_alu instid0(VALU_DEP_1) | instskip(SKIP_1) | instid1(VALU_DEP_2)
	v_subrev_nc_u32_e32 v104, 28, v95
	v_sub_nc_u32_e32 v95, 29, v95
	v_lshlrev_b32_e32 v94, v104, v94
	v_bfe_u32 v104, v13, 27, 4
	v_and_b32_e32 v13, 0x80000000, v13
	s_delay_alu instid0(VALU_DEP_2) | instskip(NEXT) | instid1(VALU_DEP_4)
	v_cmp_eq_u32_e32 vcc_lo, 0, v104
	v_dual_cndmask_b32 v95, v104, v95 :: v_dual_and_b32 v94, 7, v94
	s_delay_alu instid0(VALU_DEP_1) | instskip(NEXT) | instid1(VALU_DEP_2)
	v_cndmask_b32_e32 v93, v93, v94, vcc_lo
	v_lshl_add_u32 v94, v95, 23, 0x3b800000
	s_delay_alu instid0(VALU_DEP_2) | instskip(NEXT) | instid1(VALU_DEP_1)
	v_lshlrev_b32_e32 v93, 20, v93
	v_or3_b32 v93, v13, v94, v93
.LBB6_4245:                             ;   in Loop: Header=BB6_3361 Depth=3
	s_or_b32 exec_lo, exec_lo, s16
	v_lshrrev_b32_e32 v13, 24, v9
	s_mov_b32 s13, 0
	s_mov_b32 s17, exec_lo
                                        ; implicit-def: $sgpr16
	s_delay_alu instid0(VALU_DEP_1)
	v_cmpx_lt_i16_e32 0x7f, v13
	s_xor_b32 s17, exec_lo, s17
	s_cbranch_execnz .LBB6_4827
; %bb.4246:                             ;   in Loop: Header=BB6_3361 Depth=3
	s_or_saveexec_b32 s17, s17
	v_mov_b32_e32 v94, s16
	s_xor_b32 exec_lo, exec_lo, s17
	s_cbranch_execnz .LBB6_4830
.LBB6_4247:                             ;   in Loop: Header=BB6_3361 Depth=3
	s_or_b32 exec_lo, exec_lo, s17
	s_and_saveexec_b32 s16, s13
	s_cbranch_execz .LBB6_4249
.LBB6_4248:                             ;   in Loop: Header=BB6_3361 Depth=3
	v_bfe_u32 v94, v9, 24, 3
	s_delay_alu instid0(VALU_DEP_1) | instskip(NEXT) | instid1(VALU_DEP_1)
	v_clz_i32_u32_e32 v95, v94
	v_min_u32_e32 v95, 32, v95
	s_delay_alu instid0(VALU_DEP_1) | instskip(SKIP_1) | instid1(VALU_DEP_2)
	v_subrev_nc_u32_e32 v104, 28, v95
	v_sub_nc_u32_e32 v95, 29, v95
	v_lshlrev_b32_e32 v13, v104, v13
	v_bfe_u32 v104, v9, 27, 4
	v_and_b32_e32 v9, 0x80000000, v9
	s_delay_alu instid0(VALU_DEP_3) | instskip(NEXT) | instid1(VALU_DEP_3)
	v_and_b32_e32 v13, 7, v13
	v_cmp_eq_u32_e32 vcc_lo, 0, v104
	v_cndmask_b32_e32 v95, v104, v95, vcc_lo
	s_delay_alu instid0(VALU_DEP_3) | instskip(NEXT) | instid1(VALU_DEP_2)
	v_cndmask_b32_e32 v13, v94, v13, vcc_lo
	v_lshl_add_u32 v94, v95, 23, 0x3b800000
	s_delay_alu instid0(VALU_DEP_2) | instskip(NEXT) | instid1(VALU_DEP_1)
	v_lshlrev_b32_e32 v13, 20, v13
	v_or3_b32 v94, v9, v94, v13
.LBB6_4249:                             ;   in Loop: Header=BB6_3361 Depth=3
	s_or_b32 exec_lo, exec_lo, s16
	s_delay_alu instid0(VALU_DEP_1) | instskip(NEXT) | instid1(VALU_DEP_1)
	v_add_f32_e32 v13, v93, v94
	v_and_b32_e32 v9, 0x7f800000, v13
	s_delay_alu instid0(VALU_DEP_1)
	v_cmp_ne_u32_e32 vcc_lo, 0x7f800000, v9
	v_mov_b32_e32 v9, 0x8000
	s_and_saveexec_b32 s16, vcc_lo
	s_cbranch_execz .LBB6_4257
; %bb.4250:                             ;   in Loop: Header=BB6_3361 Depth=3
	v_mov_b32_e32 v9, 0
	s_mov_b32 s17, exec_lo
	v_cmpx_ne_u32_e32 0, v13
	s_cbranch_execz .LBB6_4256
; %bb.4251:                             ;   in Loop: Header=BB6_3361 Depth=3
	v_bfe_u32 v9, v13, 23, 8
	s_delay_alu instid0(VALU_DEP_1) | instskip(SKIP_1) | instid1(VALU_DEP_2)
	v_sub_nc_u32_e32 v94, 0x78, v9
	v_cmp_gt_u32_e32 vcc_lo, 0x79, v9
	v_dual_cndmask_b32 v94, 0, v94 :: v_dual_and_b32 v93, 0x7fffff, v13
	s_delay_alu instid0(VALU_DEP_1) | instskip(SKIP_2) | instid1(VALU_DEP_4)
	v_or_b32_e32 v95, 0x800000, v93
	v_cmp_eq_u32_e32 vcc_lo, 0, v9
	v_add_nc_u32_e32 v9, 0xffffff89, v9
	v_cndmask_b32_e64 v94, v94, 0x77, vcc_lo
	s_delay_alu instid0(VALU_DEP_4) | instskip(NEXT) | instid1(VALU_DEP_3)
	v_cndmask_b32_e32 v93, v95, v93, vcc_lo
	v_cndmask_b32_e64 v9, v9, 0xffffff8a, vcc_lo
	s_delay_alu instid0(VALU_DEP_3) | instskip(NEXT) | instid1(VALU_DEP_3)
	v_lshl_add_u32 v95, 0x100000, v94, -1
	v_lshrrev_b32_e32 v104, v94, v93
	v_lshlrev_b32_e64 v106, v94, 0x80000
	s_delay_alu instid0(VALU_DEP_4) | instskip(NEXT) | instid1(VALU_DEP_4)
	v_add_nc_u32_e32 v94, v94, v9
	v_and_b32_e32 v93, v95, v93
	s_delay_alu instid0(VALU_DEP_4) | instskip(NEXT) | instid1(VALU_DEP_2)
	v_bfe_u32 v105, v104, 20, 1
	v_cmp_eq_u32_e64 s13, v93, v106
	s_delay_alu instid0(VALU_DEP_2) | instskip(NEXT) | instid1(VALU_DEP_1)
	v_add_nc_u32_e32 v95, -1, v105
	v_cndmask_b32_e64 v93, 0, v95, s13
	v_lshrrev_b32_e32 v95, 23, v104
	s_mov_b32 s13, exec_lo
	s_delay_alu instid0(VALU_DEP_2) | instskip(NEXT) | instid1(VALU_DEP_2)
	v_add_nc_u32_e32 v93, v93, v104
	v_xor_b32_e32 v95, 1, v95
	s_delay_alu instid0(VALU_DEP_2) | instskip(NEXT) | instid1(VALU_DEP_1)
	v_and_b32_e32 v9, 0xfffff, v93
	v_add_nc_u32_e32 v93, v9, v104
                                        ; implicit-def: $vgpr9
	s_delay_alu instid0(VALU_DEP_3)
	v_cmpx_ne_u32_e64 v94, v95
	s_xor_b32 s13, exec_lo, s13
; %bb.4252:                             ;   in Loop: Header=BB6_3361 Depth=3
	s_delay_alu instid0(VALU_DEP_2) | instskip(SKIP_2) | instid1(VALU_DEP_2)
	v_cmp_lt_u32_e32 vcc_lo, 0xffffff, v93
	v_sub_nc_u32_e32 v9, v94, v95
	v_cndmask_b32_e64 v94, 0, 1, vcc_lo
	v_add_co_ci_u32_e32 v9, vcc_lo, 0, v9, vcc_lo
	s_delay_alu instid0(VALU_DEP_2)
	v_lshrrev_b32_e32 v93, v94, v93
; %bb.4253:                             ;   in Loop: Header=BB6_3361 Depth=3
	s_and_not1_saveexec_b32 s13, s13
; %bb.4254:                             ;   in Loop: Header=BB6_3361 Depth=3
	s_delay_alu instid0(VALU_DEP_1)
	v_bfe_u32 v9, v93, 23, 1
; %bb.4255:                             ;   in Loop: Header=BB6_3361 Depth=3
	s_or_b32 exec_lo, exec_lo, s13
	v_lshrrev_b32_e32 v93, 20, v93
	s_delay_alu instid0(VALU_DEP_2) | instskip(SKIP_2) | instid1(VALU_DEP_2)
	v_cmp_gt_i32_e32 vcc_lo, 16, v9
	v_min_i32_e32 v94, 15, v9
	v_lshrrev_b32_e32 v13, 24, v13
	v_dual_cndmask_b32 v93, 7, v93 :: v_dual_lshlrev_b32 v94, 3, v94
	s_delay_alu instid0(VALU_DEP_2) | instskip(NEXT) | instid1(VALU_DEP_2)
	v_and_b32_e32 v13, 0x80, v13
	v_or_b32_e32 v9, v9, v93
	v_and_b32_e32 v95, 7, v93
	s_delay_alu instid0(VALU_DEP_2) | instskip(SKIP_1) | instid1(VALU_DEP_1)
	v_cmp_ne_u32_e32 vcc_lo, 0, v9
	v_and_b32_e32 v94, 0xf8, v94
	v_or3_b32 v13, v13, v94, v95
	s_delay_alu instid0(VALU_DEP_1) | instskip(NEXT) | instid1(VALU_DEP_1)
	v_lshlrev_b32_e32 v13, 8, v13
	v_cndmask_b32_e32 v9, 0, v13, vcc_lo
.LBB6_4256:                             ;   in Loop: Header=BB6_3361 Depth=3
	s_or_b32 exec_lo, exec_lo, s17
.LBB6_4257:                             ;   in Loop: Header=BB6_3361 Depth=3
	s_delay_alu instid0(SALU_CYCLE_1) | instskip(SKIP_3) | instid1(VALU_DEP_1)
	s_or_b32 exec_lo, exec_lo, s16
	v_and_b32_e32 v93, 0xff, v14
	s_mov_b32 s13, 0
	s_mov_b32 s17, exec_lo
                                        ; implicit-def: $sgpr16
	v_cmpx_lt_i16_e32 0x7f, v93
	s_xor_b32 s17, exec_lo, s17
	s_cbranch_execnz .LBB6_4831
; %bb.4258:                             ;   in Loop: Header=BB6_3361 Depth=3
	s_or_saveexec_b32 s17, s17
	v_mov_b32_e32 v13, s16
	s_xor_b32 exec_lo, exec_lo, s17
	s_cbranch_execnz .LBB6_4834
.LBB6_4259:                             ;   in Loop: Header=BB6_3361 Depth=3
	s_or_b32 exec_lo, exec_lo, s17
	s_and_saveexec_b32 s16, s13
	s_cbranch_execz .LBB6_4261
.LBB6_4260:                             ;   in Loop: Header=BB6_3361 Depth=3
	v_and_b32_e32 v13, 7, v14
	v_bfe_u32 v95, v14, 3, 4
	v_lshlrev_b32_e32 v104, 24, v14
	s_delay_alu instid0(VALU_DEP_3) | instskip(NEXT) | instid1(VALU_DEP_3)
	v_clz_i32_u32_e32 v93, v13
	v_cmp_eq_u32_e32 vcc_lo, 0, v95
	s_delay_alu instid0(VALU_DEP_2) | instskip(NEXT) | instid1(VALU_DEP_1)
	v_min_u32_e32 v93, 32, v93
	v_subrev_nc_u32_e32 v94, 28, v93
	v_sub_nc_u32_e32 v93, 29, v93
	s_delay_alu instid0(VALU_DEP_1) | instskip(NEXT) | instid1(VALU_DEP_1)
	v_dual_cndmask_b32 v93, v95, v93 :: v_dual_lshlrev_b32 v94, v94, v14
	v_and_b32_e32 v94, 7, v94
	s_delay_alu instid0(VALU_DEP_2) | instskip(NEXT) | instid1(VALU_DEP_2)
	v_lshl_add_u32 v93, v93, 23, 0x3b800000
	v_dual_cndmask_b32 v13, v13, v94 :: v_dual_and_b32 v94, 0x80000000, v104
	s_delay_alu instid0(VALU_DEP_1) | instskip(NEXT) | instid1(VALU_DEP_1)
	v_lshlrev_b32_e32 v13, 20, v13
	v_or3_b32 v13, v94, v93, v13
.LBB6_4261:                             ;   in Loop: Header=BB6_3361 Depth=3
	s_or_b32 exec_lo, exec_lo, s16
	v_and_b32_e32 v94, 0xff, v10
	s_mov_b32 s13, 0
	s_mov_b32 s17, exec_lo
                                        ; implicit-def: $sgpr16
	s_delay_alu instid0(VALU_DEP_1)
	v_cmpx_lt_i16_e32 0x7f, v94
	s_xor_b32 s17, exec_lo, s17
	s_cbranch_execnz .LBB6_4835
; %bb.4262:                             ;   in Loop: Header=BB6_3361 Depth=3
	s_or_saveexec_b32 s17, s17
	v_mov_b32_e32 v93, s16
	s_xor_b32 exec_lo, exec_lo, s17
	s_cbranch_execnz .LBB6_4838
.LBB6_4263:                             ;   in Loop: Header=BB6_3361 Depth=3
	s_or_b32 exec_lo, exec_lo, s17
	s_and_saveexec_b32 s16, s13
	s_cbranch_execz .LBB6_4265
.LBB6_4264:                             ;   in Loop: Header=BB6_3361 Depth=3
	v_and_b32_e32 v93, 7, v10
	v_bfe_u32 v104, v10, 3, 4
	v_lshlrev_b32_e32 v105, 24, v10
	s_delay_alu instid0(VALU_DEP_3) | instskip(NEXT) | instid1(VALU_DEP_3)
	v_clz_i32_u32_e32 v94, v93
	v_cmp_eq_u32_e32 vcc_lo, 0, v104
	s_delay_alu instid0(VALU_DEP_2) | instskip(NEXT) | instid1(VALU_DEP_1)
	v_min_u32_e32 v94, 32, v94
	v_subrev_nc_u32_e32 v95, 28, v94
	v_sub_nc_u32_e32 v94, 29, v94
	s_delay_alu instid0(VALU_DEP_2) | instskip(NEXT) | instid1(VALU_DEP_1)
	v_lshlrev_b32_e32 v95, v95, v10
	v_dual_cndmask_b32 v94, v104, v94 :: v_dual_and_b32 v95, 7, v95
	s_delay_alu instid0(VALU_DEP_1) | instskip(NEXT) | instid1(VALU_DEP_2)
	v_lshl_add_u32 v94, v94, 23, 0x3b800000
	v_cndmask_b32_e32 v93, v93, v95, vcc_lo
	v_and_b32_e32 v95, 0x80000000, v105
	s_delay_alu instid0(VALU_DEP_2) | instskip(NEXT) | instid1(VALU_DEP_1)
	v_lshlrev_b32_e32 v93, 20, v93
	v_or3_b32 v93, v95, v94, v93
.LBB6_4265:                             ;   in Loop: Header=BB6_3361 Depth=3
	s_or_b32 exec_lo, exec_lo, s16
	s_delay_alu instid0(VALU_DEP_1) | instskip(NEXT) | instid1(VALU_DEP_1)
	v_add_f32_e32 v93, v13, v93
	v_and_b32_e32 v13, 0x7f800000, v93
	s_delay_alu instid0(VALU_DEP_1)
	v_cmp_ne_u32_e32 vcc_lo, 0x7f800000, v13
	v_mov_b32_e32 v13, 0x80
	s_and_saveexec_b32 s16, vcc_lo
	s_cbranch_execz .LBB6_4273
; %bb.4266:                             ;   in Loop: Header=BB6_3361 Depth=3
	v_mov_b32_e32 v13, 0
	s_mov_b32 s17, exec_lo
	v_cmpx_ne_u32_e32 0, v93
	s_cbranch_execz .LBB6_4272
; %bb.4267:                             ;   in Loop: Header=BB6_3361 Depth=3
	v_bfe_u32 v13, v93, 23, 8
	s_delay_alu instid0(VALU_DEP_1) | instskip(SKIP_1) | instid1(VALU_DEP_2)
	v_sub_nc_u32_e32 v95, 0x78, v13
	v_cmp_gt_u32_e32 vcc_lo, 0x79, v13
	v_dual_cndmask_b32 v95, 0, v95 :: v_dual_and_b32 v94, 0x7fffff, v93
	s_delay_alu instid0(VALU_DEP_1) | instskip(SKIP_2) | instid1(VALU_DEP_4)
	v_or_b32_e32 v104, 0x800000, v94
	v_cmp_eq_u32_e32 vcc_lo, 0, v13
	v_add_nc_u32_e32 v13, 0xffffff89, v13
	v_cndmask_b32_e64 v95, v95, 0x77, vcc_lo
	s_delay_alu instid0(VALU_DEP_4) | instskip(NEXT) | instid1(VALU_DEP_3)
	v_cndmask_b32_e32 v94, v104, v94, vcc_lo
	v_cndmask_b32_e64 v13, v13, 0xffffff8a, vcc_lo
	s_delay_alu instid0(VALU_DEP_3) | instskip(NEXT) | instid1(VALU_DEP_3)
	v_lshl_add_u32 v104, 0x100000, v95, -1
	v_lshrrev_b32_e32 v105, v95, v94
	v_lshlrev_b32_e64 v107, v95, 0x80000
	s_delay_alu instid0(VALU_DEP_4) | instskip(NEXT) | instid1(VALU_DEP_4)
	v_add_nc_u32_e32 v95, v95, v13
	v_and_b32_e32 v94, v104, v94
	s_delay_alu instid0(VALU_DEP_4) | instskip(NEXT) | instid1(VALU_DEP_2)
	v_bfe_u32 v106, v105, 20, 1
	v_cmp_eq_u32_e64 s13, v94, v107
	s_delay_alu instid0(VALU_DEP_2) | instskip(NEXT) | instid1(VALU_DEP_1)
	v_add_nc_u32_e32 v104, -1, v106
	v_cndmask_b32_e64 v94, 0, v104, s13
	v_lshrrev_b32_e32 v104, 23, v105
	s_mov_b32 s13, exec_lo
	s_delay_alu instid0(VALU_DEP_2) | instskip(NEXT) | instid1(VALU_DEP_2)
	v_add_nc_u32_e32 v94, v94, v105
	v_xor_b32_e32 v104, 1, v104
	s_delay_alu instid0(VALU_DEP_2) | instskip(NEXT) | instid1(VALU_DEP_1)
	v_and_b32_e32 v13, 0xfffff, v94
	v_add_nc_u32_e32 v94, v13, v105
                                        ; implicit-def: $vgpr13
	s_delay_alu instid0(VALU_DEP_3)
	v_cmpx_ne_u32_e64 v95, v104
	s_xor_b32 s13, exec_lo, s13
; %bb.4268:                             ;   in Loop: Header=BB6_3361 Depth=3
	s_delay_alu instid0(VALU_DEP_2) | instskip(SKIP_2) | instid1(VALU_DEP_2)
	v_cmp_lt_u32_e32 vcc_lo, 0xffffff, v94
	v_sub_nc_u32_e32 v13, v95, v104
	v_cndmask_b32_e64 v95, 0, 1, vcc_lo
	v_add_co_ci_u32_e32 v13, vcc_lo, 0, v13, vcc_lo
	s_delay_alu instid0(VALU_DEP_2)
	v_lshrrev_b32_e32 v94, v95, v94
; %bb.4269:                             ;   in Loop: Header=BB6_3361 Depth=3
	s_and_not1_saveexec_b32 s13, s13
; %bb.4270:                             ;   in Loop: Header=BB6_3361 Depth=3
	s_delay_alu instid0(VALU_DEP_1)
	v_bfe_u32 v13, v94, 23, 1
; %bb.4271:                             ;   in Loop: Header=BB6_3361 Depth=3
	s_or_b32 exec_lo, exec_lo, s13
	v_lshrrev_b32_e32 v94, 20, v94
	s_delay_alu instid0(VALU_DEP_2) | instskip(SKIP_2) | instid1(VALU_DEP_2)
	v_cmp_gt_i32_e32 vcc_lo, 16, v13
	v_lshrrev_b32_e32 v93, 24, v93
	v_min_i32_e32 v95, 15, v13
	v_dual_cndmask_b32 v94, 7, v94 :: v_dual_and_b32 v93, 0x80, v93
	s_delay_alu instid0(VALU_DEP_2) | instskip(NEXT) | instid1(VALU_DEP_2)
	v_lshlrev_b32_e32 v95, 3, v95
	v_or_b32_e32 v13, v13, v94
	s_delay_alu instid0(VALU_DEP_1) | instskip(SKIP_1) | instid1(VALU_DEP_1)
	v_cmp_ne_u32_e32 vcc_lo, 0, v13
	v_and_b32_e32 v104, 7, v94
	v_or3_b32 v93, v95, v93, v104
	s_delay_alu instid0(VALU_DEP_1)
	v_cndmask_b32_e32 v13, 0, v93, vcc_lo
.LBB6_4272:                             ;   in Loop: Header=BB6_3361 Depth=3
	s_or_b32 exec_lo, exec_lo, s17
.LBB6_4273:                             ;   in Loop: Header=BB6_3361 Depth=3
	s_delay_alu instid0(SALU_CYCLE_1) | instskip(SKIP_3) | instid1(VALU_DEP_1)
	s_or_b32 exec_lo, exec_lo, s16
	v_lshrrev_b16 v94, 8, v14
	s_mov_b32 s13, 0
	s_mov_b32 s17, exec_lo
                                        ; implicit-def: $sgpr16
	v_cmpx_lt_i16_e32 0x7f, v94
	s_xor_b32 s17, exec_lo, s17
	s_cbranch_execnz .LBB6_4839
; %bb.4274:                             ;   in Loop: Header=BB6_3361 Depth=3
	s_or_saveexec_b32 s17, s17
	v_mov_b32_e32 v93, s16
	s_xor_b32 exec_lo, exec_lo, s17
	s_cbranch_execnz .LBB6_4842
.LBB6_4275:                             ;   in Loop: Header=BB6_3361 Depth=3
	s_or_b32 exec_lo, exec_lo, s17
	s_and_saveexec_b32 s16, s13
	s_cbranch_execz .LBB6_4277
.LBB6_4276:                             ;   in Loop: Header=BB6_3361 Depth=3
	v_and_b32_e32 v93, 0xffff, v94
	s_delay_alu instid0(VALU_DEP_1) | instskip(NEXT) | instid1(VALU_DEP_1)
	v_and_b32_e32 v95, 7, v93
	v_clz_i32_u32_e32 v104, v95
	s_delay_alu instid0(VALU_DEP_1) | instskip(NEXT) | instid1(VALU_DEP_1)
	v_min_u32_e32 v104, 32, v104
	v_subrev_nc_u32_e32 v105, 28, v104
	v_sub_nc_u32_e32 v104, 29, v104
	s_delay_alu instid0(VALU_DEP_2) | instskip(SKIP_1) | instid1(VALU_DEP_2)
	v_lshlrev_b32_e32 v105, v105, v93
	v_bfe_u32 v93, v93, 3, 4
	v_and_b32_e32 v105, 7, v105
	s_delay_alu instid0(VALU_DEP_2) | instskip(SKIP_1) | instid1(VALU_DEP_1)
	v_cmp_eq_u32_e32 vcc_lo, 0, v93
	v_dual_cndmask_b32 v93, v93, v104 :: v_dual_lshlrev_b32 v94, 24, v94
	v_dual_cndmask_b32 v95, v95, v105 :: v_dual_and_b32 v94, 0x80000000, v94
	s_delay_alu instid0(VALU_DEP_2) | instskip(NEXT) | instid1(VALU_DEP_2)
	v_lshl_add_u32 v93, v93, 23, 0x3b800000
	v_lshlrev_b32_e32 v95, 20, v95
	s_delay_alu instid0(VALU_DEP_1)
	v_or3_b32 v93, v94, v93, v95
.LBB6_4277:                             ;   in Loop: Header=BB6_3361 Depth=3
	s_or_b32 exec_lo, exec_lo, s16
	v_lshrrev_b16 v94, 8, v10
	s_mov_b32 s13, 0
	s_mov_b32 s17, exec_lo
                                        ; implicit-def: $sgpr16
	s_delay_alu instid0(VALU_DEP_1)
	v_cmpx_lt_i16_e32 0x7f, v94
	s_xor_b32 s17, exec_lo, s17
	s_cbranch_execnz .LBB6_4843
; %bb.4278:                             ;   in Loop: Header=BB6_3361 Depth=3
	s_or_saveexec_b32 s17, s17
	v_mov_b32_e32 v95, s16
	s_xor_b32 exec_lo, exec_lo, s17
	s_cbranch_execnz .LBB6_4846
.LBB6_4279:                             ;   in Loop: Header=BB6_3361 Depth=3
	s_or_b32 exec_lo, exec_lo, s17
	s_and_saveexec_b32 s16, s13
	s_cbranch_execz .LBB6_4281
.LBB6_4280:                             ;   in Loop: Header=BB6_3361 Depth=3
	v_and_b32_e32 v95, 0xffff, v94
	v_lshlrev_b32_e32 v94, 24, v94
	s_delay_alu instid0(VALU_DEP_2) | instskip(NEXT) | instid1(VALU_DEP_2)
	v_and_b32_e32 v104, 7, v95
	v_and_b32_e32 v94, 0x80000000, v94
	s_delay_alu instid0(VALU_DEP_2) | instskip(NEXT) | instid1(VALU_DEP_1)
	v_clz_i32_u32_e32 v105, v104
	v_min_u32_e32 v105, 32, v105
	s_delay_alu instid0(VALU_DEP_1) | instskip(SKIP_1) | instid1(VALU_DEP_2)
	v_subrev_nc_u32_e32 v106, 28, v105
	v_sub_nc_u32_e32 v105, 29, v105
	v_lshlrev_b32_e32 v106, v106, v95
	v_bfe_u32 v95, v95, 3, 4
	s_delay_alu instid0(VALU_DEP_2) | instskip(NEXT) | instid1(VALU_DEP_2)
	v_and_b32_e32 v106, 7, v106
	v_cmp_eq_u32_e32 vcc_lo, 0, v95
	s_delay_alu instid0(VALU_DEP_2) | instskip(NEXT) | instid1(VALU_DEP_1)
	v_dual_cndmask_b32 v95, v95, v105 :: v_dual_cndmask_b32 v104, v104, v106
	v_lshl_add_u32 v95, v95, 23, 0x3b800000
	s_delay_alu instid0(VALU_DEP_2) | instskip(NEXT) | instid1(VALU_DEP_1)
	v_lshlrev_b32_e32 v104, 20, v104
	v_or3_b32 v95, v94, v95, v104
.LBB6_4281:                             ;   in Loop: Header=BB6_3361 Depth=3
	s_or_b32 exec_lo, exec_lo, s16
	s_delay_alu instid0(VALU_DEP_1) | instskip(NEXT) | instid1(VALU_DEP_1)
	v_add_f32_e32 v94, v93, v95
	v_and_b32_e32 v93, 0x7f800000, v94
	s_delay_alu instid0(VALU_DEP_1)
	v_cmp_ne_u32_e32 vcc_lo, 0x7f800000, v93
	v_mov_b32_e32 v93, 0x80
	s_and_saveexec_b32 s16, vcc_lo
	s_cbranch_execz .LBB6_4289
; %bb.4282:                             ;   in Loop: Header=BB6_3361 Depth=3
	v_mov_b32_e32 v93, 0
	s_mov_b32 s17, exec_lo
	v_cmpx_ne_u32_e32 0, v94
	s_cbranch_execz .LBB6_4288
; %bb.4283:                             ;   in Loop: Header=BB6_3361 Depth=3
	v_bfe_u32 v93, v94, 23, 8
	s_delay_alu instid0(VALU_DEP_1) | instskip(SKIP_1) | instid1(VALU_DEP_2)
	v_sub_nc_u32_e32 v104, 0x78, v93
	v_cmp_gt_u32_e32 vcc_lo, 0x79, v93
	v_dual_cndmask_b32 v104, 0, v104 :: v_dual_and_b32 v95, 0x7fffff, v94
	s_delay_alu instid0(VALU_DEP_1) | instskip(SKIP_2) | instid1(VALU_DEP_4)
	v_or_b32_e32 v105, 0x800000, v95
	v_cmp_eq_u32_e32 vcc_lo, 0, v93
	v_add_nc_u32_e32 v93, 0xffffff89, v93
	v_cndmask_b32_e64 v104, v104, 0x77, vcc_lo
	s_delay_alu instid0(VALU_DEP_2) | instskip(SKIP_1) | instid1(VALU_DEP_3)
	v_cndmask_b32_e64 v93, v93, 0xffffff8a, vcc_lo
	v_cndmask_b32_e32 v95, v105, v95, vcc_lo
	v_lshl_add_u32 v105, 0x100000, v104, -1
	v_lshlrev_b32_e64 v108, v104, 0x80000
	s_delay_alu instid0(VALU_DEP_3) | instskip(SKIP_1) | instid1(VALU_DEP_4)
	v_lshrrev_b32_e32 v106, v104, v95
	v_add_nc_u32_e32 v104, v104, v93
	v_and_b32_e32 v95, v105, v95
	s_delay_alu instid0(VALU_DEP_3) | instskip(NEXT) | instid1(VALU_DEP_2)
	v_bfe_u32 v107, v106, 20, 1
	v_cmp_eq_u32_e64 s13, v95, v108
	s_delay_alu instid0(VALU_DEP_2) | instskip(NEXT) | instid1(VALU_DEP_1)
	v_add_nc_u32_e32 v105, -1, v107
	v_cndmask_b32_e64 v95, 0, v105, s13
	v_lshrrev_b32_e32 v105, 23, v106
	s_mov_b32 s13, exec_lo
	s_delay_alu instid0(VALU_DEP_2) | instskip(NEXT) | instid1(VALU_DEP_2)
	v_add_nc_u32_e32 v95, v95, v106
	v_xor_b32_e32 v105, 1, v105
	s_delay_alu instid0(VALU_DEP_2) | instskip(NEXT) | instid1(VALU_DEP_1)
	v_and_b32_e32 v93, 0xfffff, v95
	v_add_nc_u32_e32 v95, v93, v106
                                        ; implicit-def: $vgpr93
	s_delay_alu instid0(VALU_DEP_3)
	v_cmpx_ne_u32_e64 v104, v105
	s_xor_b32 s13, exec_lo, s13
; %bb.4284:                             ;   in Loop: Header=BB6_3361 Depth=3
	s_delay_alu instid0(VALU_DEP_2) | instskip(SKIP_2) | instid1(VALU_DEP_2)
	v_cmp_lt_u32_e32 vcc_lo, 0xffffff, v95
	v_sub_nc_u32_e32 v93, v104, v105
	v_cndmask_b32_e64 v104, 0, 1, vcc_lo
	v_add_co_ci_u32_e32 v93, vcc_lo, 0, v93, vcc_lo
	s_delay_alu instid0(VALU_DEP_2)
	v_lshrrev_b32_e32 v95, v104, v95
; %bb.4285:                             ;   in Loop: Header=BB6_3361 Depth=3
	s_and_not1_saveexec_b32 s13, s13
; %bb.4286:                             ;   in Loop: Header=BB6_3361 Depth=3
	s_delay_alu instid0(VALU_DEP_1)
	v_bfe_u32 v93, v95, 23, 1
; %bb.4287:                             ;   in Loop: Header=BB6_3361 Depth=3
	s_or_b32 exec_lo, exec_lo, s13
	v_lshrrev_b32_e32 v95, 20, v95
	s_delay_alu instid0(VALU_DEP_2) | instskip(SKIP_2) | instid1(VALU_DEP_2)
	v_cmp_gt_i32_e32 vcc_lo, 16, v93
	v_lshrrev_b32_e32 v94, 24, v94
	v_min_i32_e32 v104, 15, v93
	v_dual_cndmask_b32 v95, 7, v95 :: v_dual_and_b32 v94, 0x80, v94
	s_delay_alu instid0(VALU_DEP_1) | instskip(SKIP_1) | instid1(VALU_DEP_2)
	v_or_b32_e32 v93, v93, v95
	v_and_b32_e32 v105, 7, v95
	v_cmp_ne_u32_e32 vcc_lo, 0, v93
	v_lshlrev_b32_e32 v104, 3, v104
	s_delay_alu instid0(VALU_DEP_1) | instskip(NEXT) | instid1(VALU_DEP_1)
	v_or3_b32 v94, v104, v94, v105
	v_cndmask_b32_e32 v93, 0, v94, vcc_lo
.LBB6_4288:                             ;   in Loop: Header=BB6_3361 Depth=3
	s_or_b32 exec_lo, exec_lo, s17
.LBB6_4289:                             ;   in Loop: Header=BB6_3361 Depth=3
	s_delay_alu instid0(SALU_CYCLE_1) | instskip(SKIP_3) | instid1(VALU_DEP_1)
	s_or_b32 exec_lo, exec_lo, s16
	v_lshrrev_b32_e32 v95, 16, v14
	s_mov_b32 s13, 0
	s_mov_b32 s17, exec_lo
                                        ; implicit-def: $sgpr16
	v_and_b32_e32 v104, 0xff, v95
	s_delay_alu instid0(VALU_DEP_1)
	v_cmpx_lt_i16_e32 0x7f, v104
	s_xor_b32 s17, exec_lo, s17
	s_cbranch_execnz .LBB6_4847
; %bb.4290:                             ;   in Loop: Header=BB6_3361 Depth=3
	s_or_saveexec_b32 s17, s17
	v_mov_b32_e32 v94, s16
	s_xor_b32 exec_lo, exec_lo, s17
	s_cbranch_execnz .LBB6_4850
.LBB6_4291:                             ;   in Loop: Header=BB6_3361 Depth=3
	s_or_b32 exec_lo, exec_lo, s17
	s_and_saveexec_b32 s16, s13
	s_cbranch_execz .LBB6_4293
.LBB6_4292:                             ;   in Loop: Header=BB6_3361 Depth=3
	v_bfe_u32 v94, v14, 16, 3
	v_lshlrev_b32_e32 v106, 8, v14
	s_delay_alu instid0(VALU_DEP_2) | instskip(NEXT) | instid1(VALU_DEP_1)
	v_clz_i32_u32_e32 v104, v94
	v_min_u32_e32 v104, 32, v104
	s_delay_alu instid0(VALU_DEP_1) | instskip(SKIP_1) | instid1(VALU_DEP_2)
	v_subrev_nc_u32_e32 v105, 28, v104
	v_sub_nc_u32_e32 v104, 29, v104
	v_lshlrev_b32_e32 v95, v105, v95
	v_bfe_u32 v105, v14, 19, 4
	s_delay_alu instid0(VALU_DEP_1) | instskip(NEXT) | instid1(VALU_DEP_3)
	v_cmp_eq_u32_e32 vcc_lo, 0, v105
	v_dual_cndmask_b32 v104, v105, v104 :: v_dual_and_b32 v95, 7, v95
	s_delay_alu instid0(VALU_DEP_1) | instskip(NEXT) | instid1(VALU_DEP_2)
	v_dual_cndmask_b32 v94, v94, v95 :: v_dual_and_b32 v95, 0x80000000, v106
	v_lshl_add_u32 v104, v104, 23, 0x3b800000
	s_delay_alu instid0(VALU_DEP_2) | instskip(NEXT) | instid1(VALU_DEP_1)
	v_lshlrev_b32_e32 v94, 20, v94
	v_or3_b32 v94, v95, v104, v94
.LBB6_4293:                             ;   in Loop: Header=BB6_3361 Depth=3
	s_or_b32 exec_lo, exec_lo, s16
	v_lshrrev_b32_e32 v95, 16, v10
	s_mov_b32 s13, 0
	s_mov_b32 s17, exec_lo
                                        ; implicit-def: $sgpr16
	s_delay_alu instid0(VALU_DEP_1) | instskip(NEXT) | instid1(VALU_DEP_1)
	v_and_b32_e32 v105, 0xff, v95
	v_cmpx_lt_i16_e32 0x7f, v105
	s_xor_b32 s17, exec_lo, s17
	s_cbranch_execnz .LBB6_4851
; %bb.4294:                             ;   in Loop: Header=BB6_3361 Depth=3
	s_or_saveexec_b32 s17, s17
	v_mov_b32_e32 v104, s16
	s_xor_b32 exec_lo, exec_lo, s17
	s_cbranch_execnz .LBB6_4854
.LBB6_4295:                             ;   in Loop: Header=BB6_3361 Depth=3
	s_or_b32 exec_lo, exec_lo, s17
	s_and_saveexec_b32 s16, s13
	s_cbranch_execz .LBB6_4297
.LBB6_4296:                             ;   in Loop: Header=BB6_3361 Depth=3
	v_bfe_u32 v104, v10, 16, 3
	v_lshlrev_b32_e32 v107, 8, v10
	s_delay_alu instid0(VALU_DEP_2) | instskip(NEXT) | instid1(VALU_DEP_1)
	v_clz_i32_u32_e32 v105, v104
	v_min_u32_e32 v105, 32, v105
	s_delay_alu instid0(VALU_DEP_1) | instskip(SKIP_1) | instid1(VALU_DEP_2)
	v_subrev_nc_u32_e32 v106, 28, v105
	v_sub_nc_u32_e32 v105, 29, v105
	v_lshlrev_b32_e32 v95, v106, v95
	v_bfe_u32 v106, v10, 19, 4
	s_delay_alu instid0(VALU_DEP_2) | instskip(NEXT) | instid1(VALU_DEP_2)
	v_and_b32_e32 v95, 7, v95
	v_cmp_eq_u32_e32 vcc_lo, 0, v106
	v_cndmask_b32_e32 v105, v106, v105, vcc_lo
	s_delay_alu instid0(VALU_DEP_3) | instskip(SKIP_1) | instid1(VALU_DEP_3)
	v_cndmask_b32_e32 v95, v104, v95, vcc_lo
	v_and_b32_e32 v104, 0x80000000, v107
	v_lshl_add_u32 v105, v105, 23, 0x3b800000
	s_delay_alu instid0(VALU_DEP_3) | instskip(NEXT) | instid1(VALU_DEP_1)
	v_lshlrev_b32_e32 v95, 20, v95
	v_or3_b32 v104, v104, v105, v95
.LBB6_4297:                             ;   in Loop: Header=BB6_3361 Depth=3
	s_or_b32 exec_lo, exec_lo, s16
	s_delay_alu instid0(VALU_DEP_1) | instskip(NEXT) | instid1(VALU_DEP_1)
	v_add_f32_e32 v95, v94, v104
	v_and_b32_e32 v94, 0x7f800000, v95
	s_delay_alu instid0(VALU_DEP_1)
	v_cmp_ne_u32_e32 vcc_lo, 0x7f800000, v94
	v_mov_b32_e32 v94, 0x80
	s_and_saveexec_b32 s16, vcc_lo
	s_cbranch_execz .LBB6_4305
; %bb.4298:                             ;   in Loop: Header=BB6_3361 Depth=3
	v_mov_b32_e32 v94, 0
	s_mov_b32 s17, exec_lo
	v_cmpx_ne_u32_e32 0, v95
	s_cbranch_execz .LBB6_4304
; %bb.4299:                             ;   in Loop: Header=BB6_3361 Depth=3
	v_bfe_u32 v94, v95, 23, 8
	s_delay_alu instid0(VALU_DEP_1) | instskip(SKIP_1) | instid1(VALU_DEP_2)
	v_sub_nc_u32_e32 v105, 0x78, v94
	v_cmp_gt_u32_e32 vcc_lo, 0x79, v94
	v_dual_cndmask_b32 v105, 0, v105 :: v_dual_and_b32 v104, 0x7fffff, v95
	s_delay_alu instid0(VALU_DEP_1) | instskip(SKIP_2) | instid1(VALU_DEP_4)
	v_or_b32_e32 v106, 0x800000, v104
	v_cmp_eq_u32_e32 vcc_lo, 0, v94
	v_add_nc_u32_e32 v94, 0xffffff89, v94
	v_cndmask_b32_e64 v105, v105, 0x77, vcc_lo
	s_delay_alu instid0(VALU_DEP_2) | instskip(SKIP_1) | instid1(VALU_DEP_3)
	v_cndmask_b32_e64 v94, v94, 0xffffff8a, vcc_lo
	v_cndmask_b32_e32 v104, v106, v104, vcc_lo
	v_lshl_add_u32 v106, 0x100000, v105, -1
	v_lshlrev_b32_e64 v109, v105, 0x80000
	s_delay_alu instid0(VALU_DEP_3) | instskip(SKIP_1) | instid1(VALU_DEP_4)
	v_lshrrev_b32_e32 v107, v105, v104
	v_add_nc_u32_e32 v105, v105, v94
	v_and_b32_e32 v104, v106, v104
	s_delay_alu instid0(VALU_DEP_3) | instskip(NEXT) | instid1(VALU_DEP_2)
	v_bfe_u32 v108, v107, 20, 1
	v_cmp_eq_u32_e64 s13, v104, v109
	s_delay_alu instid0(VALU_DEP_2) | instskip(NEXT) | instid1(VALU_DEP_1)
	v_add_nc_u32_e32 v106, -1, v108
	v_cndmask_b32_e64 v104, 0, v106, s13
	v_lshrrev_b32_e32 v106, 23, v107
	s_mov_b32 s13, exec_lo
	s_delay_alu instid0(VALU_DEP_2) | instskip(NEXT) | instid1(VALU_DEP_2)
	v_add_nc_u32_e32 v104, v104, v107
	v_xor_b32_e32 v106, 1, v106
	s_delay_alu instid0(VALU_DEP_2) | instskip(NEXT) | instid1(VALU_DEP_1)
	v_and_b32_e32 v94, 0xfffff, v104
	v_add_nc_u32_e32 v104, v94, v107
                                        ; implicit-def: $vgpr94
	s_delay_alu instid0(VALU_DEP_3)
	v_cmpx_ne_u32_e64 v105, v106
	s_xor_b32 s13, exec_lo, s13
; %bb.4300:                             ;   in Loop: Header=BB6_3361 Depth=3
	s_delay_alu instid0(VALU_DEP_2) | instskip(SKIP_2) | instid1(VALU_DEP_2)
	v_cmp_lt_u32_e32 vcc_lo, 0xffffff, v104
	v_sub_nc_u32_e32 v94, v105, v106
	v_cndmask_b32_e64 v105, 0, 1, vcc_lo
	v_add_co_ci_u32_e32 v94, vcc_lo, 0, v94, vcc_lo
	s_delay_alu instid0(VALU_DEP_2)
	v_lshrrev_b32_e32 v104, v105, v104
; %bb.4301:                             ;   in Loop: Header=BB6_3361 Depth=3
	s_and_not1_saveexec_b32 s13, s13
; %bb.4302:                             ;   in Loop: Header=BB6_3361 Depth=3
	s_delay_alu instid0(VALU_DEP_1)
	v_bfe_u32 v94, v104, 23, 1
; %bb.4303:                             ;   in Loop: Header=BB6_3361 Depth=3
	s_or_b32 exec_lo, exec_lo, s13
	v_lshrrev_b32_e32 v104, 20, v104
	s_delay_alu instid0(VALU_DEP_2) | instskip(SKIP_2) | instid1(VALU_DEP_2)
	v_cmp_gt_i32_e32 vcc_lo, 16, v94
	v_lshrrev_b32_e32 v95, 24, v95
	v_min_i32_e32 v105, 15, v94
	v_dual_cndmask_b32 v104, 7, v104 :: v_dual_and_b32 v95, 0x80, v95
	s_delay_alu instid0(VALU_DEP_1) | instskip(SKIP_1) | instid1(VALU_DEP_2)
	v_or_b32_e32 v94, v94, v104
	v_and_b32_e32 v106, 7, v104
	v_cmp_ne_u32_e32 vcc_lo, 0, v94
	v_lshlrev_b32_e32 v105, 3, v105
	s_delay_alu instid0(VALU_DEP_1) | instskip(NEXT) | instid1(VALU_DEP_1)
	v_or3_b32 v95, v105, v95, v106
	v_cndmask_b32_e32 v94, 0, v95, vcc_lo
.LBB6_4304:                             ;   in Loop: Header=BB6_3361 Depth=3
	s_or_b32 exec_lo, exec_lo, s17
.LBB6_4305:                             ;   in Loop: Header=BB6_3361 Depth=3
	s_delay_alu instid0(SALU_CYCLE_1) | instskip(SKIP_3) | instid1(VALU_DEP_1)
	s_or_b32 exec_lo, exec_lo, s16
	v_lshrrev_b32_e32 v104, 24, v14
	s_mov_b32 s13, 0
	s_mov_b32 s17, exec_lo
                                        ; implicit-def: $sgpr16
	v_cmpx_lt_i16_e32 0x7f, v104
	s_xor_b32 s17, exec_lo, s17
	s_cbranch_execnz .LBB6_4855
; %bb.4306:                             ;   in Loop: Header=BB6_3361 Depth=3
	s_or_saveexec_b32 s17, s17
	v_mov_b32_e32 v95, s16
	s_xor_b32 exec_lo, exec_lo, s17
	s_cbranch_execnz .LBB6_4858
.LBB6_4307:                             ;   in Loop: Header=BB6_3361 Depth=3
	s_or_b32 exec_lo, exec_lo, s17
	s_and_saveexec_b32 s16, s13
	s_cbranch_execz .LBB6_4309
.LBB6_4308:                             ;   in Loop: Header=BB6_3361 Depth=3
	v_bfe_u32 v95, v14, 24, 3
	s_delay_alu instid0(VALU_DEP_1) | instskip(NEXT) | instid1(VALU_DEP_1)
	v_clz_i32_u32_e32 v105, v95
	v_min_u32_e32 v105, 32, v105
	s_delay_alu instid0(VALU_DEP_1) | instskip(SKIP_1) | instid1(VALU_DEP_2)
	v_subrev_nc_u32_e32 v106, 28, v105
	v_sub_nc_u32_e32 v105, 29, v105
	v_lshlrev_b32_e32 v104, v106, v104
	v_bfe_u32 v106, v14, 27, 4
	v_and_b32_e32 v14, 0x80000000, v14
	s_delay_alu instid0(VALU_DEP_2) | instskip(NEXT) | instid1(VALU_DEP_4)
	v_cmp_eq_u32_e32 vcc_lo, 0, v106
	v_dual_cndmask_b32 v105, v106, v105 :: v_dual_and_b32 v104, 7, v104
	s_delay_alu instid0(VALU_DEP_1) | instskip(NEXT) | instid1(VALU_DEP_2)
	v_cndmask_b32_e32 v95, v95, v104, vcc_lo
	v_lshl_add_u32 v104, v105, 23, 0x3b800000
	s_delay_alu instid0(VALU_DEP_2) | instskip(NEXT) | instid1(VALU_DEP_1)
	v_lshlrev_b32_e32 v95, 20, v95
	v_or3_b32 v95, v14, v104, v95
.LBB6_4309:                             ;   in Loop: Header=BB6_3361 Depth=3
	s_or_b32 exec_lo, exec_lo, s16
	v_lshrrev_b32_e32 v14, 24, v10
	s_mov_b32 s13, 0
	s_mov_b32 s17, exec_lo
                                        ; implicit-def: $sgpr16
	s_delay_alu instid0(VALU_DEP_1)
	v_cmpx_lt_i16_e32 0x7f, v14
	s_xor_b32 s17, exec_lo, s17
	s_cbranch_execnz .LBB6_4859
; %bb.4310:                             ;   in Loop: Header=BB6_3361 Depth=3
	s_or_saveexec_b32 s17, s17
	v_mov_b32_e32 v104, s16
	s_xor_b32 exec_lo, exec_lo, s17
	s_cbranch_execnz .LBB6_4862
.LBB6_4311:                             ;   in Loop: Header=BB6_3361 Depth=3
	s_or_b32 exec_lo, exec_lo, s17
	s_and_saveexec_b32 s16, s13
	s_cbranch_execz .LBB6_4313
.LBB6_4312:                             ;   in Loop: Header=BB6_3361 Depth=3
	v_bfe_u32 v104, v10, 24, 3
	s_delay_alu instid0(VALU_DEP_1) | instskip(NEXT) | instid1(VALU_DEP_1)
	v_clz_i32_u32_e32 v105, v104
	v_min_u32_e32 v105, 32, v105
	s_delay_alu instid0(VALU_DEP_1) | instskip(SKIP_1) | instid1(VALU_DEP_2)
	v_subrev_nc_u32_e32 v106, 28, v105
	v_sub_nc_u32_e32 v105, 29, v105
	v_lshlrev_b32_e32 v14, v106, v14
	v_bfe_u32 v106, v10, 27, 4
	v_and_b32_e32 v10, 0x80000000, v10
	s_delay_alu instid0(VALU_DEP_2) | instskip(NEXT) | instid1(VALU_DEP_4)
	v_cmp_eq_u32_e32 vcc_lo, 0, v106
	v_dual_cndmask_b32 v105, v106, v105 :: v_dual_and_b32 v14, 7, v14
	s_delay_alu instid0(VALU_DEP_1) | instskip(NEXT) | instid1(VALU_DEP_2)
	v_cndmask_b32_e32 v14, v104, v14, vcc_lo
	v_lshl_add_u32 v104, v105, 23, 0x3b800000
	s_delay_alu instid0(VALU_DEP_2) | instskip(NEXT) | instid1(VALU_DEP_1)
	v_lshlrev_b32_e32 v14, 20, v14
	v_or3_b32 v104, v10, v104, v14
.LBB6_4313:                             ;   in Loop: Header=BB6_3361 Depth=3
	s_or_b32 exec_lo, exec_lo, s16
	s_delay_alu instid0(VALU_DEP_1) | instskip(NEXT) | instid1(VALU_DEP_1)
	v_add_f32_e32 v14, v95, v104
	v_and_b32_e32 v10, 0x7f800000, v14
	s_delay_alu instid0(VALU_DEP_1)
	v_cmp_ne_u32_e32 vcc_lo, 0x7f800000, v10
	v_mov_b32_e32 v10, 0x80
	s_and_saveexec_b32 s16, vcc_lo
	s_cbranch_execz .LBB6_4321
; %bb.4314:                             ;   in Loop: Header=BB6_3361 Depth=3
	v_mov_b32_e32 v10, 0
	s_mov_b32 s17, exec_lo
	v_cmpx_ne_u32_e32 0, v14
	s_cbranch_execz .LBB6_4320
; %bb.4315:                             ;   in Loop: Header=BB6_3361 Depth=3
	v_bfe_u32 v10, v14, 23, 8
	s_delay_alu instid0(VALU_DEP_1) | instskip(SKIP_1) | instid1(VALU_DEP_2)
	v_sub_nc_u32_e32 v104, 0x78, v10
	v_cmp_gt_u32_e32 vcc_lo, 0x79, v10
	v_dual_cndmask_b32 v104, 0, v104 :: v_dual_and_b32 v95, 0x7fffff, v14
	s_delay_alu instid0(VALU_DEP_1) | instskip(SKIP_2) | instid1(VALU_DEP_4)
	v_or_b32_e32 v105, 0x800000, v95
	v_cmp_eq_u32_e32 vcc_lo, 0, v10
	v_add_nc_u32_e32 v10, 0xffffff89, v10
	v_cndmask_b32_e64 v104, v104, 0x77, vcc_lo
	s_delay_alu instid0(VALU_DEP_4) | instskip(NEXT) | instid1(VALU_DEP_3)
	v_cndmask_b32_e32 v95, v105, v95, vcc_lo
	v_cndmask_b32_e64 v10, v10, 0xffffff8a, vcc_lo
	s_delay_alu instid0(VALU_DEP_3) | instskip(NEXT) | instid1(VALU_DEP_3)
	v_lshl_add_u32 v105, 0x100000, v104, -1
	v_lshrrev_b32_e32 v106, v104, v95
	v_lshlrev_b32_e64 v108, v104, 0x80000
	s_delay_alu instid0(VALU_DEP_4) | instskip(NEXT) | instid1(VALU_DEP_4)
	v_add_nc_u32_e32 v104, v104, v10
	v_and_b32_e32 v95, v105, v95
	s_delay_alu instid0(VALU_DEP_4) | instskip(NEXT) | instid1(VALU_DEP_2)
	v_bfe_u32 v107, v106, 20, 1
	v_cmp_eq_u32_e64 s13, v95, v108
	s_delay_alu instid0(VALU_DEP_2) | instskip(NEXT) | instid1(VALU_DEP_1)
	v_add_nc_u32_e32 v105, -1, v107
	v_cndmask_b32_e64 v95, 0, v105, s13
	v_lshrrev_b32_e32 v105, 23, v106
	s_mov_b32 s13, exec_lo
	s_delay_alu instid0(VALU_DEP_2) | instskip(NEXT) | instid1(VALU_DEP_2)
	v_add_nc_u32_e32 v95, v95, v106
	v_xor_b32_e32 v105, 1, v105
	s_delay_alu instid0(VALU_DEP_2) | instskip(NEXT) | instid1(VALU_DEP_1)
	v_and_b32_e32 v10, 0xfffff, v95
	v_add_nc_u32_e32 v95, v10, v106
                                        ; implicit-def: $vgpr10
	s_delay_alu instid0(VALU_DEP_3)
	v_cmpx_ne_u32_e64 v104, v105
	s_xor_b32 s13, exec_lo, s13
; %bb.4316:                             ;   in Loop: Header=BB6_3361 Depth=3
	s_delay_alu instid0(VALU_DEP_2) | instskip(SKIP_2) | instid1(VALU_DEP_2)
	v_cmp_lt_u32_e32 vcc_lo, 0xffffff, v95
	v_sub_nc_u32_e32 v10, v104, v105
	v_cndmask_b32_e64 v104, 0, 1, vcc_lo
	v_add_co_ci_u32_e32 v10, vcc_lo, 0, v10, vcc_lo
	s_delay_alu instid0(VALU_DEP_2)
	v_lshrrev_b32_e32 v95, v104, v95
; %bb.4317:                             ;   in Loop: Header=BB6_3361 Depth=3
	s_and_not1_saveexec_b32 s13, s13
; %bb.4318:                             ;   in Loop: Header=BB6_3361 Depth=3
	s_delay_alu instid0(VALU_DEP_1)
	v_bfe_u32 v10, v95, 23, 1
; %bb.4319:                             ;   in Loop: Header=BB6_3361 Depth=3
	s_or_b32 exec_lo, exec_lo, s13
	v_lshrrev_b32_e32 v95, 20, v95
	s_delay_alu instid0(VALU_DEP_2) | instskip(SKIP_2) | instid1(VALU_DEP_2)
	v_cmp_gt_i32_e32 vcc_lo, 16, v10
	v_lshrrev_b32_e32 v14, 24, v14
	v_min_i32_e32 v104, 15, v10
	v_dual_cndmask_b32 v95, 7, v95 :: v_dual_and_b32 v14, 0x80, v14
	s_delay_alu instid0(VALU_DEP_2) | instskip(NEXT) | instid1(VALU_DEP_2)
	v_lshlrev_b32_e32 v104, 3, v104
	v_or_b32_e32 v10, v10, v95
	s_delay_alu instid0(VALU_DEP_1) | instskip(SKIP_1) | instid1(VALU_DEP_1)
	v_cmp_ne_u32_e32 vcc_lo, 0, v10
	v_and_b32_e32 v105, 7, v95
	v_or3_b32 v14, v104, v14, v105
	s_delay_alu instid0(VALU_DEP_1)
	v_cndmask_b32_e32 v10, 0, v14, vcc_lo
.LBB6_4320:                             ;   in Loop: Header=BB6_3361 Depth=3
	s_or_b32 exec_lo, exec_lo, s17
.LBB6_4321:                             ;   in Loop: Header=BB6_3361 Depth=3
	s_delay_alu instid0(SALU_CYCLE_1) | instskip(SKIP_3) | instid1(VALU_DEP_1)
	s_or_b32 exec_lo, exec_lo, s16
	v_and_b32_e32 v95, 0xff, v15
	s_mov_b32 s13, 0
	s_mov_b32 s17, exec_lo
                                        ; implicit-def: $sgpr16
	v_cmpx_lt_i16_e32 0x7f, v95
	s_xor_b32 s17, exec_lo, s17
	s_cbranch_execnz .LBB6_4863
; %bb.4322:                             ;   in Loop: Header=BB6_3361 Depth=3
	s_or_saveexec_b32 s17, s17
	v_mov_b32_e32 v14, s16
	s_xor_b32 exec_lo, exec_lo, s17
	s_cbranch_execnz .LBB6_4866
.LBB6_4323:                             ;   in Loop: Header=BB6_3361 Depth=3
	s_or_b32 exec_lo, exec_lo, s17
	s_and_saveexec_b32 s16, s13
	s_cbranch_execz .LBB6_4325
.LBB6_4324:                             ;   in Loop: Header=BB6_3361 Depth=3
	v_and_b32_e32 v14, 7, v15
	v_bfe_u32 v105, v15, 3, 4
	v_lshlrev_b32_e32 v106, 24, v15
	s_delay_alu instid0(VALU_DEP_3) | instskip(NEXT) | instid1(VALU_DEP_3)
	v_clz_i32_u32_e32 v95, v14
	v_cmp_eq_u32_e32 vcc_lo, 0, v105
	s_delay_alu instid0(VALU_DEP_2) | instskip(NEXT) | instid1(VALU_DEP_1)
	v_min_u32_e32 v95, 32, v95
	v_subrev_nc_u32_e32 v104, 28, v95
	v_sub_nc_u32_e32 v95, 29, v95
	s_delay_alu instid0(VALU_DEP_2) | instskip(NEXT) | instid1(VALU_DEP_1)
	v_lshlrev_b32_e32 v104, v104, v15
	v_dual_cndmask_b32 v95, v105, v95 :: v_dual_and_b32 v104, 7, v104
	s_delay_alu instid0(VALU_DEP_1) | instskip(NEXT) | instid1(VALU_DEP_2)
	v_lshl_add_u32 v95, v95, 23, 0x3b800000
	v_cndmask_b32_e32 v14, v14, v104, vcc_lo
	v_and_b32_e32 v104, 0x80000000, v106
	s_delay_alu instid0(VALU_DEP_2) | instskip(NEXT) | instid1(VALU_DEP_1)
	v_lshlrev_b32_e32 v14, 20, v14
	v_or3_b32 v14, v104, v95, v14
.LBB6_4325:                             ;   in Loop: Header=BB6_3361 Depth=3
	s_or_b32 exec_lo, exec_lo, s16
	v_and_b32_e32 v104, 0xff, v11
	s_mov_b32 s13, 0
	s_mov_b32 s17, exec_lo
                                        ; implicit-def: $sgpr16
	s_delay_alu instid0(VALU_DEP_1)
	v_cmpx_lt_i16_e32 0x7f, v104
	s_xor_b32 s17, exec_lo, s17
	s_cbranch_execnz .LBB6_4867
; %bb.4326:                             ;   in Loop: Header=BB6_3361 Depth=3
	s_or_saveexec_b32 s17, s17
	v_mov_b32_e32 v95, s16
	s_xor_b32 exec_lo, exec_lo, s17
	s_cbranch_execnz .LBB6_4870
.LBB6_4327:                             ;   in Loop: Header=BB6_3361 Depth=3
	s_or_b32 exec_lo, exec_lo, s17
	s_and_saveexec_b32 s16, s13
	s_cbranch_execz .LBB6_4329
.LBB6_4328:                             ;   in Loop: Header=BB6_3361 Depth=3
	v_bfe_u32 v106, v11, 3, 4
	v_lshlrev_b32_e32 v107, 24, v11
	s_delay_alu instid0(VALU_DEP_2) | instskip(SKIP_1) | instid1(VALU_DEP_1)
	v_cmp_eq_u32_e32 vcc_lo, 0, v106
	v_and_b32_e32 v95, 7, v11
	v_clz_i32_u32_e32 v104, v95
	s_delay_alu instid0(VALU_DEP_1) | instskip(NEXT) | instid1(VALU_DEP_1)
	v_min_u32_e32 v104, 32, v104
	v_subrev_nc_u32_e32 v105, 28, v104
	v_sub_nc_u32_e32 v104, 29, v104
	s_delay_alu instid0(VALU_DEP_1) | instskip(NEXT) | instid1(VALU_DEP_1)
	v_dual_cndmask_b32 v104, v106, v104 :: v_dual_lshlrev_b32 v105, v105, v11
	v_and_b32_e32 v105, 7, v105
	s_delay_alu instid0(VALU_DEP_2) | instskip(NEXT) | instid1(VALU_DEP_2)
	v_lshl_add_u32 v104, v104, 23, 0x3b800000
	v_cndmask_b32_e32 v95, v95, v105, vcc_lo
	v_and_b32_e32 v105, 0x80000000, v107
	s_delay_alu instid0(VALU_DEP_2) | instskip(NEXT) | instid1(VALU_DEP_1)
	v_lshlrev_b32_e32 v95, 20, v95
	v_or3_b32 v95, v105, v104, v95
.LBB6_4329:                             ;   in Loop: Header=BB6_3361 Depth=3
	s_or_b32 exec_lo, exec_lo, s16
	s_delay_alu instid0(VALU_DEP_1) | instskip(NEXT) | instid1(VALU_DEP_1)
	v_add_f32_e32 v95, v14, v95
	v_and_b32_e32 v14, 0x7f800000, v95
	s_delay_alu instid0(VALU_DEP_1)
	v_cmp_ne_u32_e32 vcc_lo, 0x7f800000, v14
	v_mov_b32_e32 v14, 0x80
	s_and_saveexec_b32 s16, vcc_lo
	s_cbranch_execz .LBB6_4337
; %bb.4330:                             ;   in Loop: Header=BB6_3361 Depth=3
	v_mov_b32_e32 v14, 0
	s_mov_b32 s17, exec_lo
	v_cmpx_ne_u32_e32 0, v95
	s_cbranch_execz .LBB6_4336
; %bb.4331:                             ;   in Loop: Header=BB6_3361 Depth=3
	v_bfe_u32 v14, v95, 23, 8
	s_delay_alu instid0(VALU_DEP_1) | instskip(SKIP_1) | instid1(VALU_DEP_2)
	v_sub_nc_u32_e32 v105, 0x78, v14
	v_cmp_gt_u32_e32 vcc_lo, 0x79, v14
	v_dual_cndmask_b32 v105, 0, v105 :: v_dual_and_b32 v104, 0x7fffff, v95
	s_delay_alu instid0(VALU_DEP_1) | instskip(SKIP_2) | instid1(VALU_DEP_4)
	v_or_b32_e32 v106, 0x800000, v104
	v_cmp_eq_u32_e32 vcc_lo, 0, v14
	v_add_nc_u32_e32 v14, 0xffffff89, v14
	v_cndmask_b32_e64 v105, v105, 0x77, vcc_lo
	s_delay_alu instid0(VALU_DEP_2) | instskip(SKIP_1) | instid1(VALU_DEP_3)
	v_cndmask_b32_e64 v14, v14, 0xffffff8a, vcc_lo
	v_cndmask_b32_e32 v104, v106, v104, vcc_lo
	v_lshl_add_u32 v106, 0x100000, v105, -1
	v_lshlrev_b32_e64 v109, v105, 0x80000
	s_delay_alu instid0(VALU_DEP_3) | instskip(SKIP_1) | instid1(VALU_DEP_4)
	v_lshrrev_b32_e32 v107, v105, v104
	v_add_nc_u32_e32 v105, v105, v14
	v_and_b32_e32 v104, v106, v104
	s_delay_alu instid0(VALU_DEP_3) | instskip(NEXT) | instid1(VALU_DEP_2)
	v_bfe_u32 v108, v107, 20, 1
	v_cmp_eq_u32_e64 s13, v104, v109
	s_delay_alu instid0(VALU_DEP_2) | instskip(NEXT) | instid1(VALU_DEP_1)
	v_add_nc_u32_e32 v106, -1, v108
	v_cndmask_b32_e64 v104, 0, v106, s13
	v_lshrrev_b32_e32 v106, 23, v107
	s_mov_b32 s13, exec_lo
	s_delay_alu instid0(VALU_DEP_2) | instskip(NEXT) | instid1(VALU_DEP_2)
	v_add_nc_u32_e32 v104, v104, v107
	v_xor_b32_e32 v106, 1, v106
	s_delay_alu instid0(VALU_DEP_2) | instskip(NEXT) | instid1(VALU_DEP_1)
	v_and_b32_e32 v14, 0xfffff, v104
	v_add_nc_u32_e32 v104, v14, v107
                                        ; implicit-def: $vgpr14
	s_delay_alu instid0(VALU_DEP_3)
	v_cmpx_ne_u32_e64 v105, v106
	s_xor_b32 s13, exec_lo, s13
; %bb.4332:                             ;   in Loop: Header=BB6_3361 Depth=3
	s_delay_alu instid0(VALU_DEP_2) | instskip(SKIP_2) | instid1(VALU_DEP_2)
	v_cmp_lt_u32_e32 vcc_lo, 0xffffff, v104
	v_sub_nc_u32_e32 v14, v105, v106
	v_cndmask_b32_e64 v105, 0, 1, vcc_lo
	v_add_co_ci_u32_e32 v14, vcc_lo, 0, v14, vcc_lo
	s_delay_alu instid0(VALU_DEP_2)
	v_lshrrev_b32_e32 v104, v105, v104
; %bb.4333:                             ;   in Loop: Header=BB6_3361 Depth=3
	s_and_not1_saveexec_b32 s13, s13
; %bb.4334:                             ;   in Loop: Header=BB6_3361 Depth=3
	s_delay_alu instid0(VALU_DEP_1)
	v_bfe_u32 v14, v104, 23, 1
; %bb.4335:                             ;   in Loop: Header=BB6_3361 Depth=3
	s_or_b32 exec_lo, exec_lo, s13
	v_lshrrev_b32_e32 v104, 20, v104
	s_delay_alu instid0(VALU_DEP_2) | instskip(SKIP_2) | instid1(VALU_DEP_2)
	v_cmp_gt_i32_e32 vcc_lo, 16, v14
	v_lshrrev_b32_e32 v95, 24, v95
	v_min_i32_e32 v105, 15, v14
	v_dual_cndmask_b32 v104, 7, v104 :: v_dual_and_b32 v95, 0x80, v95
	s_delay_alu instid0(VALU_DEP_1) | instskip(SKIP_1) | instid1(VALU_DEP_2)
	v_or_b32_e32 v14, v14, v104
	v_and_b32_e32 v106, 7, v104
	v_cmp_ne_u32_e32 vcc_lo, 0, v14
	v_lshlrev_b32_e32 v105, 3, v105
	s_delay_alu instid0(VALU_DEP_1) | instskip(NEXT) | instid1(VALU_DEP_1)
	v_or3_b32 v95, v105, v95, v106
	v_cndmask_b32_e32 v14, 0, v95, vcc_lo
.LBB6_4336:                             ;   in Loop: Header=BB6_3361 Depth=3
	s_or_b32 exec_lo, exec_lo, s17
.LBB6_4337:                             ;   in Loop: Header=BB6_3361 Depth=3
	s_delay_alu instid0(SALU_CYCLE_1) | instskip(SKIP_3) | instid1(VALU_DEP_1)
	s_or_b32 exec_lo, exec_lo, s16
	v_lshrrev_b16 v104, 8, v15
	s_mov_b32 s13, 0
	s_mov_b32 s17, exec_lo
                                        ; implicit-def: $sgpr16
	v_cmpx_lt_i16_e32 0x7f, v104
	s_xor_b32 s17, exec_lo, s17
	s_cbranch_execnz .LBB6_4871
; %bb.4338:                             ;   in Loop: Header=BB6_3361 Depth=3
	s_or_saveexec_b32 s17, s17
	v_mov_b32_e32 v95, s16
	s_xor_b32 exec_lo, exec_lo, s17
	s_cbranch_execnz .LBB6_4874
.LBB6_4339:                             ;   in Loop: Header=BB6_3361 Depth=3
	s_or_b32 exec_lo, exec_lo, s17
	s_and_saveexec_b32 s16, s13
	s_cbranch_execz .LBB6_4341
.LBB6_4340:                             ;   in Loop: Header=BB6_3361 Depth=3
	v_and_b32_e32 v95, 0xffff, v104
	s_delay_alu instid0(VALU_DEP_1) | instskip(NEXT) | instid1(VALU_DEP_1)
	v_and_b32_e32 v105, 7, v95
	v_clz_i32_u32_e32 v106, v105
	s_delay_alu instid0(VALU_DEP_1) | instskip(NEXT) | instid1(VALU_DEP_1)
	v_min_u32_e32 v106, 32, v106
	v_subrev_nc_u32_e32 v107, 28, v106
	v_sub_nc_u32_e32 v106, 29, v106
	s_delay_alu instid0(VALU_DEP_2) | instskip(SKIP_1) | instid1(VALU_DEP_2)
	v_lshlrev_b32_e32 v107, v107, v95
	v_bfe_u32 v95, v95, 3, 4
	v_and_b32_e32 v107, 7, v107
	s_delay_alu instid0(VALU_DEP_2) | instskip(SKIP_1) | instid1(VALU_DEP_1)
	v_cmp_eq_u32_e32 vcc_lo, 0, v95
	v_dual_cndmask_b32 v95, v95, v106 :: v_dual_lshlrev_b32 v104, 24, v104
	v_dual_cndmask_b32 v105, v105, v107 :: v_dual_and_b32 v104, 0x80000000, v104
	s_delay_alu instid0(VALU_DEP_2) | instskip(NEXT) | instid1(VALU_DEP_2)
	v_lshl_add_u32 v95, v95, 23, 0x3b800000
	v_lshlrev_b32_e32 v105, 20, v105
	s_delay_alu instid0(VALU_DEP_1)
	v_or3_b32 v95, v104, v95, v105
.LBB6_4341:                             ;   in Loop: Header=BB6_3361 Depth=3
	s_or_b32 exec_lo, exec_lo, s16
	v_lshrrev_b16 v104, 8, v11
	s_mov_b32 s13, 0
	s_mov_b32 s17, exec_lo
                                        ; implicit-def: $sgpr16
	s_delay_alu instid0(VALU_DEP_1)
	v_cmpx_lt_i16_e32 0x7f, v104
	s_xor_b32 s17, exec_lo, s17
	s_cbranch_execnz .LBB6_4875
; %bb.4342:                             ;   in Loop: Header=BB6_3361 Depth=3
	s_or_saveexec_b32 s17, s17
	v_mov_b32_e32 v105, s16
	s_xor_b32 exec_lo, exec_lo, s17
	s_cbranch_execnz .LBB6_4878
.LBB6_4343:                             ;   in Loop: Header=BB6_3361 Depth=3
	s_or_b32 exec_lo, exec_lo, s17
	s_and_saveexec_b32 s16, s13
	s_cbranch_execz .LBB6_4345
.LBB6_4344:                             ;   in Loop: Header=BB6_3361 Depth=3
	v_and_b32_e32 v105, 0xffff, v104
	v_lshlrev_b32_e32 v104, 24, v104
	s_delay_alu instid0(VALU_DEP_2) | instskip(NEXT) | instid1(VALU_DEP_2)
	v_and_b32_e32 v106, 7, v105
	v_and_b32_e32 v104, 0x80000000, v104
	s_delay_alu instid0(VALU_DEP_2) | instskip(NEXT) | instid1(VALU_DEP_1)
	v_clz_i32_u32_e32 v107, v106
	v_min_u32_e32 v107, 32, v107
	s_delay_alu instid0(VALU_DEP_1) | instskip(SKIP_1) | instid1(VALU_DEP_2)
	v_subrev_nc_u32_e32 v108, 28, v107
	v_sub_nc_u32_e32 v107, 29, v107
	v_lshlrev_b32_e32 v108, v108, v105
	v_bfe_u32 v105, v105, 3, 4
	s_delay_alu instid0(VALU_DEP_2) | instskip(NEXT) | instid1(VALU_DEP_2)
	v_and_b32_e32 v108, 7, v108
	v_cmp_eq_u32_e32 vcc_lo, 0, v105
	s_delay_alu instid0(VALU_DEP_2) | instskip(NEXT) | instid1(VALU_DEP_1)
	v_dual_cndmask_b32 v105, v105, v107 :: v_dual_cndmask_b32 v106, v106, v108
	v_lshl_add_u32 v105, v105, 23, 0x3b800000
	s_delay_alu instid0(VALU_DEP_2) | instskip(NEXT) | instid1(VALU_DEP_1)
	v_lshlrev_b32_e32 v106, 20, v106
	v_or3_b32 v105, v104, v105, v106
.LBB6_4345:                             ;   in Loop: Header=BB6_3361 Depth=3
	s_or_b32 exec_lo, exec_lo, s16
	s_delay_alu instid0(VALU_DEP_1) | instskip(NEXT) | instid1(VALU_DEP_1)
	v_add_f32_e32 v104, v95, v105
	v_and_b32_e32 v95, 0x7f800000, v104
	s_delay_alu instid0(VALU_DEP_1)
	v_cmp_ne_u32_e32 vcc_lo, 0x7f800000, v95
	v_mov_b32_e32 v95, 0x8000
	s_and_saveexec_b32 s16, vcc_lo
	s_cbranch_execz .LBB6_4353
; %bb.4346:                             ;   in Loop: Header=BB6_3361 Depth=3
	v_mov_b32_e32 v95, 0
	s_mov_b32 s17, exec_lo
	v_cmpx_ne_u32_e32 0, v104
	s_cbranch_execz .LBB6_4352
; %bb.4347:                             ;   in Loop: Header=BB6_3361 Depth=3
	v_bfe_u32 v95, v104, 23, 8
	s_delay_alu instid0(VALU_DEP_1) | instskip(SKIP_1) | instid1(VALU_DEP_2)
	v_sub_nc_u32_e32 v106, 0x78, v95
	v_cmp_gt_u32_e32 vcc_lo, 0x79, v95
	v_dual_cndmask_b32 v106, 0, v106 :: v_dual_and_b32 v105, 0x7fffff, v104
	s_delay_alu instid0(VALU_DEP_1) | instskip(SKIP_2) | instid1(VALU_DEP_4)
	v_or_b32_e32 v107, 0x800000, v105
	v_cmp_eq_u32_e32 vcc_lo, 0, v95
	v_add_nc_u32_e32 v95, 0xffffff89, v95
	v_cndmask_b32_e64 v106, v106, 0x77, vcc_lo
	s_delay_alu instid0(VALU_DEP_2) | instskip(SKIP_1) | instid1(VALU_DEP_3)
	v_cndmask_b32_e64 v95, v95, 0xffffff8a, vcc_lo
	v_cndmask_b32_e32 v105, v107, v105, vcc_lo
	v_lshl_add_u32 v107, 0x100000, v106, -1
	v_lshlrev_b32_e64 v110, v106, 0x80000
	s_delay_alu instid0(VALU_DEP_3) | instskip(SKIP_1) | instid1(VALU_DEP_4)
	v_lshrrev_b32_e32 v108, v106, v105
	v_add_nc_u32_e32 v106, v106, v95
	v_and_b32_e32 v105, v107, v105
	s_delay_alu instid0(VALU_DEP_3) | instskip(NEXT) | instid1(VALU_DEP_2)
	v_bfe_u32 v109, v108, 20, 1
	v_cmp_eq_u32_e64 s13, v105, v110
	s_delay_alu instid0(VALU_DEP_2) | instskip(NEXT) | instid1(VALU_DEP_1)
	v_add_nc_u32_e32 v107, -1, v109
	v_cndmask_b32_e64 v105, 0, v107, s13
	v_lshrrev_b32_e32 v107, 23, v108
	s_mov_b32 s13, exec_lo
	s_delay_alu instid0(VALU_DEP_2) | instskip(NEXT) | instid1(VALU_DEP_2)
	v_add_nc_u32_e32 v105, v105, v108
	v_xor_b32_e32 v107, 1, v107
	s_delay_alu instid0(VALU_DEP_2) | instskip(NEXT) | instid1(VALU_DEP_1)
	v_and_b32_e32 v95, 0xfffff, v105
	v_add_nc_u32_e32 v105, v95, v108
                                        ; implicit-def: $vgpr95
	s_delay_alu instid0(VALU_DEP_3)
	v_cmpx_ne_u32_e64 v106, v107
	s_xor_b32 s13, exec_lo, s13
; %bb.4348:                             ;   in Loop: Header=BB6_3361 Depth=3
	s_delay_alu instid0(VALU_DEP_2) | instskip(SKIP_2) | instid1(VALU_DEP_2)
	v_cmp_lt_u32_e32 vcc_lo, 0xffffff, v105
	v_sub_nc_u32_e32 v95, v106, v107
	v_cndmask_b32_e64 v106, 0, 1, vcc_lo
	v_add_co_ci_u32_e32 v95, vcc_lo, 0, v95, vcc_lo
	s_delay_alu instid0(VALU_DEP_2)
	v_lshrrev_b32_e32 v105, v106, v105
; %bb.4349:                             ;   in Loop: Header=BB6_3361 Depth=3
	s_and_not1_saveexec_b32 s13, s13
; %bb.4350:                             ;   in Loop: Header=BB6_3361 Depth=3
	s_delay_alu instid0(VALU_DEP_1)
	v_bfe_u32 v95, v105, 23, 1
; %bb.4351:                             ;   in Loop: Header=BB6_3361 Depth=3
	s_or_b32 exec_lo, exec_lo, s13
	v_lshrrev_b32_e32 v105, 20, v105
	s_delay_alu instid0(VALU_DEP_2) | instskip(SKIP_2) | instid1(VALU_DEP_2)
	v_cmp_gt_i32_e32 vcc_lo, 16, v95
	v_min_i32_e32 v106, 15, v95
	v_lshrrev_b32_e32 v104, 24, v104
	v_dual_cndmask_b32 v105, 7, v105 :: v_dual_lshlrev_b32 v106, 3, v106
	s_delay_alu instid0(VALU_DEP_2) | instskip(NEXT) | instid1(VALU_DEP_2)
	v_and_b32_e32 v104, 0x80, v104
	v_or_b32_e32 v95, v95, v105
	v_and_b32_e32 v107, 7, v105
	s_delay_alu instid0(VALU_DEP_2) | instskip(SKIP_1) | instid1(VALU_DEP_1)
	v_cmp_ne_u32_e32 vcc_lo, 0, v95
	v_and_b32_e32 v106, 0xf8, v106
	v_or3_b32 v104, v104, v106, v107
	s_delay_alu instid0(VALU_DEP_1) | instskip(NEXT) | instid1(VALU_DEP_1)
	v_lshlrev_b32_e32 v104, 8, v104
	v_cndmask_b32_e32 v95, 0, v104, vcc_lo
.LBB6_4352:                             ;   in Loop: Header=BB6_3361 Depth=3
	s_or_b32 exec_lo, exec_lo, s17
.LBB6_4353:                             ;   in Loop: Header=BB6_3361 Depth=3
	s_delay_alu instid0(SALU_CYCLE_1) | instskip(SKIP_3) | instid1(VALU_DEP_1)
	s_or_b32 exec_lo, exec_lo, s16
	v_lshrrev_b32_e32 v105, 16, v15
	s_mov_b32 s13, 0
	s_mov_b32 s17, exec_lo
                                        ; implicit-def: $sgpr16
	v_and_b32_e32 v106, 0xff, v105
	s_delay_alu instid0(VALU_DEP_1)
	v_cmpx_lt_i16_e32 0x7f, v106
	s_xor_b32 s17, exec_lo, s17
	s_cbranch_execnz .LBB6_4879
; %bb.4354:                             ;   in Loop: Header=BB6_3361 Depth=3
	s_or_saveexec_b32 s17, s17
	v_mov_b32_e32 v104, s16
	s_xor_b32 exec_lo, exec_lo, s17
	s_cbranch_execnz .LBB6_4882
.LBB6_4355:                             ;   in Loop: Header=BB6_3361 Depth=3
	s_or_b32 exec_lo, exec_lo, s17
	s_and_saveexec_b32 s16, s13
	s_cbranch_execz .LBB6_4357
.LBB6_4356:                             ;   in Loop: Header=BB6_3361 Depth=3
	v_bfe_u32 v104, v15, 16, 3
	v_lshlrev_b32_e32 v108, 8, v15
	s_delay_alu instid0(VALU_DEP_2) | instskip(NEXT) | instid1(VALU_DEP_1)
	v_clz_i32_u32_e32 v106, v104
	v_min_u32_e32 v106, 32, v106
	s_delay_alu instid0(VALU_DEP_1) | instskip(SKIP_1) | instid1(VALU_DEP_2)
	v_subrev_nc_u32_e32 v107, 28, v106
	v_sub_nc_u32_e32 v106, 29, v106
	v_lshlrev_b32_e32 v105, v107, v105
	v_bfe_u32 v107, v15, 19, 4
	s_delay_alu instid0(VALU_DEP_1) | instskip(NEXT) | instid1(VALU_DEP_3)
	v_cmp_eq_u32_e32 vcc_lo, 0, v107
	v_dual_cndmask_b32 v106, v107, v106 :: v_dual_and_b32 v105, 7, v105
	s_delay_alu instid0(VALU_DEP_1) | instskip(NEXT) | instid1(VALU_DEP_2)
	v_dual_cndmask_b32 v104, v104, v105 :: v_dual_and_b32 v105, 0x80000000, v108
	v_lshl_add_u32 v106, v106, 23, 0x3b800000
	s_delay_alu instid0(VALU_DEP_2) | instskip(NEXT) | instid1(VALU_DEP_1)
	v_lshlrev_b32_e32 v104, 20, v104
	v_or3_b32 v104, v105, v106, v104
.LBB6_4357:                             ;   in Loop: Header=BB6_3361 Depth=3
	s_or_b32 exec_lo, exec_lo, s16
	v_lshrrev_b32_e32 v105, 16, v11
	s_mov_b32 s13, 0
	s_mov_b32 s17, exec_lo
                                        ; implicit-def: $sgpr16
	s_delay_alu instid0(VALU_DEP_1) | instskip(NEXT) | instid1(VALU_DEP_1)
	v_and_b32_e32 v107, 0xff, v105
	v_cmpx_lt_i16_e32 0x7f, v107
	s_xor_b32 s17, exec_lo, s17
	s_cbranch_execnz .LBB6_4883
; %bb.4358:                             ;   in Loop: Header=BB6_3361 Depth=3
	s_or_saveexec_b32 s17, s17
	v_mov_b32_e32 v106, s16
	s_xor_b32 exec_lo, exec_lo, s17
	s_cbranch_execnz .LBB6_4886
.LBB6_4359:                             ;   in Loop: Header=BB6_3361 Depth=3
	s_or_b32 exec_lo, exec_lo, s17
	s_and_saveexec_b32 s16, s13
	s_cbranch_execz .LBB6_4361
.LBB6_4360:                             ;   in Loop: Header=BB6_3361 Depth=3
	v_bfe_u32 v106, v11, 16, 3
	v_lshlrev_b32_e32 v109, 8, v11
	s_delay_alu instid0(VALU_DEP_2) | instskip(NEXT) | instid1(VALU_DEP_1)
	v_clz_i32_u32_e32 v107, v106
	v_min_u32_e32 v107, 32, v107
	s_delay_alu instid0(VALU_DEP_1) | instskip(SKIP_1) | instid1(VALU_DEP_2)
	v_subrev_nc_u32_e32 v108, 28, v107
	v_sub_nc_u32_e32 v107, 29, v107
	v_lshlrev_b32_e32 v105, v108, v105
	v_bfe_u32 v108, v11, 19, 4
	s_delay_alu instid0(VALU_DEP_2) | instskip(NEXT) | instid1(VALU_DEP_2)
	v_and_b32_e32 v105, 7, v105
	v_cmp_eq_u32_e32 vcc_lo, 0, v108
	v_cndmask_b32_e32 v107, v108, v107, vcc_lo
	s_delay_alu instid0(VALU_DEP_3) | instskip(SKIP_1) | instid1(VALU_DEP_3)
	v_cndmask_b32_e32 v105, v106, v105, vcc_lo
	v_and_b32_e32 v106, 0x80000000, v109
	v_lshl_add_u32 v107, v107, 23, 0x3b800000
	s_delay_alu instid0(VALU_DEP_3) | instskip(NEXT) | instid1(VALU_DEP_1)
	v_lshlrev_b32_e32 v105, 20, v105
	v_or3_b32 v106, v106, v107, v105
.LBB6_4361:                             ;   in Loop: Header=BB6_3361 Depth=3
	s_or_b32 exec_lo, exec_lo, s16
	s_delay_alu instid0(VALU_DEP_1) | instskip(NEXT) | instid1(VALU_DEP_1)
	v_add_f32_e32 v105, v104, v106
	v_and_b32_e32 v104, 0x7f800000, v105
	s_delay_alu instid0(VALU_DEP_1)
	v_cmp_ne_u32_e32 vcc_lo, 0x7f800000, v104
	v_mov_b32_e32 v104, 0x80
	s_and_saveexec_b32 s16, vcc_lo
	s_cbranch_execz .LBB6_4369
; %bb.4362:                             ;   in Loop: Header=BB6_3361 Depth=3
	v_mov_b32_e32 v104, 0
	s_mov_b32 s17, exec_lo
	v_cmpx_ne_u32_e32 0, v105
	s_cbranch_execz .LBB6_4368
; %bb.4363:                             ;   in Loop: Header=BB6_3361 Depth=3
	v_bfe_u32 v104, v105, 23, 8
	s_delay_alu instid0(VALU_DEP_1) | instskip(SKIP_1) | instid1(VALU_DEP_2)
	v_sub_nc_u32_e32 v107, 0x78, v104
	v_cmp_gt_u32_e32 vcc_lo, 0x79, v104
	v_dual_cndmask_b32 v107, 0, v107 :: v_dual_and_b32 v106, 0x7fffff, v105
	s_delay_alu instid0(VALU_DEP_1) | instskip(SKIP_2) | instid1(VALU_DEP_4)
	v_or_b32_e32 v108, 0x800000, v106
	v_cmp_eq_u32_e32 vcc_lo, 0, v104
	v_add_nc_u32_e32 v104, 0xffffff89, v104
	v_cndmask_b32_e64 v107, v107, 0x77, vcc_lo
	s_delay_alu instid0(VALU_DEP_2) | instskip(SKIP_1) | instid1(VALU_DEP_3)
	v_cndmask_b32_e64 v104, v104, 0xffffff8a, vcc_lo
	v_cndmask_b32_e32 v106, v108, v106, vcc_lo
	v_lshl_add_u32 v108, 0x100000, v107, -1
	v_lshlrev_b32_e64 v111, v107, 0x80000
	s_delay_alu instid0(VALU_DEP_3) | instskip(SKIP_1) | instid1(VALU_DEP_4)
	v_lshrrev_b32_e32 v109, v107, v106
	v_add_nc_u32_e32 v107, v107, v104
	v_and_b32_e32 v106, v108, v106
	s_delay_alu instid0(VALU_DEP_3) | instskip(NEXT) | instid1(VALU_DEP_2)
	v_bfe_u32 v110, v109, 20, 1
	v_cmp_eq_u32_e64 s13, v106, v111
	s_delay_alu instid0(VALU_DEP_2) | instskip(NEXT) | instid1(VALU_DEP_1)
	v_add_nc_u32_e32 v108, -1, v110
	v_cndmask_b32_e64 v106, 0, v108, s13
	v_lshrrev_b32_e32 v108, 23, v109
	s_mov_b32 s13, exec_lo
	s_delay_alu instid0(VALU_DEP_2) | instskip(NEXT) | instid1(VALU_DEP_2)
	v_add_nc_u32_e32 v106, v106, v109
	v_xor_b32_e32 v108, 1, v108
	s_delay_alu instid0(VALU_DEP_2) | instskip(NEXT) | instid1(VALU_DEP_1)
	v_and_b32_e32 v104, 0xfffff, v106
	v_add_nc_u32_e32 v106, v104, v109
                                        ; implicit-def: $vgpr104
	s_delay_alu instid0(VALU_DEP_3)
	v_cmpx_ne_u32_e64 v107, v108
	s_xor_b32 s13, exec_lo, s13
; %bb.4364:                             ;   in Loop: Header=BB6_3361 Depth=3
	s_delay_alu instid0(VALU_DEP_2) | instskip(SKIP_2) | instid1(VALU_DEP_2)
	v_cmp_lt_u32_e32 vcc_lo, 0xffffff, v106
	v_sub_nc_u32_e32 v104, v107, v108
	v_cndmask_b32_e64 v107, 0, 1, vcc_lo
	v_add_co_ci_u32_e32 v104, vcc_lo, 0, v104, vcc_lo
	s_delay_alu instid0(VALU_DEP_2)
	v_lshrrev_b32_e32 v106, v107, v106
; %bb.4365:                             ;   in Loop: Header=BB6_3361 Depth=3
	s_and_not1_saveexec_b32 s13, s13
; %bb.4366:                             ;   in Loop: Header=BB6_3361 Depth=3
	s_delay_alu instid0(VALU_DEP_1)
	v_bfe_u32 v104, v106, 23, 1
; %bb.4367:                             ;   in Loop: Header=BB6_3361 Depth=3
	s_or_b32 exec_lo, exec_lo, s13
	v_lshrrev_b32_e32 v106, 20, v106
	s_delay_alu instid0(VALU_DEP_2) | instskip(SKIP_2) | instid1(VALU_DEP_2)
	v_cmp_gt_i32_e32 vcc_lo, 16, v104
	v_min_i32_e32 v107, 15, v104
	v_lshrrev_b32_e32 v105, 24, v105
	v_dual_cndmask_b32 v106, 7, v106 :: v_dual_lshlrev_b32 v107, 3, v107
	s_delay_alu instid0(VALU_DEP_2) | instskip(NEXT) | instid1(VALU_DEP_2)
	v_and_b32_e32 v105, 0x80, v105
	v_or_b32_e32 v104, v104, v106
	v_and_b32_e32 v108, 7, v106
	s_delay_alu instid0(VALU_DEP_2) | instskip(SKIP_1) | instid1(VALU_DEP_1)
	v_cmp_ne_u32_e32 vcc_lo, 0, v104
	v_and_b32_e32 v107, 0xf8, v107
	v_or3_b32 v105, v107, v105, v108
	s_delay_alu instid0(VALU_DEP_1)
	v_cndmask_b32_e32 v104, 0, v105, vcc_lo
.LBB6_4368:                             ;   in Loop: Header=BB6_3361 Depth=3
	s_or_b32 exec_lo, exec_lo, s17
.LBB6_4369:                             ;   in Loop: Header=BB6_3361 Depth=3
	s_delay_alu instid0(SALU_CYCLE_1) | instskip(SKIP_3) | instid1(VALU_DEP_1)
	s_or_b32 exec_lo, exec_lo, s16
	v_lshrrev_b32_e32 v106, 24, v15
	s_mov_b32 s13, 0
	s_mov_b32 s17, exec_lo
                                        ; implicit-def: $sgpr16
	v_cmpx_lt_i16_e32 0x7f, v106
	s_xor_b32 s17, exec_lo, s17
	s_cbranch_execnz .LBB6_4887
; %bb.4370:                             ;   in Loop: Header=BB6_3361 Depth=3
	s_or_saveexec_b32 s17, s17
	v_mov_b32_e32 v105, s16
	s_xor_b32 exec_lo, exec_lo, s17
	s_cbranch_execnz .LBB6_4890
.LBB6_4371:                             ;   in Loop: Header=BB6_3361 Depth=3
	s_or_b32 exec_lo, exec_lo, s17
	s_and_saveexec_b32 s16, s13
	s_cbranch_execz .LBB6_4373
.LBB6_4372:                             ;   in Loop: Header=BB6_3361 Depth=3
	v_bfe_u32 v105, v15, 24, 3
	s_delay_alu instid0(VALU_DEP_1) | instskip(NEXT) | instid1(VALU_DEP_1)
	v_clz_i32_u32_e32 v107, v105
	v_min_u32_e32 v107, 32, v107
	s_delay_alu instid0(VALU_DEP_1) | instskip(SKIP_1) | instid1(VALU_DEP_2)
	v_subrev_nc_u32_e32 v108, 28, v107
	v_sub_nc_u32_e32 v107, 29, v107
	v_lshlrev_b32_e32 v106, v108, v106
	v_bfe_u32 v108, v15, 27, 4
	v_and_b32_e32 v15, 0x80000000, v15
	s_delay_alu instid0(VALU_DEP_2) | instskip(NEXT) | instid1(VALU_DEP_4)
	v_cmp_eq_u32_e32 vcc_lo, 0, v108
	v_dual_cndmask_b32 v107, v108, v107 :: v_dual_and_b32 v106, 7, v106
	s_delay_alu instid0(VALU_DEP_1) | instskip(NEXT) | instid1(VALU_DEP_2)
	v_cndmask_b32_e32 v105, v105, v106, vcc_lo
	v_lshl_add_u32 v106, v107, 23, 0x3b800000
	s_delay_alu instid0(VALU_DEP_2) | instskip(NEXT) | instid1(VALU_DEP_1)
	v_lshlrev_b32_e32 v105, 20, v105
	v_or3_b32 v105, v15, v106, v105
.LBB6_4373:                             ;   in Loop: Header=BB6_3361 Depth=3
	s_or_b32 exec_lo, exec_lo, s16
	v_lshrrev_b32_e32 v15, 24, v11
	s_mov_b32 s13, 0
	s_mov_b32 s17, exec_lo
                                        ; implicit-def: $sgpr16
	s_delay_alu instid0(VALU_DEP_1)
	v_cmpx_lt_i16_e32 0x7f, v15
	s_xor_b32 s17, exec_lo, s17
	s_cbranch_execnz .LBB6_4891
; %bb.4374:                             ;   in Loop: Header=BB6_3361 Depth=3
	s_or_saveexec_b32 s17, s17
	v_mov_b32_e32 v106, s16
	s_xor_b32 exec_lo, exec_lo, s17
	s_cbranch_execnz .LBB6_4894
.LBB6_4375:                             ;   in Loop: Header=BB6_3361 Depth=3
	s_or_b32 exec_lo, exec_lo, s17
	s_and_saveexec_b32 s16, s13
	s_cbranch_execz .LBB6_4377
.LBB6_4376:                             ;   in Loop: Header=BB6_3361 Depth=3
	v_bfe_u32 v106, v11, 24, 3
	s_delay_alu instid0(VALU_DEP_1) | instskip(NEXT) | instid1(VALU_DEP_1)
	v_clz_i32_u32_e32 v107, v106
	v_min_u32_e32 v107, 32, v107
	s_delay_alu instid0(VALU_DEP_1) | instskip(SKIP_1) | instid1(VALU_DEP_2)
	v_subrev_nc_u32_e32 v108, 28, v107
	v_sub_nc_u32_e32 v107, 29, v107
	v_lshlrev_b32_e32 v15, v108, v15
	v_bfe_u32 v108, v11, 27, 4
	v_and_b32_e32 v11, 0x80000000, v11
	s_delay_alu instid0(VALU_DEP_3) | instskip(NEXT) | instid1(VALU_DEP_3)
	v_and_b32_e32 v15, 7, v15
	v_cmp_eq_u32_e32 vcc_lo, 0, v108
	v_cndmask_b32_e32 v107, v108, v107, vcc_lo
	s_delay_alu instid0(VALU_DEP_3) | instskip(NEXT) | instid1(VALU_DEP_2)
	v_cndmask_b32_e32 v15, v106, v15, vcc_lo
	v_lshl_add_u32 v106, v107, 23, 0x3b800000
	s_delay_alu instid0(VALU_DEP_2) | instskip(NEXT) | instid1(VALU_DEP_1)
	v_lshlrev_b32_e32 v15, 20, v15
	v_or3_b32 v106, v11, v106, v15
.LBB6_4377:                             ;   in Loop: Header=BB6_3361 Depth=3
	s_or_b32 exec_lo, exec_lo, s16
	s_delay_alu instid0(VALU_DEP_1) | instskip(NEXT) | instid1(VALU_DEP_1)
	v_add_f32_e32 v15, v105, v106
	v_and_b32_e32 v11, 0x7f800000, v15
	s_delay_alu instid0(VALU_DEP_1)
	v_cmp_ne_u32_e32 vcc_lo, 0x7f800000, v11
	v_mov_b32_e32 v11, 0x8000
	s_and_saveexec_b32 s16, vcc_lo
	s_cbranch_execz .LBB6_3360
; %bb.4378:                             ;   in Loop: Header=BB6_3361 Depth=3
	v_mov_b32_e32 v11, 0
	s_mov_b32 s17, exec_lo
	v_cmpx_ne_u32_e32 0, v15
	s_cbranch_execz .LBB6_3359
; %bb.4379:                             ;   in Loop: Header=BB6_3361 Depth=3
	v_bfe_u32 v11, v15, 23, 8
	s_delay_alu instid0(VALU_DEP_1) | instskip(SKIP_1) | instid1(VALU_DEP_2)
	v_sub_nc_u32_e32 v106, 0x78, v11
	v_cmp_gt_u32_e32 vcc_lo, 0x79, v11
	v_dual_cndmask_b32 v106, 0, v106 :: v_dual_and_b32 v105, 0x7fffff, v15
	s_delay_alu instid0(VALU_DEP_1) | instskip(SKIP_2) | instid1(VALU_DEP_4)
	v_or_b32_e32 v107, 0x800000, v105
	v_cmp_eq_u32_e32 vcc_lo, 0, v11
	v_add_nc_u32_e32 v11, 0xffffff89, v11
	v_cndmask_b32_e64 v106, v106, 0x77, vcc_lo
	s_delay_alu instid0(VALU_DEP_2) | instskip(SKIP_1) | instid1(VALU_DEP_3)
	v_cndmask_b32_e64 v11, v11, 0xffffff8a, vcc_lo
	v_cndmask_b32_e32 v105, v107, v105, vcc_lo
	v_lshl_add_u32 v107, 0x100000, v106, -1
	v_lshlrev_b32_e64 v110, v106, 0x80000
	s_delay_alu instid0(VALU_DEP_3) | instskip(SKIP_1) | instid1(VALU_DEP_4)
	v_lshrrev_b32_e32 v108, v106, v105
	v_add_nc_u32_e32 v106, v106, v11
	v_and_b32_e32 v105, v107, v105
	s_delay_alu instid0(VALU_DEP_3) | instskip(NEXT) | instid1(VALU_DEP_2)
	v_bfe_u32 v109, v108, 20, 1
	v_cmp_eq_u32_e64 s13, v105, v110
	s_delay_alu instid0(VALU_DEP_2) | instskip(NEXT) | instid1(VALU_DEP_1)
	v_add_nc_u32_e32 v107, -1, v109
	v_cndmask_b32_e64 v105, 0, v107, s13
	v_lshrrev_b32_e32 v107, 23, v108
	s_mov_b32 s13, exec_lo
	s_delay_alu instid0(VALU_DEP_2) | instskip(NEXT) | instid1(VALU_DEP_2)
	v_add_nc_u32_e32 v105, v105, v108
	v_xor_b32_e32 v107, 1, v107
	s_delay_alu instid0(VALU_DEP_2) | instskip(NEXT) | instid1(VALU_DEP_1)
	v_and_b32_e32 v11, 0xfffff, v105
	v_add_nc_u32_e32 v105, v11, v108
                                        ; implicit-def: $vgpr11
	s_delay_alu instid0(VALU_DEP_3)
	v_cmpx_ne_u32_e64 v106, v107
	s_xor_b32 s13, exec_lo, s13
; %bb.4380:                             ;   in Loop: Header=BB6_3361 Depth=3
	s_delay_alu instid0(VALU_DEP_2) | instskip(SKIP_2) | instid1(VALU_DEP_2)
	v_cmp_lt_u32_e32 vcc_lo, 0xffffff, v105
	v_sub_nc_u32_e32 v11, v106, v107
	v_cndmask_b32_e64 v106, 0, 1, vcc_lo
	v_add_co_ci_u32_e32 v11, vcc_lo, 0, v11, vcc_lo
	s_delay_alu instid0(VALU_DEP_2)
	v_lshrrev_b32_e32 v105, v106, v105
; %bb.4381:                             ;   in Loop: Header=BB6_3361 Depth=3
	s_and_not1_saveexec_b32 s13, s13
	s_cbranch_execz .LBB6_3358
; %bb.4382:                             ;   in Loop: Header=BB6_3361 Depth=3
	s_delay_alu instid0(VALU_DEP_1)
	v_bfe_u32 v11, v105, 23, 1
	s_branch .LBB6_3358
.LBB6_4383:                             ;   in Loop: Header=BB6_3361 Depth=3
	s_mov_b32 s13, -1
	s_mov_b32 s30, exec_lo
                                        ; implicit-def: $sgpr16
	v_cmpx_eq_u16_e32 0x80, v41
; %bb.4384:                             ;   in Loop: Header=BB6_3361 Depth=3
	s_mov_b32 s16, 0x7f800001
	s_xor_b32 s13, exec_lo, -1
; %bb.4385:                             ;   in Loop: Header=BB6_3361 Depth=3
	s_or_b32 exec_lo, exec_lo, s30
	s_delay_alu instid0(SALU_CYCLE_1)
	s_and_b32 s13, s13, exec_lo
                                        ; implicit-def: $vgpr41
	s_or_saveexec_b32 s17, s17
	v_mov_b32_e32 v40, s16
	s_xor_b32 exec_lo, exec_lo, s17
	s_cbranch_execz .LBB6_3363
.LBB6_4386:                             ;   in Loop: Header=BB6_3361 Depth=3
	v_cmp_ne_u16_e32 vcc_lo, 0, v41
	v_mov_b32_e32 v40, 0
	s_and_not1_b32 s13, s13, exec_lo
	s_and_b32 s16, vcc_lo, exec_lo
	s_delay_alu instid0(SALU_CYCLE_1)
	s_or_b32 s13, s13, s16
	s_or_b32 exec_lo, exec_lo, s17
	s_and_saveexec_b32 s16, s13
	s_cbranch_execnz .LBB6_3364
	s_branch .LBB6_3365
.LBB6_4387:                             ;   in Loop: Header=BB6_3361 Depth=3
	s_mov_b32 s13, -1
	s_mov_b32 s30, exec_lo
                                        ; implicit-def: $sgpr16
	v_cmpx_eq_u16_e32 0x80, v42
; %bb.4388:                             ;   in Loop: Header=BB6_3361 Depth=3
	s_mov_b32 s16, 0x7f800001
	s_xor_b32 s13, exec_lo, -1
; %bb.4389:                             ;   in Loop: Header=BB6_3361 Depth=3
	s_or_b32 exec_lo, exec_lo, s30
	s_delay_alu instid0(SALU_CYCLE_1)
	s_and_b32 s13, s13, exec_lo
                                        ; implicit-def: $vgpr42
	s_or_saveexec_b32 s17, s17
	v_mov_b32_e32 v41, s16
	s_xor_b32 exec_lo, exec_lo, s17
	s_cbranch_execz .LBB6_3367
.LBB6_4390:                             ;   in Loop: Header=BB6_3361 Depth=3
	v_cmp_ne_u16_e32 vcc_lo, 0, v42
	v_mov_b32_e32 v41, 0
	s_and_not1_b32 s13, s13, exec_lo
	s_and_b32 s16, vcc_lo, exec_lo
	s_delay_alu instid0(SALU_CYCLE_1)
	s_or_b32 s13, s13, s16
	s_or_b32 exec_lo, exec_lo, s17
	s_and_saveexec_b32 s16, s13
	s_cbranch_execnz .LBB6_3368
	s_branch .LBB6_3369
.LBB6_4391:                             ;   in Loop: Header=BB6_3361 Depth=3
	s_mov_b32 s13, -1
	s_mov_b32 s30, exec_lo
                                        ; implicit-def: $sgpr16
	v_cmpx_eq_u16_e32 0x80, v42
; %bb.4392:                             ;   in Loop: Header=BB6_3361 Depth=3
	s_mov_b32 s16, 0x7f800001
	s_xor_b32 s13, exec_lo, -1
; %bb.4393:                             ;   in Loop: Header=BB6_3361 Depth=3
	s_or_b32 exec_lo, exec_lo, s30
	s_delay_alu instid0(SALU_CYCLE_1)
	s_and_b32 s13, s13, exec_lo
	s_or_saveexec_b32 s17, s17
	v_mov_b32_e32 v41, s16
	s_xor_b32 exec_lo, exec_lo, s17
	s_cbranch_execz .LBB6_3379
.LBB6_4394:                             ;   in Loop: Header=BB6_3361 Depth=3
	v_cmp_ne_u16_e32 vcc_lo, 0, v42
	v_mov_b32_e32 v41, 0
	s_and_not1_b32 s13, s13, exec_lo
	s_and_b32 s16, vcc_lo, exec_lo
	s_delay_alu instid0(SALU_CYCLE_1)
	s_or_b32 s13, s13, s16
	s_or_b32 exec_lo, exec_lo, s17
	s_and_saveexec_b32 s16, s13
	s_cbranch_execnz .LBB6_3380
	s_branch .LBB6_3381
.LBB6_4395:                             ;   in Loop: Header=BB6_3361 Depth=3
	s_mov_b32 s13, -1
	s_mov_b32 s30, exec_lo
                                        ; implicit-def: $sgpr16
	v_cmpx_eq_u16_e32 0x80, v42
; %bb.4396:                             ;   in Loop: Header=BB6_3361 Depth=3
	s_mov_b32 s16, 0x7f800001
	s_xor_b32 s13, exec_lo, -1
; %bb.4397:                             ;   in Loop: Header=BB6_3361 Depth=3
	s_or_b32 exec_lo, exec_lo, s30
	s_delay_alu instid0(SALU_CYCLE_1)
	s_and_b32 s13, s13, exec_lo
	s_or_saveexec_b32 s17, s17
	v_mov_b32_e32 v43, s16
	s_xor_b32 exec_lo, exec_lo, s17
	s_cbranch_execz .LBB6_3383
.LBB6_4398:                             ;   in Loop: Header=BB6_3361 Depth=3
	v_cmp_ne_u16_e32 vcc_lo, 0, v42
	v_mov_b32_e32 v43, 0
	s_and_not1_b32 s13, s13, exec_lo
	s_and_b32 s16, vcc_lo, exec_lo
	s_delay_alu instid0(SALU_CYCLE_1)
	s_or_b32 s13, s13, s16
	s_or_b32 exec_lo, exec_lo, s17
	s_and_saveexec_b32 s16, s13
	s_cbranch_execnz .LBB6_3384
	s_branch .LBB6_3385
.LBB6_4399:                             ;   in Loop: Header=BB6_3361 Depth=3
	s_mov_b32 s13, -1
	s_mov_b32 s30, exec_lo
                                        ; implicit-def: $sgpr16
	v_cmpx_eq_u16_e32 0x80, v44
; %bb.4400:                             ;   in Loop: Header=BB6_3361 Depth=3
	s_mov_b32 s16, 0x7f800001
	s_xor_b32 s13, exec_lo, -1
; %bb.4401:                             ;   in Loop: Header=BB6_3361 Depth=3
	s_or_b32 exec_lo, exec_lo, s30
	s_delay_alu instid0(SALU_CYCLE_1)
	s_and_b32 s13, s13, exec_lo
                                        ; implicit-def: $vgpr44
	s_or_saveexec_b32 s17, s17
	v_mov_b32_e32 v42, s16
	s_xor_b32 exec_lo, exec_lo, s17
	s_cbranch_execz .LBB6_3395
.LBB6_4402:                             ;   in Loop: Header=BB6_3361 Depth=3
	v_cmp_ne_u16_e32 vcc_lo, 0, v44
	v_mov_b32_e32 v42, 0
	s_and_not1_b32 s13, s13, exec_lo
	s_and_b32 s16, vcc_lo, exec_lo
	s_delay_alu instid0(SALU_CYCLE_1)
	s_or_b32 s13, s13, s16
	s_or_b32 exec_lo, exec_lo, s17
	s_and_saveexec_b32 s16, s13
	s_cbranch_execnz .LBB6_3396
	s_branch .LBB6_3397
.LBB6_4403:                             ;   in Loop: Header=BB6_3361 Depth=3
	s_mov_b32 s13, -1
	s_mov_b32 s30, exec_lo
                                        ; implicit-def: $sgpr16
	v_cmpx_eq_u16_e32 0x80, v45
; %bb.4404:                             ;   in Loop: Header=BB6_3361 Depth=3
	s_mov_b32 s16, 0x7f800001
	s_xor_b32 s13, exec_lo, -1
; %bb.4405:                             ;   in Loop: Header=BB6_3361 Depth=3
	s_or_b32 exec_lo, exec_lo, s30
	s_delay_alu instid0(SALU_CYCLE_1)
	s_and_b32 s13, s13, exec_lo
                                        ; implicit-def: $vgpr45
	s_or_saveexec_b32 s17, s17
	v_mov_b32_e32 v44, s16
	s_xor_b32 exec_lo, exec_lo, s17
	s_cbranch_execz .LBB6_3399
.LBB6_4406:                             ;   in Loop: Header=BB6_3361 Depth=3
	v_cmp_ne_u16_e32 vcc_lo, 0, v45
	v_mov_b32_e32 v44, 0
	s_and_not1_b32 s13, s13, exec_lo
	s_and_b32 s16, vcc_lo, exec_lo
	s_delay_alu instid0(SALU_CYCLE_1)
	s_or_b32 s13, s13, s16
	s_or_b32 exec_lo, exec_lo, s17
	s_and_saveexec_b32 s16, s13
	s_cbranch_execnz .LBB6_3400
	s_branch .LBB6_3401
.LBB6_4407:                             ;   in Loop: Header=BB6_3361 Depth=3
	s_mov_b32 s13, -1
	s_mov_b32 s30, exec_lo
                                        ; implicit-def: $sgpr16
	v_cmpx_eq_u16_e32 0x80, v44
; %bb.4408:                             ;   in Loop: Header=BB6_3361 Depth=3
	s_mov_b32 s16, 0x7f800001
	s_xor_b32 s13, exec_lo, -1
; %bb.4409:                             ;   in Loop: Header=BB6_3361 Depth=3
	s_or_b32 exec_lo, exec_lo, s30
	s_delay_alu instid0(SALU_CYCLE_1)
	s_and_b32 s13, s13, exec_lo
	s_or_saveexec_b32 s17, s17
	v_mov_b32_e32 v43, s16
	s_xor_b32 exec_lo, exec_lo, s17
	s_cbranch_execz .LBB6_3411
.LBB6_4410:                             ;   in Loop: Header=BB6_3361 Depth=3
	v_cmp_ne_u16_e32 vcc_lo, 0, v44
	v_mov_b32_e32 v43, 0
	s_and_not1_b32 s13, s13, exec_lo
	s_and_b32 s16, vcc_lo, exec_lo
	s_delay_alu instid0(SALU_CYCLE_1)
	s_or_b32 s13, s13, s16
	s_or_b32 exec_lo, exec_lo, s17
	s_and_saveexec_b32 s16, s13
	s_cbranch_execnz .LBB6_3412
	s_branch .LBB6_3413
.LBB6_4411:                             ;   in Loop: Header=BB6_3361 Depth=3
	s_mov_b32 s13, -1
	s_mov_b32 s30, exec_lo
                                        ; implicit-def: $sgpr16
	v_cmpx_eq_u16_e32 0x80, v48
; %bb.4412:                             ;   in Loop: Header=BB6_3361 Depth=3
	s_mov_b32 s16, 0x7f800001
	s_xor_b32 s13, exec_lo, -1
; %bb.4413:                             ;   in Loop: Header=BB6_3361 Depth=3
	s_or_b32 exec_lo, exec_lo, s30
	s_delay_alu instid0(SALU_CYCLE_1)
	s_and_b32 s13, s13, exec_lo
	s_or_saveexec_b32 s17, s17
	v_mov_b32_e32 v44, s16
	s_xor_b32 exec_lo, exec_lo, s17
	s_cbranch_execz .LBB6_3415
.LBB6_4414:                             ;   in Loop: Header=BB6_3361 Depth=3
	v_cmp_ne_u16_e32 vcc_lo, 0, v48
	v_mov_b32_e32 v44, 0
	s_and_not1_b32 s13, s13, exec_lo
	s_and_b32 s16, vcc_lo, exec_lo
	s_delay_alu instid0(SALU_CYCLE_1)
	s_or_b32 s13, s13, s16
	s_or_b32 exec_lo, exec_lo, s17
	s_and_saveexec_b32 s16, s13
	s_cbranch_execnz .LBB6_3416
	s_branch .LBB6_3417
.LBB6_4415:                             ;   in Loop: Header=BB6_3361 Depth=3
	s_mov_b32 s13, -1
	s_mov_b32 s30, exec_lo
                                        ; implicit-def: $sgpr16
	v_cmpx_eq_u16_e32 0x80, v43
; %bb.4416:                             ;   in Loop: Header=BB6_3361 Depth=3
	s_mov_b32 s16, 0x7f800001
	s_xor_b32 s13, exec_lo, -1
; %bb.4417:                             ;   in Loop: Header=BB6_3361 Depth=3
	s_or_b32 exec_lo, exec_lo, s30
	s_delay_alu instid0(SALU_CYCLE_1)
	s_and_b32 s13, s13, exec_lo
                                        ; implicit-def: $vgpr43
	s_or_saveexec_b32 s17, s17
	v_mov_b32_e32 v48, s16
	s_xor_b32 exec_lo, exec_lo, s17
	s_cbranch_execz .LBB6_3427
.LBB6_4418:                             ;   in Loop: Header=BB6_3361 Depth=3
	v_cmp_ne_u16_e32 vcc_lo, 0, v43
	v_mov_b32_e32 v48, 0
	s_and_not1_b32 s13, s13, exec_lo
	s_and_b32 s16, vcc_lo, exec_lo
	s_delay_alu instid0(SALU_CYCLE_1)
	s_or_b32 s13, s13, s16
	s_or_b32 exec_lo, exec_lo, s17
	s_and_saveexec_b32 s16, s13
	s_cbranch_execnz .LBB6_3428
	s_branch .LBB6_3429
.LBB6_4419:                             ;   in Loop: Header=BB6_3361 Depth=3
	s_mov_b32 s13, -1
	s_mov_b32 s30, exec_lo
                                        ; implicit-def: $sgpr16
	v_cmpx_eq_u16_e32 0x80, v44
; %bb.4420:                             ;   in Loop: Header=BB6_3361 Depth=3
	s_mov_b32 s16, 0x7f800001
	s_xor_b32 s13, exec_lo, -1
; %bb.4421:                             ;   in Loop: Header=BB6_3361 Depth=3
	s_or_b32 exec_lo, exec_lo, s30
	s_delay_alu instid0(SALU_CYCLE_1)
	s_and_b32 s13, s13, exec_lo
                                        ; implicit-def: $vgpr44
	s_or_saveexec_b32 s17, s17
	v_mov_b32_e32 v43, s16
	s_xor_b32 exec_lo, exec_lo, s17
	s_cbranch_execz .LBB6_3431
.LBB6_4422:                             ;   in Loop: Header=BB6_3361 Depth=3
	v_cmp_ne_u16_e32 vcc_lo, 0, v44
	v_mov_b32_e32 v43, 0
	s_and_not1_b32 s13, s13, exec_lo
	s_and_b32 s16, vcc_lo, exec_lo
	s_delay_alu instid0(SALU_CYCLE_1)
	s_or_b32 s13, s13, s16
	s_or_b32 exec_lo, exec_lo, s17
	s_and_saveexec_b32 s16, s13
	s_cbranch_execnz .LBB6_3432
	s_branch .LBB6_3433
.LBB6_4423:                             ;   in Loop: Header=BB6_3361 Depth=3
	s_mov_b32 s13, -1
	s_mov_b32 s30, exec_lo
                                        ; implicit-def: $sgpr16
	v_cmpx_eq_u16_e32 0x80, v44
; %bb.4424:                             ;   in Loop: Header=BB6_3361 Depth=3
	s_mov_b32 s16, 0x7f800001
	s_xor_b32 s13, exec_lo, -1
; %bb.4425:                             ;   in Loop: Header=BB6_3361 Depth=3
	s_or_b32 exec_lo, exec_lo, s30
	s_delay_alu instid0(SALU_CYCLE_1)
	s_and_b32 s13, s13, exec_lo
	s_or_saveexec_b32 s17, s17
	v_mov_b32_e32 v43, s16
	s_xor_b32 exec_lo, exec_lo, s17
	s_cbranch_execz .LBB6_3443
.LBB6_4426:                             ;   in Loop: Header=BB6_3361 Depth=3
	v_cmp_ne_u16_e32 vcc_lo, 0, v44
	v_mov_b32_e32 v43, 0
	s_and_not1_b32 s13, s13, exec_lo
	s_and_b32 s16, vcc_lo, exec_lo
	s_delay_alu instid0(SALU_CYCLE_1)
	s_or_b32 s13, s13, s16
	s_or_b32 exec_lo, exec_lo, s17
	s_and_saveexec_b32 s16, s13
	s_cbranch_execnz .LBB6_3444
	s_branch .LBB6_3445
.LBB6_4427:                             ;   in Loop: Header=BB6_3361 Depth=3
	s_mov_b32 s13, -1
	s_mov_b32 s30, exec_lo
                                        ; implicit-def: $sgpr16
	v_cmpx_eq_u16_e32 0x80, v44
; %bb.4428:                             ;   in Loop: Header=BB6_3361 Depth=3
	s_mov_b32 s16, 0x7f800001
	s_xor_b32 s13, exec_lo, -1
; %bb.4429:                             ;   in Loop: Header=BB6_3361 Depth=3
	s_or_b32 exec_lo, exec_lo, s30
	s_delay_alu instid0(SALU_CYCLE_1)
	s_and_b32 s13, s13, exec_lo
	s_or_saveexec_b32 s17, s17
	v_mov_b32_e32 v45, s16
	s_xor_b32 exec_lo, exec_lo, s17
	s_cbranch_execz .LBB6_3447
.LBB6_4430:                             ;   in Loop: Header=BB6_3361 Depth=3
	v_cmp_ne_u16_e32 vcc_lo, 0, v44
	v_mov_b32_e32 v45, 0
	s_and_not1_b32 s13, s13, exec_lo
	s_and_b32 s16, vcc_lo, exec_lo
	s_delay_alu instid0(SALU_CYCLE_1)
	s_or_b32 s13, s13, s16
	s_or_b32 exec_lo, exec_lo, s17
	s_and_saveexec_b32 s16, s13
	s_cbranch_execnz .LBB6_3448
	s_branch .LBB6_3449
.LBB6_4431:                             ;   in Loop: Header=BB6_3361 Depth=3
	s_mov_b32 s13, -1
	s_mov_b32 s30, exec_lo
                                        ; implicit-def: $sgpr16
	v_cmpx_eq_u16_e32 0x80, v46
; %bb.4432:                             ;   in Loop: Header=BB6_3361 Depth=3
	s_mov_b32 s16, 0x7f800001
	s_xor_b32 s13, exec_lo, -1
; %bb.4433:                             ;   in Loop: Header=BB6_3361 Depth=3
	s_or_b32 exec_lo, exec_lo, s30
	s_delay_alu instid0(SALU_CYCLE_1)
	s_and_b32 s13, s13, exec_lo
                                        ; implicit-def: $vgpr46
	s_or_saveexec_b32 s17, s17
	v_mov_b32_e32 v44, s16
	s_xor_b32 exec_lo, exec_lo, s17
	s_cbranch_execz .LBB6_3459
.LBB6_4434:                             ;   in Loop: Header=BB6_3361 Depth=3
	v_cmp_ne_u16_e32 vcc_lo, 0, v46
	v_mov_b32_e32 v44, 0
	s_and_not1_b32 s13, s13, exec_lo
	s_and_b32 s16, vcc_lo, exec_lo
	s_delay_alu instid0(SALU_CYCLE_1)
	s_or_b32 s13, s13, s16
	s_or_b32 exec_lo, exec_lo, s17
	s_and_saveexec_b32 s16, s13
	s_cbranch_execnz .LBB6_3460
	s_branch .LBB6_3461
.LBB6_4435:                             ;   in Loop: Header=BB6_3361 Depth=3
	s_mov_b32 s13, -1
	s_mov_b32 s30, exec_lo
                                        ; implicit-def: $sgpr16
	v_cmpx_eq_u16_e32 0x80, v47
; %bb.4436:                             ;   in Loop: Header=BB6_3361 Depth=3
	s_mov_b32 s16, 0x7f800001
	s_xor_b32 s13, exec_lo, -1
; %bb.4437:                             ;   in Loop: Header=BB6_3361 Depth=3
	s_or_b32 exec_lo, exec_lo, s30
	s_delay_alu instid0(SALU_CYCLE_1)
	s_and_b32 s13, s13, exec_lo
                                        ; implicit-def: $vgpr47
	s_or_saveexec_b32 s17, s17
	v_mov_b32_e32 v46, s16
	s_xor_b32 exec_lo, exec_lo, s17
	s_cbranch_execz .LBB6_3463
.LBB6_4438:                             ;   in Loop: Header=BB6_3361 Depth=3
	v_cmp_ne_u16_e32 vcc_lo, 0, v47
	v_mov_b32_e32 v46, 0
	s_and_not1_b32 s13, s13, exec_lo
	s_and_b32 s16, vcc_lo, exec_lo
	s_delay_alu instid0(SALU_CYCLE_1)
	s_or_b32 s13, s13, s16
	s_or_b32 exec_lo, exec_lo, s17
	s_and_saveexec_b32 s16, s13
	s_cbranch_execnz .LBB6_3464
	s_branch .LBB6_3465
.LBB6_4439:                             ;   in Loop: Header=BB6_3361 Depth=3
	s_mov_b32 s13, -1
	s_mov_b32 s30, exec_lo
                                        ; implicit-def: $sgpr16
	v_cmpx_eq_u16_e32 0x80, v46
; %bb.4440:                             ;   in Loop: Header=BB6_3361 Depth=3
	s_mov_b32 s16, 0x7f800001
	s_xor_b32 s13, exec_lo, -1
; %bb.4441:                             ;   in Loop: Header=BB6_3361 Depth=3
	s_or_b32 exec_lo, exec_lo, s30
	s_delay_alu instid0(SALU_CYCLE_1)
	s_and_b32 s13, s13, exec_lo
	s_or_saveexec_b32 s17, s17
	v_mov_b32_e32 v45, s16
	s_xor_b32 exec_lo, exec_lo, s17
	s_cbranch_execz .LBB6_3475
.LBB6_4442:                             ;   in Loop: Header=BB6_3361 Depth=3
	v_cmp_ne_u16_e32 vcc_lo, 0, v46
	v_mov_b32_e32 v45, 0
	s_and_not1_b32 s13, s13, exec_lo
	s_and_b32 s16, vcc_lo, exec_lo
	s_delay_alu instid0(SALU_CYCLE_1)
	s_or_b32 s13, s13, s16
	s_or_b32 exec_lo, exec_lo, s17
	s_and_saveexec_b32 s16, s13
	s_cbranch_execnz .LBB6_3476
	s_branch .LBB6_3477
.LBB6_4443:                             ;   in Loop: Header=BB6_3361 Depth=3
	s_mov_b32 s13, -1
	s_mov_b32 s30, exec_lo
                                        ; implicit-def: $sgpr16
	v_cmpx_eq_u16_e32 0x80, v49
; %bb.4444:                             ;   in Loop: Header=BB6_3361 Depth=3
	s_mov_b32 s16, 0x7f800001
	s_xor_b32 s13, exec_lo, -1
; %bb.4445:                             ;   in Loop: Header=BB6_3361 Depth=3
	s_or_b32 exec_lo, exec_lo, s30
	s_delay_alu instid0(SALU_CYCLE_1)
	s_and_b32 s13, s13, exec_lo
	s_or_saveexec_b32 s17, s17
	v_mov_b32_e32 v46, s16
	s_xor_b32 exec_lo, exec_lo, s17
	s_cbranch_execz .LBB6_3479
.LBB6_4446:                             ;   in Loop: Header=BB6_3361 Depth=3
	v_cmp_ne_u16_e32 vcc_lo, 0, v49
	v_mov_b32_e32 v46, 0
	s_and_not1_b32 s13, s13, exec_lo
	s_and_b32 s16, vcc_lo, exec_lo
	s_delay_alu instid0(SALU_CYCLE_1)
	s_or_b32 s13, s13, s16
	s_or_b32 exec_lo, exec_lo, s17
	s_and_saveexec_b32 s16, s13
	s_cbranch_execnz .LBB6_3480
	s_branch .LBB6_3481
.LBB6_4447:                             ;   in Loop: Header=BB6_3361 Depth=3
	s_mov_b32 s13, -1
	s_mov_b32 s30, exec_lo
                                        ; implicit-def: $sgpr16
	v_cmpx_eq_u16_e32 0x80, v45
; %bb.4448:                             ;   in Loop: Header=BB6_3361 Depth=3
	s_mov_b32 s16, 0x7f800001
	s_xor_b32 s13, exec_lo, -1
; %bb.4449:                             ;   in Loop: Header=BB6_3361 Depth=3
	s_or_b32 exec_lo, exec_lo, s30
	s_delay_alu instid0(SALU_CYCLE_1)
	s_and_b32 s13, s13, exec_lo
                                        ; implicit-def: $vgpr45
	s_or_saveexec_b32 s17, s17
	v_mov_b32_e32 v49, s16
	s_xor_b32 exec_lo, exec_lo, s17
	s_cbranch_execz .LBB6_3491
.LBB6_4450:                             ;   in Loop: Header=BB6_3361 Depth=3
	v_cmp_ne_u16_e32 vcc_lo, 0, v45
	v_mov_b32_e32 v49, 0
	s_and_not1_b32 s13, s13, exec_lo
	s_and_b32 s16, vcc_lo, exec_lo
	s_delay_alu instid0(SALU_CYCLE_1)
	s_or_b32 s13, s13, s16
	s_or_b32 exec_lo, exec_lo, s17
	s_and_saveexec_b32 s16, s13
	s_cbranch_execnz .LBB6_3492
	s_branch .LBB6_3493
.LBB6_4451:                             ;   in Loop: Header=BB6_3361 Depth=3
	s_mov_b32 s13, -1
	s_mov_b32 s30, exec_lo
                                        ; implicit-def: $sgpr16
	v_cmpx_eq_u16_e32 0x80, v46
; %bb.4452:                             ;   in Loop: Header=BB6_3361 Depth=3
	s_mov_b32 s16, 0x7f800001
	s_xor_b32 s13, exec_lo, -1
; %bb.4453:                             ;   in Loop: Header=BB6_3361 Depth=3
	s_or_b32 exec_lo, exec_lo, s30
	s_delay_alu instid0(SALU_CYCLE_1)
	s_and_b32 s13, s13, exec_lo
                                        ; implicit-def: $vgpr46
	s_or_saveexec_b32 s17, s17
	v_mov_b32_e32 v45, s16
	s_xor_b32 exec_lo, exec_lo, s17
	s_cbranch_execz .LBB6_3495
.LBB6_4454:                             ;   in Loop: Header=BB6_3361 Depth=3
	v_cmp_ne_u16_e32 vcc_lo, 0, v46
	v_mov_b32_e32 v45, 0
	s_and_not1_b32 s13, s13, exec_lo
	s_and_b32 s16, vcc_lo, exec_lo
	s_delay_alu instid0(SALU_CYCLE_1)
	s_or_b32 s13, s13, s16
	s_or_b32 exec_lo, exec_lo, s17
	s_and_saveexec_b32 s16, s13
	s_cbranch_execnz .LBB6_3496
	s_branch .LBB6_3497
.LBB6_4455:                             ;   in Loop: Header=BB6_3361 Depth=3
	s_mov_b32 s13, -1
	s_mov_b32 s30, exec_lo
                                        ; implicit-def: $sgpr16
	v_cmpx_eq_u16_e32 0x80, v46
; %bb.4456:                             ;   in Loop: Header=BB6_3361 Depth=3
	s_mov_b32 s16, 0x7f800001
	s_xor_b32 s13, exec_lo, -1
; %bb.4457:                             ;   in Loop: Header=BB6_3361 Depth=3
	s_or_b32 exec_lo, exec_lo, s30
	s_delay_alu instid0(SALU_CYCLE_1)
	s_and_b32 s13, s13, exec_lo
	s_or_saveexec_b32 s17, s17
	v_mov_b32_e32 v45, s16
	s_xor_b32 exec_lo, exec_lo, s17
	s_cbranch_execz .LBB6_3507
.LBB6_4458:                             ;   in Loop: Header=BB6_3361 Depth=3
	v_cmp_ne_u16_e32 vcc_lo, 0, v46
	v_mov_b32_e32 v45, 0
	s_and_not1_b32 s13, s13, exec_lo
	s_and_b32 s16, vcc_lo, exec_lo
	s_delay_alu instid0(SALU_CYCLE_1)
	s_or_b32 s13, s13, s16
	s_or_b32 exec_lo, exec_lo, s17
	s_and_saveexec_b32 s16, s13
	s_cbranch_execnz .LBB6_3508
	s_branch .LBB6_3509
.LBB6_4459:                             ;   in Loop: Header=BB6_3361 Depth=3
	s_mov_b32 s13, -1
	s_mov_b32 s30, exec_lo
                                        ; implicit-def: $sgpr16
	v_cmpx_eq_u16_e32 0x80, v46
; %bb.4460:                             ;   in Loop: Header=BB6_3361 Depth=3
	s_mov_b32 s16, 0x7f800001
	s_xor_b32 s13, exec_lo, -1
; %bb.4461:                             ;   in Loop: Header=BB6_3361 Depth=3
	s_or_b32 exec_lo, exec_lo, s30
	s_delay_alu instid0(SALU_CYCLE_1)
	s_and_b32 s13, s13, exec_lo
	s_or_saveexec_b32 s17, s17
	v_mov_b32_e32 v47, s16
	s_xor_b32 exec_lo, exec_lo, s17
	s_cbranch_execz .LBB6_3511
.LBB6_4462:                             ;   in Loop: Header=BB6_3361 Depth=3
	v_cmp_ne_u16_e32 vcc_lo, 0, v46
	v_mov_b32_e32 v47, 0
	s_and_not1_b32 s13, s13, exec_lo
	s_and_b32 s16, vcc_lo, exec_lo
	s_delay_alu instid0(SALU_CYCLE_1)
	s_or_b32 s13, s13, s16
	s_or_b32 exec_lo, exec_lo, s17
	s_and_saveexec_b32 s16, s13
	s_cbranch_execnz .LBB6_3512
	s_branch .LBB6_3513
.LBB6_4463:                             ;   in Loop: Header=BB6_3361 Depth=3
	s_mov_b32 s13, -1
	s_mov_b32 s30, exec_lo
                                        ; implicit-def: $sgpr16
	v_cmpx_eq_u16_e32 0x80, v56
; %bb.4464:                             ;   in Loop: Header=BB6_3361 Depth=3
	s_mov_b32 s16, 0x7f800001
	s_xor_b32 s13, exec_lo, -1
; %bb.4465:                             ;   in Loop: Header=BB6_3361 Depth=3
	s_or_b32 exec_lo, exec_lo, s30
	s_delay_alu instid0(SALU_CYCLE_1)
	s_and_b32 s13, s13, exec_lo
                                        ; implicit-def: $vgpr56
	s_or_saveexec_b32 s17, s17
	v_mov_b32_e32 v46, s16
	s_xor_b32 exec_lo, exec_lo, s17
	s_cbranch_execz .LBB6_3523
.LBB6_4466:                             ;   in Loop: Header=BB6_3361 Depth=3
	v_cmp_ne_u16_e32 vcc_lo, 0, v56
	v_mov_b32_e32 v46, 0
	s_and_not1_b32 s13, s13, exec_lo
	s_and_b32 s16, vcc_lo, exec_lo
	s_delay_alu instid0(SALU_CYCLE_1)
	s_or_b32 s13, s13, s16
	s_or_b32 exec_lo, exec_lo, s17
	s_and_saveexec_b32 s16, s13
	s_cbranch_execnz .LBB6_3524
	s_branch .LBB6_3525
.LBB6_4467:                             ;   in Loop: Header=BB6_3361 Depth=3
	s_mov_b32 s13, -1
	s_mov_b32 s30, exec_lo
                                        ; implicit-def: $sgpr16
	v_cmpx_eq_u16_e32 0x80, v57
; %bb.4468:                             ;   in Loop: Header=BB6_3361 Depth=3
	s_mov_b32 s16, 0x7f800001
	s_xor_b32 s13, exec_lo, -1
; %bb.4469:                             ;   in Loop: Header=BB6_3361 Depth=3
	s_or_b32 exec_lo, exec_lo, s30
	s_delay_alu instid0(SALU_CYCLE_1)
	s_and_b32 s13, s13, exec_lo
                                        ; implicit-def: $vgpr57
	s_or_saveexec_b32 s17, s17
	v_mov_b32_e32 v56, s16
	s_xor_b32 exec_lo, exec_lo, s17
	s_cbranch_execz .LBB6_3527
.LBB6_4470:                             ;   in Loop: Header=BB6_3361 Depth=3
	v_cmp_ne_u16_e32 vcc_lo, 0, v57
	v_mov_b32_e32 v56, 0
	s_and_not1_b32 s13, s13, exec_lo
	s_and_b32 s16, vcc_lo, exec_lo
	s_delay_alu instid0(SALU_CYCLE_1)
	s_or_b32 s13, s13, s16
	s_or_b32 exec_lo, exec_lo, s17
	s_and_saveexec_b32 s16, s13
	s_cbranch_execnz .LBB6_3528
	s_branch .LBB6_3529
.LBB6_4471:                             ;   in Loop: Header=BB6_3361 Depth=3
	s_mov_b32 s13, -1
	s_mov_b32 s30, exec_lo
                                        ; implicit-def: $sgpr16
	v_cmpx_eq_u16_e32 0x80, v56
; %bb.4472:                             ;   in Loop: Header=BB6_3361 Depth=3
	s_mov_b32 s16, 0x7f800001
	s_xor_b32 s13, exec_lo, -1
; %bb.4473:                             ;   in Loop: Header=BB6_3361 Depth=3
	s_or_b32 exec_lo, exec_lo, s30
	s_delay_alu instid0(SALU_CYCLE_1)
	s_and_b32 s13, s13, exec_lo
	s_or_saveexec_b32 s17, s17
	v_mov_b32_e32 v47, s16
	s_xor_b32 exec_lo, exec_lo, s17
	s_cbranch_execz .LBB6_3539
.LBB6_4474:                             ;   in Loop: Header=BB6_3361 Depth=3
	v_cmp_ne_u16_e32 vcc_lo, 0, v56
	v_mov_b32_e32 v47, 0
	s_and_not1_b32 s13, s13, exec_lo
	s_and_b32 s16, vcc_lo, exec_lo
	s_delay_alu instid0(SALU_CYCLE_1)
	s_or_b32 s13, s13, s16
	s_or_b32 exec_lo, exec_lo, s17
	s_and_saveexec_b32 s16, s13
	s_cbranch_execnz .LBB6_3540
	s_branch .LBB6_3541
.LBB6_4475:                             ;   in Loop: Header=BB6_3361 Depth=3
	s_mov_b32 s13, -1
	s_mov_b32 s30, exec_lo
                                        ; implicit-def: $sgpr16
	v_cmpx_eq_u16_e32 0x80, v50
; %bb.4476:                             ;   in Loop: Header=BB6_3361 Depth=3
	s_mov_b32 s16, 0x7f800001
	s_xor_b32 s13, exec_lo, -1
; %bb.4477:                             ;   in Loop: Header=BB6_3361 Depth=3
	s_or_b32 exec_lo, exec_lo, s30
	s_delay_alu instid0(SALU_CYCLE_1)
	s_and_b32 s13, s13, exec_lo
	s_or_saveexec_b32 s17, s17
	v_mov_b32_e32 v56, s16
	s_xor_b32 exec_lo, exec_lo, s17
	s_cbranch_execz .LBB6_3543
.LBB6_4478:                             ;   in Loop: Header=BB6_3361 Depth=3
	v_cmp_ne_u16_e32 vcc_lo, 0, v50
	v_mov_b32_e32 v56, 0
	s_and_not1_b32 s13, s13, exec_lo
	s_and_b32 s16, vcc_lo, exec_lo
	s_delay_alu instid0(SALU_CYCLE_1)
	s_or_b32 s13, s13, s16
	s_or_b32 exec_lo, exec_lo, s17
	s_and_saveexec_b32 s16, s13
	s_cbranch_execnz .LBB6_3544
	s_branch .LBB6_3545
.LBB6_4479:                             ;   in Loop: Header=BB6_3361 Depth=3
	s_mov_b32 s13, -1
	s_mov_b32 s30, exec_lo
                                        ; implicit-def: $sgpr16
	v_cmpx_eq_u16_e32 0x80, v47
; %bb.4480:                             ;   in Loop: Header=BB6_3361 Depth=3
	s_mov_b32 s16, 0x7f800001
	s_xor_b32 s13, exec_lo, -1
; %bb.4481:                             ;   in Loop: Header=BB6_3361 Depth=3
	s_or_b32 exec_lo, exec_lo, s30
	s_delay_alu instid0(SALU_CYCLE_1)
	s_and_b32 s13, s13, exec_lo
                                        ; implicit-def: $vgpr47
	s_or_saveexec_b32 s17, s17
	v_mov_b32_e32 v50, s16
	s_xor_b32 exec_lo, exec_lo, s17
	s_cbranch_execz .LBB6_3555
.LBB6_4482:                             ;   in Loop: Header=BB6_3361 Depth=3
	v_cmp_ne_u16_e32 vcc_lo, 0, v47
	v_mov_b32_e32 v50, 0
	s_and_not1_b32 s13, s13, exec_lo
	s_and_b32 s16, vcc_lo, exec_lo
	s_delay_alu instid0(SALU_CYCLE_1)
	s_or_b32 s13, s13, s16
	s_or_b32 exec_lo, exec_lo, s17
	s_and_saveexec_b32 s16, s13
	s_cbranch_execnz .LBB6_3556
	s_branch .LBB6_3557
.LBB6_4483:                             ;   in Loop: Header=BB6_3361 Depth=3
	s_mov_b32 s13, -1
	s_mov_b32 s30, exec_lo
                                        ; implicit-def: $sgpr16
	v_cmpx_eq_u16_e32 0x80, v56
; %bb.4484:                             ;   in Loop: Header=BB6_3361 Depth=3
	s_mov_b32 s16, 0x7f800001
	s_xor_b32 s13, exec_lo, -1
; %bb.4485:                             ;   in Loop: Header=BB6_3361 Depth=3
	s_or_b32 exec_lo, exec_lo, s30
	s_delay_alu instid0(SALU_CYCLE_1)
	s_and_b32 s13, s13, exec_lo
                                        ; implicit-def: $vgpr56
	s_or_saveexec_b32 s17, s17
	v_mov_b32_e32 v47, s16
	s_xor_b32 exec_lo, exec_lo, s17
	s_cbranch_execz .LBB6_3559
.LBB6_4486:                             ;   in Loop: Header=BB6_3361 Depth=3
	v_cmp_ne_u16_e32 vcc_lo, 0, v56
	v_mov_b32_e32 v47, 0
	s_and_not1_b32 s13, s13, exec_lo
	s_and_b32 s16, vcc_lo, exec_lo
	s_delay_alu instid0(SALU_CYCLE_1)
	s_or_b32 s13, s13, s16
	s_or_b32 exec_lo, exec_lo, s17
	s_and_saveexec_b32 s16, s13
	s_cbranch_execnz .LBB6_3560
	s_branch .LBB6_3561
.LBB6_4487:                             ;   in Loop: Header=BB6_3361 Depth=3
	s_mov_b32 s13, -1
	s_mov_b32 s30, exec_lo
                                        ; implicit-def: $sgpr16
	v_cmpx_eq_u16_e32 0x80, v56
; %bb.4488:                             ;   in Loop: Header=BB6_3361 Depth=3
	s_mov_b32 s16, 0x7f800001
	s_xor_b32 s13, exec_lo, -1
; %bb.4489:                             ;   in Loop: Header=BB6_3361 Depth=3
	s_or_b32 exec_lo, exec_lo, s30
	s_delay_alu instid0(SALU_CYCLE_1)
	s_and_b32 s13, s13, exec_lo
	s_or_saveexec_b32 s17, s17
	v_mov_b32_e32 v47, s16
	s_xor_b32 exec_lo, exec_lo, s17
	s_cbranch_execz .LBB6_3571
.LBB6_4490:                             ;   in Loop: Header=BB6_3361 Depth=3
	v_cmp_ne_u16_e32 vcc_lo, 0, v56
	v_mov_b32_e32 v47, 0
	s_and_not1_b32 s13, s13, exec_lo
	s_and_b32 s16, vcc_lo, exec_lo
	s_delay_alu instid0(SALU_CYCLE_1)
	s_or_b32 s13, s13, s16
	s_or_b32 exec_lo, exec_lo, s17
	s_and_saveexec_b32 s16, s13
	s_cbranch_execnz .LBB6_3572
	s_branch .LBB6_3573
.LBB6_4491:                             ;   in Loop: Header=BB6_3361 Depth=3
	s_mov_b32 s13, -1
	s_mov_b32 s30, exec_lo
                                        ; implicit-def: $sgpr16
	v_cmpx_eq_u16_e32 0x80, v56
; %bb.4492:                             ;   in Loop: Header=BB6_3361 Depth=3
	s_mov_b32 s16, 0x7f800001
	s_xor_b32 s13, exec_lo, -1
; %bb.4493:                             ;   in Loop: Header=BB6_3361 Depth=3
	s_or_b32 exec_lo, exec_lo, s30
	s_delay_alu instid0(SALU_CYCLE_1)
	s_and_b32 s13, s13, exec_lo
	s_or_saveexec_b32 s17, s17
	v_mov_b32_e32 v57, s16
	s_xor_b32 exec_lo, exec_lo, s17
	s_cbranch_execz .LBB6_3575
.LBB6_4494:                             ;   in Loop: Header=BB6_3361 Depth=3
	v_cmp_ne_u16_e32 vcc_lo, 0, v56
	v_mov_b32_e32 v57, 0
	s_and_not1_b32 s13, s13, exec_lo
	s_and_b32 s16, vcc_lo, exec_lo
	s_delay_alu instid0(SALU_CYCLE_1)
	s_or_b32 s13, s13, s16
	s_or_b32 exec_lo, exec_lo, s17
	s_and_saveexec_b32 s16, s13
	s_cbranch_execnz .LBB6_3576
	s_branch .LBB6_3577
.LBB6_4495:                             ;   in Loop: Header=BB6_3361 Depth=3
	s_mov_b32 s13, -1
	s_mov_b32 s30, exec_lo
                                        ; implicit-def: $sgpr16
	v_cmpx_eq_u16_e32 0x80, v58
; %bb.4496:                             ;   in Loop: Header=BB6_3361 Depth=3
	s_mov_b32 s16, 0x7f800001
	s_xor_b32 s13, exec_lo, -1
; %bb.4497:                             ;   in Loop: Header=BB6_3361 Depth=3
	s_or_b32 exec_lo, exec_lo, s30
	s_delay_alu instid0(SALU_CYCLE_1)
	s_and_b32 s13, s13, exec_lo
                                        ; implicit-def: $vgpr58
	s_or_saveexec_b32 s17, s17
	v_mov_b32_e32 v56, s16
	s_xor_b32 exec_lo, exec_lo, s17
	s_cbranch_execz .LBB6_3587
.LBB6_4498:                             ;   in Loop: Header=BB6_3361 Depth=3
	v_cmp_ne_u16_e32 vcc_lo, 0, v58
	v_mov_b32_e32 v56, 0
	s_and_not1_b32 s13, s13, exec_lo
	s_and_b32 s16, vcc_lo, exec_lo
	s_delay_alu instid0(SALU_CYCLE_1)
	s_or_b32 s13, s13, s16
	s_or_b32 exec_lo, exec_lo, s17
	s_and_saveexec_b32 s16, s13
	s_cbranch_execnz .LBB6_3588
	s_branch .LBB6_3589
.LBB6_4499:                             ;   in Loop: Header=BB6_3361 Depth=3
	s_mov_b32 s13, -1
	s_mov_b32 s30, exec_lo
                                        ; implicit-def: $sgpr16
	v_cmpx_eq_u16_e32 0x80, v59
; %bb.4500:                             ;   in Loop: Header=BB6_3361 Depth=3
	s_mov_b32 s16, 0x7f800001
	s_xor_b32 s13, exec_lo, -1
; %bb.4501:                             ;   in Loop: Header=BB6_3361 Depth=3
	s_or_b32 exec_lo, exec_lo, s30
	s_delay_alu instid0(SALU_CYCLE_1)
	s_and_b32 s13, s13, exec_lo
                                        ; implicit-def: $vgpr59
	s_or_saveexec_b32 s17, s17
	v_mov_b32_e32 v58, s16
	s_xor_b32 exec_lo, exec_lo, s17
	s_cbranch_execz .LBB6_3591
.LBB6_4502:                             ;   in Loop: Header=BB6_3361 Depth=3
	v_cmp_ne_u16_e32 vcc_lo, 0, v59
	v_mov_b32_e32 v58, 0
	s_and_not1_b32 s13, s13, exec_lo
	s_and_b32 s16, vcc_lo, exec_lo
	s_delay_alu instid0(SALU_CYCLE_1)
	s_or_b32 s13, s13, s16
	s_or_b32 exec_lo, exec_lo, s17
	s_and_saveexec_b32 s16, s13
	s_cbranch_execnz .LBB6_3592
	s_branch .LBB6_3593
.LBB6_4503:                             ;   in Loop: Header=BB6_3361 Depth=3
	s_mov_b32 s13, -1
	s_mov_b32 s30, exec_lo
                                        ; implicit-def: $sgpr16
	v_cmpx_eq_u16_e32 0x80, v58
; %bb.4504:                             ;   in Loop: Header=BB6_3361 Depth=3
	s_mov_b32 s16, 0x7f800001
	s_xor_b32 s13, exec_lo, -1
; %bb.4505:                             ;   in Loop: Header=BB6_3361 Depth=3
	s_or_b32 exec_lo, exec_lo, s30
	s_delay_alu instid0(SALU_CYCLE_1)
	s_and_b32 s13, s13, exec_lo
	s_or_saveexec_b32 s17, s17
	v_mov_b32_e32 v57, s16
	s_xor_b32 exec_lo, exec_lo, s17
	s_cbranch_execz .LBB6_3603
.LBB6_4506:                             ;   in Loop: Header=BB6_3361 Depth=3
	v_cmp_ne_u16_e32 vcc_lo, 0, v58
	v_mov_b32_e32 v57, 0
	s_and_not1_b32 s13, s13, exec_lo
	s_and_b32 s16, vcc_lo, exec_lo
	s_delay_alu instid0(SALU_CYCLE_1)
	s_or_b32 s13, s13, s16
	s_or_b32 exec_lo, exec_lo, s17
	s_and_saveexec_b32 s16, s13
	s_cbranch_execnz .LBB6_3604
	s_branch .LBB6_3605
.LBB6_4507:                             ;   in Loop: Header=BB6_3361 Depth=3
	s_mov_b32 s13, -1
	s_mov_b32 s30, exec_lo
                                        ; implicit-def: $sgpr16
	v_cmpx_eq_u16_e32 0x80, v51
; %bb.4508:                             ;   in Loop: Header=BB6_3361 Depth=3
	s_mov_b32 s16, 0x7f800001
	s_xor_b32 s13, exec_lo, -1
; %bb.4509:                             ;   in Loop: Header=BB6_3361 Depth=3
	s_or_b32 exec_lo, exec_lo, s30
	s_delay_alu instid0(SALU_CYCLE_1)
	s_and_b32 s13, s13, exec_lo
	s_or_saveexec_b32 s17, s17
	v_mov_b32_e32 v58, s16
	s_xor_b32 exec_lo, exec_lo, s17
	s_cbranch_execz .LBB6_3607
.LBB6_4510:                             ;   in Loop: Header=BB6_3361 Depth=3
	v_cmp_ne_u16_e32 vcc_lo, 0, v51
	v_mov_b32_e32 v58, 0
	s_and_not1_b32 s13, s13, exec_lo
	s_and_b32 s16, vcc_lo, exec_lo
	s_delay_alu instid0(SALU_CYCLE_1)
	s_or_b32 s13, s13, s16
	s_or_b32 exec_lo, exec_lo, s17
	s_and_saveexec_b32 s16, s13
	s_cbranch_execnz .LBB6_3608
	s_branch .LBB6_3609
.LBB6_4511:                             ;   in Loop: Header=BB6_3361 Depth=3
	s_mov_b32 s13, -1
	s_mov_b32 s30, exec_lo
                                        ; implicit-def: $sgpr16
	v_cmpx_eq_u16_e32 0x80, v57
; %bb.4512:                             ;   in Loop: Header=BB6_3361 Depth=3
	s_mov_b32 s16, 0x7f800001
	s_xor_b32 s13, exec_lo, -1
; %bb.4513:                             ;   in Loop: Header=BB6_3361 Depth=3
	s_or_b32 exec_lo, exec_lo, s30
	s_delay_alu instid0(SALU_CYCLE_1)
	s_and_b32 s13, s13, exec_lo
                                        ; implicit-def: $vgpr57
	s_or_saveexec_b32 s17, s17
	v_mov_b32_e32 v51, s16
	s_xor_b32 exec_lo, exec_lo, s17
	s_cbranch_execz .LBB6_3619
.LBB6_4514:                             ;   in Loop: Header=BB6_3361 Depth=3
	v_cmp_ne_u16_e32 vcc_lo, 0, v57
	v_mov_b32_e32 v51, 0
	s_and_not1_b32 s13, s13, exec_lo
	s_and_b32 s16, vcc_lo, exec_lo
	s_delay_alu instid0(SALU_CYCLE_1)
	s_or_b32 s13, s13, s16
	s_or_b32 exec_lo, exec_lo, s17
	s_and_saveexec_b32 s16, s13
	s_cbranch_execnz .LBB6_3620
	s_branch .LBB6_3621
.LBB6_4515:                             ;   in Loop: Header=BB6_3361 Depth=3
	s_mov_b32 s13, -1
	s_mov_b32 s30, exec_lo
                                        ; implicit-def: $sgpr16
	v_cmpx_eq_u16_e32 0x80, v58
; %bb.4516:                             ;   in Loop: Header=BB6_3361 Depth=3
	s_mov_b32 s16, 0x7f800001
	s_xor_b32 s13, exec_lo, -1
; %bb.4517:                             ;   in Loop: Header=BB6_3361 Depth=3
	s_or_b32 exec_lo, exec_lo, s30
	s_delay_alu instid0(SALU_CYCLE_1)
	s_and_b32 s13, s13, exec_lo
                                        ; implicit-def: $vgpr58
	s_or_saveexec_b32 s17, s17
	v_mov_b32_e32 v57, s16
	s_xor_b32 exec_lo, exec_lo, s17
	s_cbranch_execz .LBB6_3623
.LBB6_4518:                             ;   in Loop: Header=BB6_3361 Depth=3
	v_cmp_ne_u16_e32 vcc_lo, 0, v58
	v_mov_b32_e32 v57, 0
	s_and_not1_b32 s13, s13, exec_lo
	s_and_b32 s16, vcc_lo, exec_lo
	s_delay_alu instid0(SALU_CYCLE_1)
	s_or_b32 s13, s13, s16
	s_or_b32 exec_lo, exec_lo, s17
	s_and_saveexec_b32 s16, s13
	s_cbranch_execnz .LBB6_3624
	s_branch .LBB6_3625
.LBB6_4519:                             ;   in Loop: Header=BB6_3361 Depth=3
	s_mov_b32 s13, -1
	s_mov_b32 s30, exec_lo
                                        ; implicit-def: $sgpr16
	v_cmpx_eq_u16_e32 0x80, v58
; %bb.4520:                             ;   in Loop: Header=BB6_3361 Depth=3
	s_mov_b32 s16, 0x7f800001
	s_xor_b32 s13, exec_lo, -1
; %bb.4521:                             ;   in Loop: Header=BB6_3361 Depth=3
	s_or_b32 exec_lo, exec_lo, s30
	s_delay_alu instid0(SALU_CYCLE_1)
	s_and_b32 s13, s13, exec_lo
	s_or_saveexec_b32 s17, s17
	v_mov_b32_e32 v57, s16
	s_xor_b32 exec_lo, exec_lo, s17
	s_cbranch_execz .LBB6_3635
.LBB6_4522:                             ;   in Loop: Header=BB6_3361 Depth=3
	v_cmp_ne_u16_e32 vcc_lo, 0, v58
	v_mov_b32_e32 v57, 0
	s_and_not1_b32 s13, s13, exec_lo
	s_and_b32 s16, vcc_lo, exec_lo
	s_delay_alu instid0(SALU_CYCLE_1)
	s_or_b32 s13, s13, s16
	s_or_b32 exec_lo, exec_lo, s17
	s_and_saveexec_b32 s16, s13
	s_cbranch_execnz .LBB6_3636
	s_branch .LBB6_3637
.LBB6_4523:                             ;   in Loop: Header=BB6_3361 Depth=3
	s_mov_b32 s13, -1
	s_mov_b32 s30, exec_lo
                                        ; implicit-def: $sgpr16
	v_cmpx_eq_u16_e32 0x80, v58
; %bb.4524:                             ;   in Loop: Header=BB6_3361 Depth=3
	s_mov_b32 s16, 0x7f800001
	s_xor_b32 s13, exec_lo, -1
; %bb.4525:                             ;   in Loop: Header=BB6_3361 Depth=3
	s_or_b32 exec_lo, exec_lo, s30
	s_delay_alu instid0(SALU_CYCLE_1)
	s_and_b32 s13, s13, exec_lo
	s_or_saveexec_b32 s17, s17
	v_mov_b32_e32 v59, s16
	s_xor_b32 exec_lo, exec_lo, s17
	s_cbranch_execz .LBB6_3639
.LBB6_4526:                             ;   in Loop: Header=BB6_3361 Depth=3
	v_cmp_ne_u16_e32 vcc_lo, 0, v58
	v_mov_b32_e32 v59, 0
	s_and_not1_b32 s13, s13, exec_lo
	s_and_b32 s16, vcc_lo, exec_lo
	s_delay_alu instid0(SALU_CYCLE_1)
	s_or_b32 s13, s13, s16
	s_or_b32 exec_lo, exec_lo, s17
	s_and_saveexec_b32 s16, s13
	s_cbranch_execnz .LBB6_3640
	s_branch .LBB6_3641
.LBB6_4527:                             ;   in Loop: Header=BB6_3361 Depth=3
	s_mov_b32 s13, -1
	s_mov_b32 s30, exec_lo
                                        ; implicit-def: $sgpr16
	v_cmpx_eq_u16_e32 0x80, v60
; %bb.4528:                             ;   in Loop: Header=BB6_3361 Depth=3
	s_mov_b32 s16, 0x7f800001
	s_xor_b32 s13, exec_lo, -1
; %bb.4529:                             ;   in Loop: Header=BB6_3361 Depth=3
	s_or_b32 exec_lo, exec_lo, s30
	s_delay_alu instid0(SALU_CYCLE_1)
	s_and_b32 s13, s13, exec_lo
                                        ; implicit-def: $vgpr60
	s_or_saveexec_b32 s17, s17
	v_mov_b32_e32 v58, s16
	s_xor_b32 exec_lo, exec_lo, s17
	s_cbranch_execz .LBB6_3651
.LBB6_4530:                             ;   in Loop: Header=BB6_3361 Depth=3
	v_cmp_ne_u16_e32 vcc_lo, 0, v60
	v_mov_b32_e32 v58, 0
	s_and_not1_b32 s13, s13, exec_lo
	s_and_b32 s16, vcc_lo, exec_lo
	s_delay_alu instid0(SALU_CYCLE_1)
	s_or_b32 s13, s13, s16
	s_or_b32 exec_lo, exec_lo, s17
	s_and_saveexec_b32 s16, s13
	s_cbranch_execnz .LBB6_3652
	s_branch .LBB6_3653
.LBB6_4531:                             ;   in Loop: Header=BB6_3361 Depth=3
	s_mov_b32 s13, -1
	s_mov_b32 s30, exec_lo
                                        ; implicit-def: $sgpr16
	v_cmpx_eq_u16_e32 0x80, v61
; %bb.4532:                             ;   in Loop: Header=BB6_3361 Depth=3
	s_mov_b32 s16, 0x7f800001
	s_xor_b32 s13, exec_lo, -1
; %bb.4533:                             ;   in Loop: Header=BB6_3361 Depth=3
	s_or_b32 exec_lo, exec_lo, s30
	s_delay_alu instid0(SALU_CYCLE_1)
	s_and_b32 s13, s13, exec_lo
                                        ; implicit-def: $vgpr61
	s_or_saveexec_b32 s17, s17
	v_mov_b32_e32 v60, s16
	s_xor_b32 exec_lo, exec_lo, s17
	s_cbranch_execz .LBB6_3655
.LBB6_4534:                             ;   in Loop: Header=BB6_3361 Depth=3
	v_cmp_ne_u16_e32 vcc_lo, 0, v61
	v_mov_b32_e32 v60, 0
	s_and_not1_b32 s13, s13, exec_lo
	s_and_b32 s16, vcc_lo, exec_lo
	s_delay_alu instid0(SALU_CYCLE_1)
	s_or_b32 s13, s13, s16
	s_or_b32 exec_lo, exec_lo, s17
	s_and_saveexec_b32 s16, s13
	s_cbranch_execnz .LBB6_3656
	s_branch .LBB6_3657
.LBB6_4535:                             ;   in Loop: Header=BB6_3361 Depth=3
	s_mov_b32 s13, -1
	s_mov_b32 s30, exec_lo
                                        ; implicit-def: $sgpr16
	v_cmpx_eq_u16_e32 0x80, v60
; %bb.4536:                             ;   in Loop: Header=BB6_3361 Depth=3
	s_mov_b32 s16, 0x7f800001
	s_xor_b32 s13, exec_lo, -1
; %bb.4537:                             ;   in Loop: Header=BB6_3361 Depth=3
	s_or_b32 exec_lo, exec_lo, s30
	s_delay_alu instid0(SALU_CYCLE_1)
	s_and_b32 s13, s13, exec_lo
	s_or_saveexec_b32 s17, s17
	v_mov_b32_e32 v59, s16
	s_xor_b32 exec_lo, exec_lo, s17
	s_cbranch_execz .LBB6_3667
.LBB6_4538:                             ;   in Loop: Header=BB6_3361 Depth=3
	v_cmp_ne_u16_e32 vcc_lo, 0, v60
	v_mov_b32_e32 v59, 0
	s_and_not1_b32 s13, s13, exec_lo
	s_and_b32 s16, vcc_lo, exec_lo
	s_delay_alu instid0(SALU_CYCLE_1)
	s_or_b32 s13, s13, s16
	s_or_b32 exec_lo, exec_lo, s17
	s_and_saveexec_b32 s16, s13
	s_cbranch_execnz .LBB6_3668
	s_branch .LBB6_3669
.LBB6_4539:                             ;   in Loop: Header=BB6_3361 Depth=3
	s_mov_b32 s13, -1
	s_mov_b32 s30, exec_lo
                                        ; implicit-def: $sgpr16
	v_cmpx_eq_u16_e32 0x80, v32
; %bb.4540:                             ;   in Loop: Header=BB6_3361 Depth=3
	s_mov_b32 s16, 0x7f800001
	s_xor_b32 s13, exec_lo, -1
; %bb.4541:                             ;   in Loop: Header=BB6_3361 Depth=3
	s_or_b32 exec_lo, exec_lo, s30
	s_delay_alu instid0(SALU_CYCLE_1)
	s_and_b32 s13, s13, exec_lo
	s_or_saveexec_b32 s17, s17
	v_mov_b32_e32 v60, s16
	s_xor_b32 exec_lo, exec_lo, s17
	s_cbranch_execz .LBB6_3671
.LBB6_4542:                             ;   in Loop: Header=BB6_3361 Depth=3
	v_cmp_ne_u16_e32 vcc_lo, 0, v32
	v_mov_b32_e32 v60, 0
	s_and_not1_b32 s13, s13, exec_lo
	s_and_b32 s16, vcc_lo, exec_lo
	s_delay_alu instid0(SALU_CYCLE_1)
	s_or_b32 s13, s13, s16
	s_or_b32 exec_lo, exec_lo, s17
	s_and_saveexec_b32 s16, s13
	s_cbranch_execnz .LBB6_3672
	s_branch .LBB6_3673
.LBB6_4543:                             ;   in Loop: Header=BB6_3361 Depth=3
	s_mov_b32 s13, -1
	s_mov_b32 s30, exec_lo
                                        ; implicit-def: $sgpr16
	v_cmpx_eq_u16_e32 0x80, v59
; %bb.4544:                             ;   in Loop: Header=BB6_3361 Depth=3
	s_mov_b32 s16, 0x7f800001
	s_xor_b32 s13, exec_lo, -1
; %bb.4545:                             ;   in Loop: Header=BB6_3361 Depth=3
	s_or_b32 exec_lo, exec_lo, s30
	s_delay_alu instid0(SALU_CYCLE_1)
	s_and_b32 s13, s13, exec_lo
                                        ; implicit-def: $vgpr59
	s_or_saveexec_b32 s17, s17
	v_mov_b32_e32 v32, s16
	s_xor_b32 exec_lo, exec_lo, s17
	s_cbranch_execz .LBB6_3683
.LBB6_4546:                             ;   in Loop: Header=BB6_3361 Depth=3
	v_cmp_ne_u16_e32 vcc_lo, 0, v59
	v_mov_b32_e32 v32, 0
	s_and_not1_b32 s13, s13, exec_lo
	s_and_b32 s16, vcc_lo, exec_lo
	s_delay_alu instid0(SALU_CYCLE_1)
	s_or_b32 s13, s13, s16
	s_or_b32 exec_lo, exec_lo, s17
	s_and_saveexec_b32 s16, s13
	s_cbranch_execnz .LBB6_3684
	s_branch .LBB6_3685
.LBB6_4547:                             ;   in Loop: Header=BB6_3361 Depth=3
	s_mov_b32 s13, -1
	s_mov_b32 s30, exec_lo
                                        ; implicit-def: $sgpr16
	v_cmpx_eq_u16_e32 0x80, v60
; %bb.4548:                             ;   in Loop: Header=BB6_3361 Depth=3
	s_mov_b32 s16, 0x7f800001
	s_xor_b32 s13, exec_lo, -1
; %bb.4549:                             ;   in Loop: Header=BB6_3361 Depth=3
	s_or_b32 exec_lo, exec_lo, s30
	s_delay_alu instid0(SALU_CYCLE_1)
	s_and_b32 s13, s13, exec_lo
                                        ; implicit-def: $vgpr60
	s_or_saveexec_b32 s17, s17
	v_mov_b32_e32 v59, s16
	s_xor_b32 exec_lo, exec_lo, s17
	s_cbranch_execz .LBB6_3687
.LBB6_4550:                             ;   in Loop: Header=BB6_3361 Depth=3
	v_cmp_ne_u16_e32 vcc_lo, 0, v60
	v_mov_b32_e32 v59, 0
	s_and_not1_b32 s13, s13, exec_lo
	s_and_b32 s16, vcc_lo, exec_lo
	s_delay_alu instid0(SALU_CYCLE_1)
	s_or_b32 s13, s13, s16
	s_or_b32 exec_lo, exec_lo, s17
	s_and_saveexec_b32 s16, s13
	s_cbranch_execnz .LBB6_3688
	s_branch .LBB6_3689
.LBB6_4551:                             ;   in Loop: Header=BB6_3361 Depth=3
	s_mov_b32 s13, -1
	s_mov_b32 s30, exec_lo
                                        ; implicit-def: $sgpr16
	v_cmpx_eq_u16_e32 0x80, v60
; %bb.4552:                             ;   in Loop: Header=BB6_3361 Depth=3
	s_mov_b32 s16, 0x7f800001
	s_xor_b32 s13, exec_lo, -1
; %bb.4553:                             ;   in Loop: Header=BB6_3361 Depth=3
	s_or_b32 exec_lo, exec_lo, s30
	s_delay_alu instid0(SALU_CYCLE_1)
	s_and_b32 s13, s13, exec_lo
	s_or_saveexec_b32 s17, s17
	v_mov_b32_e32 v59, s16
	s_xor_b32 exec_lo, exec_lo, s17
	s_cbranch_execz .LBB6_3699
.LBB6_4554:                             ;   in Loop: Header=BB6_3361 Depth=3
	v_cmp_ne_u16_e32 vcc_lo, 0, v60
	v_mov_b32_e32 v59, 0
	s_and_not1_b32 s13, s13, exec_lo
	s_and_b32 s16, vcc_lo, exec_lo
	s_delay_alu instid0(SALU_CYCLE_1)
	s_or_b32 s13, s13, s16
	s_or_b32 exec_lo, exec_lo, s17
	s_and_saveexec_b32 s16, s13
	s_cbranch_execnz .LBB6_3700
	s_branch .LBB6_3701
.LBB6_4555:                             ;   in Loop: Header=BB6_3361 Depth=3
	s_mov_b32 s13, -1
	s_mov_b32 s30, exec_lo
                                        ; implicit-def: $sgpr16
	v_cmpx_eq_u16_e32 0x80, v60
; %bb.4556:                             ;   in Loop: Header=BB6_3361 Depth=3
	s_mov_b32 s16, 0x7f800001
	s_xor_b32 s13, exec_lo, -1
; %bb.4557:                             ;   in Loop: Header=BB6_3361 Depth=3
	s_or_b32 exec_lo, exec_lo, s30
	s_delay_alu instid0(SALU_CYCLE_1)
	s_and_b32 s13, s13, exec_lo
	s_or_saveexec_b32 s17, s17
	v_mov_b32_e32 v61, s16
	s_xor_b32 exec_lo, exec_lo, s17
	s_cbranch_execz .LBB6_3703
.LBB6_4558:                             ;   in Loop: Header=BB6_3361 Depth=3
	v_cmp_ne_u16_e32 vcc_lo, 0, v60
	v_mov_b32_e32 v61, 0
	s_and_not1_b32 s13, s13, exec_lo
	s_and_b32 s16, vcc_lo, exec_lo
	s_delay_alu instid0(SALU_CYCLE_1)
	s_or_b32 s13, s13, s16
	s_or_b32 exec_lo, exec_lo, s17
	s_and_saveexec_b32 s16, s13
	s_cbranch_execnz .LBB6_3704
	s_branch .LBB6_3705
.LBB6_4559:                             ;   in Loop: Header=BB6_3361 Depth=3
	s_mov_b32 s13, -1
	s_mov_b32 s30, exec_lo
                                        ; implicit-def: $sgpr16
	v_cmpx_eq_u16_e32 0x80, v62
; %bb.4560:                             ;   in Loop: Header=BB6_3361 Depth=3
	s_mov_b32 s16, 0x7f800001
	s_xor_b32 s13, exec_lo, -1
; %bb.4561:                             ;   in Loop: Header=BB6_3361 Depth=3
	s_or_b32 exec_lo, exec_lo, s30
	s_delay_alu instid0(SALU_CYCLE_1)
	s_and_b32 s13, s13, exec_lo
                                        ; implicit-def: $vgpr62
	s_or_saveexec_b32 s17, s17
	v_mov_b32_e32 v60, s16
	s_xor_b32 exec_lo, exec_lo, s17
	s_cbranch_execz .LBB6_3715
.LBB6_4562:                             ;   in Loop: Header=BB6_3361 Depth=3
	v_cmp_ne_u16_e32 vcc_lo, 0, v62
	v_mov_b32_e32 v60, 0
	s_and_not1_b32 s13, s13, exec_lo
	s_and_b32 s16, vcc_lo, exec_lo
	s_delay_alu instid0(SALU_CYCLE_1)
	s_or_b32 s13, s13, s16
	s_or_b32 exec_lo, exec_lo, s17
	s_and_saveexec_b32 s16, s13
	s_cbranch_execnz .LBB6_3716
	s_branch .LBB6_3717
.LBB6_4563:                             ;   in Loop: Header=BB6_3361 Depth=3
	s_mov_b32 s13, -1
	s_mov_b32 s30, exec_lo
                                        ; implicit-def: $sgpr16
	v_cmpx_eq_u16_e32 0x80, v63
; %bb.4564:                             ;   in Loop: Header=BB6_3361 Depth=3
	s_mov_b32 s16, 0x7f800001
	s_xor_b32 s13, exec_lo, -1
; %bb.4565:                             ;   in Loop: Header=BB6_3361 Depth=3
	s_or_b32 exec_lo, exec_lo, s30
	s_delay_alu instid0(SALU_CYCLE_1)
	s_and_b32 s13, s13, exec_lo
                                        ; implicit-def: $vgpr63
	s_or_saveexec_b32 s17, s17
	v_mov_b32_e32 v62, s16
	s_xor_b32 exec_lo, exec_lo, s17
	s_cbranch_execz .LBB6_3719
.LBB6_4566:                             ;   in Loop: Header=BB6_3361 Depth=3
	v_cmp_ne_u16_e32 vcc_lo, 0, v63
	v_mov_b32_e32 v62, 0
	s_and_not1_b32 s13, s13, exec_lo
	s_and_b32 s16, vcc_lo, exec_lo
	s_delay_alu instid0(SALU_CYCLE_1)
	s_or_b32 s13, s13, s16
	s_or_b32 exec_lo, exec_lo, s17
	s_and_saveexec_b32 s16, s13
	s_cbranch_execnz .LBB6_3720
	s_branch .LBB6_3721
.LBB6_4567:                             ;   in Loop: Header=BB6_3361 Depth=3
	s_mov_b32 s13, -1
	s_mov_b32 s30, exec_lo
                                        ; implicit-def: $sgpr16
	v_cmpx_eq_u16_e32 0x80, v62
; %bb.4568:                             ;   in Loop: Header=BB6_3361 Depth=3
	s_mov_b32 s16, 0x7f800001
	s_xor_b32 s13, exec_lo, -1
; %bb.4569:                             ;   in Loop: Header=BB6_3361 Depth=3
	s_or_b32 exec_lo, exec_lo, s30
	s_delay_alu instid0(SALU_CYCLE_1)
	s_and_b32 s13, s13, exec_lo
	s_or_saveexec_b32 s17, s17
	v_mov_b32_e32 v61, s16
	s_xor_b32 exec_lo, exec_lo, s17
	s_cbranch_execz .LBB6_3731
.LBB6_4570:                             ;   in Loop: Header=BB6_3361 Depth=3
	v_cmp_ne_u16_e32 vcc_lo, 0, v62
	v_mov_b32_e32 v61, 0
	s_and_not1_b32 s13, s13, exec_lo
	s_and_b32 s16, vcc_lo, exec_lo
	s_delay_alu instid0(SALU_CYCLE_1)
	s_or_b32 s13, s13, s16
	s_or_b32 exec_lo, exec_lo, s17
	s_and_saveexec_b32 s16, s13
	s_cbranch_execnz .LBB6_3732
	s_branch .LBB6_3733
.LBB6_4571:                             ;   in Loop: Header=BB6_3361 Depth=3
	s_mov_b32 s13, -1
	s_mov_b32 s30, exec_lo
                                        ; implicit-def: $sgpr16
	v_cmpx_eq_u16_e32 0x80, v33
; %bb.4572:                             ;   in Loop: Header=BB6_3361 Depth=3
	s_mov_b32 s16, 0x7f800001
	s_xor_b32 s13, exec_lo, -1
; %bb.4573:                             ;   in Loop: Header=BB6_3361 Depth=3
	s_or_b32 exec_lo, exec_lo, s30
	s_delay_alu instid0(SALU_CYCLE_1)
	s_and_b32 s13, s13, exec_lo
	s_or_saveexec_b32 s17, s17
	v_mov_b32_e32 v62, s16
	s_xor_b32 exec_lo, exec_lo, s17
	s_cbranch_execz .LBB6_3735
.LBB6_4574:                             ;   in Loop: Header=BB6_3361 Depth=3
	v_cmp_ne_u16_e32 vcc_lo, 0, v33
	v_mov_b32_e32 v62, 0
	s_and_not1_b32 s13, s13, exec_lo
	s_and_b32 s16, vcc_lo, exec_lo
	s_delay_alu instid0(SALU_CYCLE_1)
	s_or_b32 s13, s13, s16
	s_or_b32 exec_lo, exec_lo, s17
	s_and_saveexec_b32 s16, s13
	s_cbranch_execnz .LBB6_3736
	s_branch .LBB6_3737
.LBB6_4575:                             ;   in Loop: Header=BB6_3361 Depth=3
	s_mov_b32 s13, -1
	s_mov_b32 s30, exec_lo
                                        ; implicit-def: $sgpr16
	v_cmpx_eq_u16_e32 0x80, v61
; %bb.4576:                             ;   in Loop: Header=BB6_3361 Depth=3
	s_mov_b32 s16, 0x7f800001
	s_xor_b32 s13, exec_lo, -1
; %bb.4577:                             ;   in Loop: Header=BB6_3361 Depth=3
	s_or_b32 exec_lo, exec_lo, s30
	s_delay_alu instid0(SALU_CYCLE_1)
	s_and_b32 s13, s13, exec_lo
                                        ; implicit-def: $vgpr61
	s_or_saveexec_b32 s17, s17
	v_mov_b32_e32 v33, s16
	s_xor_b32 exec_lo, exec_lo, s17
	s_cbranch_execz .LBB6_3747
.LBB6_4578:                             ;   in Loop: Header=BB6_3361 Depth=3
	v_cmp_ne_u16_e32 vcc_lo, 0, v61
	v_mov_b32_e32 v33, 0
	s_and_not1_b32 s13, s13, exec_lo
	s_and_b32 s16, vcc_lo, exec_lo
	s_delay_alu instid0(SALU_CYCLE_1)
	s_or_b32 s13, s13, s16
	s_or_b32 exec_lo, exec_lo, s17
	s_and_saveexec_b32 s16, s13
	s_cbranch_execnz .LBB6_3748
	s_branch .LBB6_3749
.LBB6_4579:                             ;   in Loop: Header=BB6_3361 Depth=3
	s_mov_b32 s13, -1
	s_mov_b32 s30, exec_lo
                                        ; implicit-def: $sgpr16
	v_cmpx_eq_u16_e32 0x80, v62
; %bb.4580:                             ;   in Loop: Header=BB6_3361 Depth=3
	s_mov_b32 s16, 0x7f800001
	s_xor_b32 s13, exec_lo, -1
; %bb.4581:                             ;   in Loop: Header=BB6_3361 Depth=3
	s_or_b32 exec_lo, exec_lo, s30
	s_delay_alu instid0(SALU_CYCLE_1)
	s_and_b32 s13, s13, exec_lo
                                        ; implicit-def: $vgpr62
	s_or_saveexec_b32 s17, s17
	v_mov_b32_e32 v61, s16
	s_xor_b32 exec_lo, exec_lo, s17
	s_cbranch_execz .LBB6_3751
.LBB6_4582:                             ;   in Loop: Header=BB6_3361 Depth=3
	v_cmp_ne_u16_e32 vcc_lo, 0, v62
	v_mov_b32_e32 v61, 0
	s_and_not1_b32 s13, s13, exec_lo
	s_and_b32 s16, vcc_lo, exec_lo
	s_delay_alu instid0(SALU_CYCLE_1)
	s_or_b32 s13, s13, s16
	s_or_b32 exec_lo, exec_lo, s17
	s_and_saveexec_b32 s16, s13
	s_cbranch_execnz .LBB6_3752
	s_branch .LBB6_3753
.LBB6_4583:                             ;   in Loop: Header=BB6_3361 Depth=3
	s_mov_b32 s13, -1
	s_mov_b32 s30, exec_lo
                                        ; implicit-def: $sgpr16
	v_cmpx_eq_u16_e32 0x80, v62
; %bb.4584:                             ;   in Loop: Header=BB6_3361 Depth=3
	s_mov_b32 s16, 0x7f800001
	s_xor_b32 s13, exec_lo, -1
; %bb.4585:                             ;   in Loop: Header=BB6_3361 Depth=3
	s_or_b32 exec_lo, exec_lo, s30
	s_delay_alu instid0(SALU_CYCLE_1)
	s_and_b32 s13, s13, exec_lo
	s_or_saveexec_b32 s17, s17
	v_mov_b32_e32 v61, s16
	s_xor_b32 exec_lo, exec_lo, s17
	s_cbranch_execz .LBB6_3763
.LBB6_4586:                             ;   in Loop: Header=BB6_3361 Depth=3
	v_cmp_ne_u16_e32 vcc_lo, 0, v62
	v_mov_b32_e32 v61, 0
	s_and_not1_b32 s13, s13, exec_lo
	s_and_b32 s16, vcc_lo, exec_lo
	s_delay_alu instid0(SALU_CYCLE_1)
	s_or_b32 s13, s13, s16
	s_or_b32 exec_lo, exec_lo, s17
	s_and_saveexec_b32 s16, s13
	s_cbranch_execnz .LBB6_3764
	s_branch .LBB6_3765
.LBB6_4587:                             ;   in Loop: Header=BB6_3361 Depth=3
	s_mov_b32 s13, -1
	s_mov_b32 s30, exec_lo
                                        ; implicit-def: $sgpr16
	v_cmpx_eq_u16_e32 0x80, v62
; %bb.4588:                             ;   in Loop: Header=BB6_3361 Depth=3
	s_mov_b32 s16, 0x7f800001
	s_xor_b32 s13, exec_lo, -1
; %bb.4589:                             ;   in Loop: Header=BB6_3361 Depth=3
	s_or_b32 exec_lo, exec_lo, s30
	s_delay_alu instid0(SALU_CYCLE_1)
	s_and_b32 s13, s13, exec_lo
	s_or_saveexec_b32 s17, s17
	v_mov_b32_e32 v63, s16
	s_xor_b32 exec_lo, exec_lo, s17
	s_cbranch_execz .LBB6_3767
.LBB6_4590:                             ;   in Loop: Header=BB6_3361 Depth=3
	v_cmp_ne_u16_e32 vcc_lo, 0, v62
	v_mov_b32_e32 v63, 0
	s_and_not1_b32 s13, s13, exec_lo
	s_and_b32 s16, vcc_lo, exec_lo
	s_delay_alu instid0(SALU_CYCLE_1)
	s_or_b32 s13, s13, s16
	s_or_b32 exec_lo, exec_lo, s17
	s_and_saveexec_b32 s16, s13
	s_cbranch_execnz .LBB6_3768
	s_branch .LBB6_3769
.LBB6_4591:                             ;   in Loop: Header=BB6_3361 Depth=3
	s_mov_b32 s13, -1
	s_mov_b32 s30, exec_lo
                                        ; implicit-def: $sgpr16
	v_cmpx_eq_u16_e32 0x80, v72
; %bb.4592:                             ;   in Loop: Header=BB6_3361 Depth=3
	s_mov_b32 s16, 0x7f800001
	s_xor_b32 s13, exec_lo, -1
; %bb.4593:                             ;   in Loop: Header=BB6_3361 Depth=3
	s_or_b32 exec_lo, exec_lo, s30
	s_delay_alu instid0(SALU_CYCLE_1)
	s_and_b32 s13, s13, exec_lo
                                        ; implicit-def: $vgpr72
	s_or_saveexec_b32 s17, s17
	v_mov_b32_e32 v62, s16
	s_xor_b32 exec_lo, exec_lo, s17
	s_cbranch_execz .LBB6_3779
.LBB6_4594:                             ;   in Loop: Header=BB6_3361 Depth=3
	v_cmp_ne_u16_e32 vcc_lo, 0, v72
	v_mov_b32_e32 v62, 0
	s_and_not1_b32 s13, s13, exec_lo
	s_and_b32 s16, vcc_lo, exec_lo
	s_delay_alu instid0(SALU_CYCLE_1)
	s_or_b32 s13, s13, s16
	s_or_b32 exec_lo, exec_lo, s17
	s_and_saveexec_b32 s16, s13
	s_cbranch_execnz .LBB6_3780
	s_branch .LBB6_3781
.LBB6_4595:                             ;   in Loop: Header=BB6_3361 Depth=3
	s_mov_b32 s13, -1
	s_mov_b32 s30, exec_lo
                                        ; implicit-def: $sgpr16
	v_cmpx_eq_u16_e32 0x80, v73
; %bb.4596:                             ;   in Loop: Header=BB6_3361 Depth=3
	s_mov_b32 s16, 0x7f800001
	s_xor_b32 s13, exec_lo, -1
; %bb.4597:                             ;   in Loop: Header=BB6_3361 Depth=3
	s_or_b32 exec_lo, exec_lo, s30
	s_delay_alu instid0(SALU_CYCLE_1)
	s_and_b32 s13, s13, exec_lo
                                        ; implicit-def: $vgpr73
	s_or_saveexec_b32 s17, s17
	v_mov_b32_e32 v72, s16
	s_xor_b32 exec_lo, exec_lo, s17
	s_cbranch_execz .LBB6_3783
.LBB6_4598:                             ;   in Loop: Header=BB6_3361 Depth=3
	v_cmp_ne_u16_e32 vcc_lo, 0, v73
	v_mov_b32_e32 v72, 0
	s_and_not1_b32 s13, s13, exec_lo
	s_and_b32 s16, vcc_lo, exec_lo
	s_delay_alu instid0(SALU_CYCLE_1)
	s_or_b32 s13, s13, s16
	s_or_b32 exec_lo, exec_lo, s17
	s_and_saveexec_b32 s16, s13
	s_cbranch_execnz .LBB6_3784
	s_branch .LBB6_3785
.LBB6_4599:                             ;   in Loop: Header=BB6_3361 Depth=3
	s_mov_b32 s13, -1
	s_mov_b32 s30, exec_lo
                                        ; implicit-def: $sgpr16
	v_cmpx_eq_u16_e32 0x80, v72
; %bb.4600:                             ;   in Loop: Header=BB6_3361 Depth=3
	s_mov_b32 s16, 0x7f800001
	s_xor_b32 s13, exec_lo, -1
; %bb.4601:                             ;   in Loop: Header=BB6_3361 Depth=3
	s_or_b32 exec_lo, exec_lo, s30
	s_delay_alu instid0(SALU_CYCLE_1)
	s_and_b32 s13, s13, exec_lo
	s_or_saveexec_b32 s17, s17
	v_mov_b32_e32 v63, s16
	s_xor_b32 exec_lo, exec_lo, s17
	s_cbranch_execz .LBB6_3795
.LBB6_4602:                             ;   in Loop: Header=BB6_3361 Depth=3
	v_cmp_ne_u16_e32 vcc_lo, 0, v72
	v_mov_b32_e32 v63, 0
	s_and_not1_b32 s13, s13, exec_lo
	s_and_b32 s16, vcc_lo, exec_lo
	s_delay_alu instid0(SALU_CYCLE_1)
	s_or_b32 s13, s13, s16
	s_or_b32 exec_lo, exec_lo, s17
	s_and_saveexec_b32 s16, s13
	s_cbranch_execnz .LBB6_3796
	s_branch .LBB6_3797
.LBB6_4603:                             ;   in Loop: Header=BB6_3361 Depth=3
	s_mov_b32 s13, -1
	s_mov_b32 s30, exec_lo
                                        ; implicit-def: $sgpr16
	v_cmpx_eq_u16_e32 0x80, v34
; %bb.4604:                             ;   in Loop: Header=BB6_3361 Depth=3
	s_mov_b32 s16, 0x7f800001
	s_xor_b32 s13, exec_lo, -1
; %bb.4605:                             ;   in Loop: Header=BB6_3361 Depth=3
	s_or_b32 exec_lo, exec_lo, s30
	s_delay_alu instid0(SALU_CYCLE_1)
	s_and_b32 s13, s13, exec_lo
	s_or_saveexec_b32 s17, s17
	v_mov_b32_e32 v72, s16
	s_xor_b32 exec_lo, exec_lo, s17
	s_cbranch_execz .LBB6_3799
.LBB6_4606:                             ;   in Loop: Header=BB6_3361 Depth=3
	v_cmp_ne_u16_e32 vcc_lo, 0, v34
	v_mov_b32_e32 v72, 0
	s_and_not1_b32 s13, s13, exec_lo
	s_and_b32 s16, vcc_lo, exec_lo
	s_delay_alu instid0(SALU_CYCLE_1)
	s_or_b32 s13, s13, s16
	s_or_b32 exec_lo, exec_lo, s17
	s_and_saveexec_b32 s16, s13
	s_cbranch_execnz .LBB6_3800
	s_branch .LBB6_3801
.LBB6_4607:                             ;   in Loop: Header=BB6_3361 Depth=3
	s_mov_b32 s13, -1
	s_mov_b32 s30, exec_lo
                                        ; implicit-def: $sgpr16
	v_cmpx_eq_u16_e32 0x80, v63
; %bb.4608:                             ;   in Loop: Header=BB6_3361 Depth=3
	s_mov_b32 s16, 0x7f800001
	s_xor_b32 s13, exec_lo, -1
; %bb.4609:                             ;   in Loop: Header=BB6_3361 Depth=3
	s_or_b32 exec_lo, exec_lo, s30
	s_delay_alu instid0(SALU_CYCLE_1)
	s_and_b32 s13, s13, exec_lo
                                        ; implicit-def: $vgpr63
	s_or_saveexec_b32 s17, s17
	v_mov_b32_e32 v34, s16
	s_xor_b32 exec_lo, exec_lo, s17
	s_cbranch_execz .LBB6_3811
.LBB6_4610:                             ;   in Loop: Header=BB6_3361 Depth=3
	v_cmp_ne_u16_e32 vcc_lo, 0, v63
	v_mov_b32_e32 v34, 0
	s_and_not1_b32 s13, s13, exec_lo
	s_and_b32 s16, vcc_lo, exec_lo
	s_delay_alu instid0(SALU_CYCLE_1)
	s_or_b32 s13, s13, s16
	s_or_b32 exec_lo, exec_lo, s17
	s_and_saveexec_b32 s16, s13
	s_cbranch_execnz .LBB6_3812
	s_branch .LBB6_3813
.LBB6_4611:                             ;   in Loop: Header=BB6_3361 Depth=3
	s_mov_b32 s13, -1
	s_mov_b32 s30, exec_lo
                                        ; implicit-def: $sgpr16
	v_cmpx_eq_u16_e32 0x80, v72
; %bb.4612:                             ;   in Loop: Header=BB6_3361 Depth=3
	s_mov_b32 s16, 0x7f800001
	s_xor_b32 s13, exec_lo, -1
; %bb.4613:                             ;   in Loop: Header=BB6_3361 Depth=3
	s_or_b32 exec_lo, exec_lo, s30
	s_delay_alu instid0(SALU_CYCLE_1)
	s_and_b32 s13, s13, exec_lo
                                        ; implicit-def: $vgpr72
	s_or_saveexec_b32 s17, s17
	v_mov_b32_e32 v63, s16
	s_xor_b32 exec_lo, exec_lo, s17
	s_cbranch_execz .LBB6_3815
.LBB6_4614:                             ;   in Loop: Header=BB6_3361 Depth=3
	v_cmp_ne_u16_e32 vcc_lo, 0, v72
	v_mov_b32_e32 v63, 0
	s_and_not1_b32 s13, s13, exec_lo
	s_and_b32 s16, vcc_lo, exec_lo
	s_delay_alu instid0(SALU_CYCLE_1)
	s_or_b32 s13, s13, s16
	s_or_b32 exec_lo, exec_lo, s17
	s_and_saveexec_b32 s16, s13
	s_cbranch_execnz .LBB6_3816
	s_branch .LBB6_3817
.LBB6_4615:                             ;   in Loop: Header=BB6_3361 Depth=3
	s_mov_b32 s13, -1
	s_mov_b32 s30, exec_lo
                                        ; implicit-def: $sgpr16
	v_cmpx_eq_u16_e32 0x80, v72
; %bb.4616:                             ;   in Loop: Header=BB6_3361 Depth=3
	s_mov_b32 s16, 0x7f800001
	s_xor_b32 s13, exec_lo, -1
; %bb.4617:                             ;   in Loop: Header=BB6_3361 Depth=3
	s_or_b32 exec_lo, exec_lo, s30
	s_delay_alu instid0(SALU_CYCLE_1)
	s_and_b32 s13, s13, exec_lo
	s_or_saveexec_b32 s17, s17
	v_mov_b32_e32 v63, s16
	s_xor_b32 exec_lo, exec_lo, s17
	s_cbranch_execz .LBB6_3827
.LBB6_4618:                             ;   in Loop: Header=BB6_3361 Depth=3
	v_cmp_ne_u16_e32 vcc_lo, 0, v72
	v_mov_b32_e32 v63, 0
	s_and_not1_b32 s13, s13, exec_lo
	s_and_b32 s16, vcc_lo, exec_lo
	s_delay_alu instid0(SALU_CYCLE_1)
	s_or_b32 s13, s13, s16
	s_or_b32 exec_lo, exec_lo, s17
	s_and_saveexec_b32 s16, s13
	s_cbranch_execnz .LBB6_3828
	s_branch .LBB6_3829
.LBB6_4619:                             ;   in Loop: Header=BB6_3361 Depth=3
	s_mov_b32 s13, -1
	s_mov_b32 s30, exec_lo
                                        ; implicit-def: $sgpr16
	v_cmpx_eq_u16_e32 0x80, v72
; %bb.4620:                             ;   in Loop: Header=BB6_3361 Depth=3
	s_mov_b32 s16, 0x7f800001
	s_xor_b32 s13, exec_lo, -1
; %bb.4621:                             ;   in Loop: Header=BB6_3361 Depth=3
	s_or_b32 exec_lo, exec_lo, s30
	s_delay_alu instid0(SALU_CYCLE_1)
	s_and_b32 s13, s13, exec_lo
	s_or_saveexec_b32 s17, s17
	v_mov_b32_e32 v73, s16
	s_xor_b32 exec_lo, exec_lo, s17
	s_cbranch_execz .LBB6_3831
.LBB6_4622:                             ;   in Loop: Header=BB6_3361 Depth=3
	v_cmp_ne_u16_e32 vcc_lo, 0, v72
	v_mov_b32_e32 v73, 0
	s_and_not1_b32 s13, s13, exec_lo
	s_and_b32 s16, vcc_lo, exec_lo
	s_delay_alu instid0(SALU_CYCLE_1)
	s_or_b32 s13, s13, s16
	s_or_b32 exec_lo, exec_lo, s17
	s_and_saveexec_b32 s16, s13
	s_cbranch_execnz .LBB6_3832
	s_branch .LBB6_3833
.LBB6_4623:                             ;   in Loop: Header=BB6_3361 Depth=3
	s_mov_b32 s13, -1
	s_mov_b32 s30, exec_lo
                                        ; implicit-def: $sgpr16
	v_cmpx_eq_u16_e32 0x80, v74
; %bb.4624:                             ;   in Loop: Header=BB6_3361 Depth=3
	s_mov_b32 s16, 0x7f800001
	s_xor_b32 s13, exec_lo, -1
; %bb.4625:                             ;   in Loop: Header=BB6_3361 Depth=3
	s_or_b32 exec_lo, exec_lo, s30
	s_delay_alu instid0(SALU_CYCLE_1)
	s_and_b32 s13, s13, exec_lo
                                        ; implicit-def: $vgpr74
	s_or_saveexec_b32 s17, s17
	v_mov_b32_e32 v72, s16
	s_xor_b32 exec_lo, exec_lo, s17
	s_cbranch_execz .LBB6_3843
.LBB6_4626:                             ;   in Loop: Header=BB6_3361 Depth=3
	v_cmp_ne_u16_e32 vcc_lo, 0, v74
	v_mov_b32_e32 v72, 0
	s_and_not1_b32 s13, s13, exec_lo
	s_and_b32 s16, vcc_lo, exec_lo
	s_delay_alu instid0(SALU_CYCLE_1)
	s_or_b32 s13, s13, s16
	s_or_b32 exec_lo, exec_lo, s17
	s_and_saveexec_b32 s16, s13
	s_cbranch_execnz .LBB6_3844
	s_branch .LBB6_3845
.LBB6_4627:                             ;   in Loop: Header=BB6_3361 Depth=3
	s_mov_b32 s13, -1
	s_mov_b32 s30, exec_lo
                                        ; implicit-def: $sgpr16
	v_cmpx_eq_u16_e32 0x80, v75
; %bb.4628:                             ;   in Loop: Header=BB6_3361 Depth=3
	s_mov_b32 s16, 0x7f800001
	s_xor_b32 s13, exec_lo, -1
; %bb.4629:                             ;   in Loop: Header=BB6_3361 Depth=3
	s_or_b32 exec_lo, exec_lo, s30
	s_delay_alu instid0(SALU_CYCLE_1)
	s_and_b32 s13, s13, exec_lo
                                        ; implicit-def: $vgpr75
	s_or_saveexec_b32 s17, s17
	v_mov_b32_e32 v74, s16
	s_xor_b32 exec_lo, exec_lo, s17
	s_cbranch_execz .LBB6_3847
.LBB6_4630:                             ;   in Loop: Header=BB6_3361 Depth=3
	v_cmp_ne_u16_e32 vcc_lo, 0, v75
	v_mov_b32_e32 v74, 0
	s_and_not1_b32 s13, s13, exec_lo
	s_and_b32 s16, vcc_lo, exec_lo
	s_delay_alu instid0(SALU_CYCLE_1)
	s_or_b32 s13, s13, s16
	s_or_b32 exec_lo, exec_lo, s17
	s_and_saveexec_b32 s16, s13
	s_cbranch_execnz .LBB6_3848
	s_branch .LBB6_3849
.LBB6_4631:                             ;   in Loop: Header=BB6_3361 Depth=3
	s_mov_b32 s13, -1
	s_mov_b32 s30, exec_lo
                                        ; implicit-def: $sgpr16
	v_cmpx_eq_u16_e32 0x80, v74
; %bb.4632:                             ;   in Loop: Header=BB6_3361 Depth=3
	s_mov_b32 s16, 0x7f800001
	s_xor_b32 s13, exec_lo, -1
; %bb.4633:                             ;   in Loop: Header=BB6_3361 Depth=3
	s_or_b32 exec_lo, exec_lo, s30
	s_delay_alu instid0(SALU_CYCLE_1)
	s_and_b32 s13, s13, exec_lo
	s_or_saveexec_b32 s17, s17
	v_mov_b32_e32 v73, s16
	s_xor_b32 exec_lo, exec_lo, s17
	s_cbranch_execz .LBB6_3859
.LBB6_4634:                             ;   in Loop: Header=BB6_3361 Depth=3
	v_cmp_ne_u16_e32 vcc_lo, 0, v74
	v_mov_b32_e32 v73, 0
	s_and_not1_b32 s13, s13, exec_lo
	s_and_b32 s16, vcc_lo, exec_lo
	s_delay_alu instid0(SALU_CYCLE_1)
	s_or_b32 s13, s13, s16
	s_or_b32 exec_lo, exec_lo, s17
	s_and_saveexec_b32 s16, s13
	s_cbranch_execnz .LBB6_3860
	s_branch .LBB6_3861
.LBB6_4635:                             ;   in Loop: Header=BB6_3361 Depth=3
	s_mov_b32 s13, -1
	s_mov_b32 s30, exec_lo
                                        ; implicit-def: $sgpr16
	v_cmpx_eq_u16_e32 0x80, v35
; %bb.4636:                             ;   in Loop: Header=BB6_3361 Depth=3
	s_mov_b32 s16, 0x7f800001
	s_xor_b32 s13, exec_lo, -1
; %bb.4637:                             ;   in Loop: Header=BB6_3361 Depth=3
	s_or_b32 exec_lo, exec_lo, s30
	s_delay_alu instid0(SALU_CYCLE_1)
	s_and_b32 s13, s13, exec_lo
	s_or_saveexec_b32 s17, s17
	v_mov_b32_e32 v74, s16
	s_xor_b32 exec_lo, exec_lo, s17
	s_cbranch_execz .LBB6_3863
.LBB6_4638:                             ;   in Loop: Header=BB6_3361 Depth=3
	v_cmp_ne_u16_e32 vcc_lo, 0, v35
	v_mov_b32_e32 v74, 0
	s_and_not1_b32 s13, s13, exec_lo
	s_and_b32 s16, vcc_lo, exec_lo
	s_delay_alu instid0(SALU_CYCLE_1)
	s_or_b32 s13, s13, s16
	s_or_b32 exec_lo, exec_lo, s17
	s_and_saveexec_b32 s16, s13
	s_cbranch_execnz .LBB6_3864
	s_branch .LBB6_3865
.LBB6_4639:                             ;   in Loop: Header=BB6_3361 Depth=3
	s_mov_b32 s13, -1
	s_mov_b32 s30, exec_lo
                                        ; implicit-def: $sgpr16
	v_cmpx_eq_u16_e32 0x80, v73
; %bb.4640:                             ;   in Loop: Header=BB6_3361 Depth=3
	s_mov_b32 s16, 0x7f800001
	s_xor_b32 s13, exec_lo, -1
; %bb.4641:                             ;   in Loop: Header=BB6_3361 Depth=3
	s_or_b32 exec_lo, exec_lo, s30
	s_delay_alu instid0(SALU_CYCLE_1)
	s_and_b32 s13, s13, exec_lo
                                        ; implicit-def: $vgpr73
	s_or_saveexec_b32 s17, s17
	v_mov_b32_e32 v35, s16
	s_xor_b32 exec_lo, exec_lo, s17
	s_cbranch_execz .LBB6_3875
.LBB6_4642:                             ;   in Loop: Header=BB6_3361 Depth=3
	v_cmp_ne_u16_e32 vcc_lo, 0, v73
	v_mov_b32_e32 v35, 0
	s_and_not1_b32 s13, s13, exec_lo
	s_and_b32 s16, vcc_lo, exec_lo
	s_delay_alu instid0(SALU_CYCLE_1)
	s_or_b32 s13, s13, s16
	s_or_b32 exec_lo, exec_lo, s17
	s_and_saveexec_b32 s16, s13
	s_cbranch_execnz .LBB6_3876
	s_branch .LBB6_3877
.LBB6_4643:                             ;   in Loop: Header=BB6_3361 Depth=3
	s_mov_b32 s13, -1
	s_mov_b32 s30, exec_lo
                                        ; implicit-def: $sgpr16
	v_cmpx_eq_u16_e32 0x80, v74
; %bb.4644:                             ;   in Loop: Header=BB6_3361 Depth=3
	s_mov_b32 s16, 0x7f800001
	s_xor_b32 s13, exec_lo, -1
; %bb.4645:                             ;   in Loop: Header=BB6_3361 Depth=3
	s_or_b32 exec_lo, exec_lo, s30
	s_delay_alu instid0(SALU_CYCLE_1)
	s_and_b32 s13, s13, exec_lo
                                        ; implicit-def: $vgpr74
	s_or_saveexec_b32 s17, s17
	v_mov_b32_e32 v73, s16
	s_xor_b32 exec_lo, exec_lo, s17
	s_cbranch_execz .LBB6_3879
.LBB6_4646:                             ;   in Loop: Header=BB6_3361 Depth=3
	v_cmp_ne_u16_e32 vcc_lo, 0, v74
	v_mov_b32_e32 v73, 0
	s_and_not1_b32 s13, s13, exec_lo
	s_and_b32 s16, vcc_lo, exec_lo
	s_delay_alu instid0(SALU_CYCLE_1)
	s_or_b32 s13, s13, s16
	s_or_b32 exec_lo, exec_lo, s17
	s_and_saveexec_b32 s16, s13
	s_cbranch_execnz .LBB6_3880
	s_branch .LBB6_3881
.LBB6_4647:                             ;   in Loop: Header=BB6_3361 Depth=3
	s_mov_b32 s13, -1
	s_mov_b32 s30, exec_lo
                                        ; implicit-def: $sgpr16
	v_cmpx_eq_u16_e32 0x80, v74
; %bb.4648:                             ;   in Loop: Header=BB6_3361 Depth=3
	s_mov_b32 s16, 0x7f800001
	s_xor_b32 s13, exec_lo, -1
; %bb.4649:                             ;   in Loop: Header=BB6_3361 Depth=3
	s_or_b32 exec_lo, exec_lo, s30
	s_delay_alu instid0(SALU_CYCLE_1)
	s_and_b32 s13, s13, exec_lo
	s_or_saveexec_b32 s17, s17
	v_mov_b32_e32 v73, s16
	s_xor_b32 exec_lo, exec_lo, s17
	s_cbranch_execz .LBB6_3891
.LBB6_4650:                             ;   in Loop: Header=BB6_3361 Depth=3
	v_cmp_ne_u16_e32 vcc_lo, 0, v74
	v_mov_b32_e32 v73, 0
	s_and_not1_b32 s13, s13, exec_lo
	s_and_b32 s16, vcc_lo, exec_lo
	s_delay_alu instid0(SALU_CYCLE_1)
	s_or_b32 s13, s13, s16
	s_or_b32 exec_lo, exec_lo, s17
	s_and_saveexec_b32 s16, s13
	s_cbranch_execnz .LBB6_3892
	s_branch .LBB6_3893
.LBB6_4651:                             ;   in Loop: Header=BB6_3361 Depth=3
	s_mov_b32 s13, -1
	s_mov_b32 s30, exec_lo
                                        ; implicit-def: $sgpr16
	v_cmpx_eq_u16_e32 0x80, v74
; %bb.4652:                             ;   in Loop: Header=BB6_3361 Depth=3
	s_mov_b32 s16, 0x7f800001
	s_xor_b32 s13, exec_lo, -1
; %bb.4653:                             ;   in Loop: Header=BB6_3361 Depth=3
	s_or_b32 exec_lo, exec_lo, s30
	s_delay_alu instid0(SALU_CYCLE_1)
	s_and_b32 s13, s13, exec_lo
	s_or_saveexec_b32 s17, s17
	v_mov_b32_e32 v75, s16
	s_xor_b32 exec_lo, exec_lo, s17
	s_cbranch_execz .LBB6_3895
.LBB6_4654:                             ;   in Loop: Header=BB6_3361 Depth=3
	v_cmp_ne_u16_e32 vcc_lo, 0, v74
	v_mov_b32_e32 v75, 0
	s_and_not1_b32 s13, s13, exec_lo
	s_and_b32 s16, vcc_lo, exec_lo
	s_delay_alu instid0(SALU_CYCLE_1)
	s_or_b32 s13, s13, s16
	s_or_b32 exec_lo, exec_lo, s17
	s_and_saveexec_b32 s16, s13
	s_cbranch_execnz .LBB6_3896
	s_branch .LBB6_3897
.LBB6_4655:                             ;   in Loop: Header=BB6_3361 Depth=3
	s_mov_b32 s13, -1
	s_mov_b32 s30, exec_lo
                                        ; implicit-def: $sgpr16
	v_cmpx_eq_u16_e32 0x80, v76
; %bb.4656:                             ;   in Loop: Header=BB6_3361 Depth=3
	s_mov_b32 s16, 0x7f800001
	s_xor_b32 s13, exec_lo, -1
; %bb.4657:                             ;   in Loop: Header=BB6_3361 Depth=3
	s_or_b32 exec_lo, exec_lo, s30
	s_delay_alu instid0(SALU_CYCLE_1)
	s_and_b32 s13, s13, exec_lo
                                        ; implicit-def: $vgpr76
	s_or_saveexec_b32 s17, s17
	v_mov_b32_e32 v74, s16
	s_xor_b32 exec_lo, exec_lo, s17
	s_cbranch_execz .LBB6_3907
.LBB6_4658:                             ;   in Loop: Header=BB6_3361 Depth=3
	v_cmp_ne_u16_e32 vcc_lo, 0, v76
	v_mov_b32_e32 v74, 0
	s_and_not1_b32 s13, s13, exec_lo
	s_and_b32 s16, vcc_lo, exec_lo
	s_delay_alu instid0(SALU_CYCLE_1)
	s_or_b32 s13, s13, s16
	s_or_b32 exec_lo, exec_lo, s17
	s_and_saveexec_b32 s16, s13
	s_cbranch_execnz .LBB6_3908
	s_branch .LBB6_3909
.LBB6_4659:                             ;   in Loop: Header=BB6_3361 Depth=3
	s_mov_b32 s13, -1
	s_mov_b32 s30, exec_lo
                                        ; implicit-def: $sgpr16
	v_cmpx_eq_u16_e32 0x80, v77
; %bb.4660:                             ;   in Loop: Header=BB6_3361 Depth=3
	s_mov_b32 s16, 0x7f800001
	s_xor_b32 s13, exec_lo, -1
; %bb.4661:                             ;   in Loop: Header=BB6_3361 Depth=3
	s_or_b32 exec_lo, exec_lo, s30
	s_delay_alu instid0(SALU_CYCLE_1)
	s_and_b32 s13, s13, exec_lo
                                        ; implicit-def: $vgpr77
	s_or_saveexec_b32 s17, s17
	v_mov_b32_e32 v76, s16
	s_xor_b32 exec_lo, exec_lo, s17
	s_cbranch_execz .LBB6_3911
.LBB6_4662:                             ;   in Loop: Header=BB6_3361 Depth=3
	v_cmp_ne_u16_e32 vcc_lo, 0, v77
	v_mov_b32_e32 v76, 0
	s_and_not1_b32 s13, s13, exec_lo
	s_and_b32 s16, vcc_lo, exec_lo
	s_delay_alu instid0(SALU_CYCLE_1)
	s_or_b32 s13, s13, s16
	s_or_b32 exec_lo, exec_lo, s17
	s_and_saveexec_b32 s16, s13
	s_cbranch_execnz .LBB6_3912
	s_branch .LBB6_3913
.LBB6_4663:                             ;   in Loop: Header=BB6_3361 Depth=3
	s_mov_b32 s13, -1
	s_mov_b32 s30, exec_lo
                                        ; implicit-def: $sgpr16
	v_cmpx_eq_u16_e32 0x80, v76
; %bb.4664:                             ;   in Loop: Header=BB6_3361 Depth=3
	s_mov_b32 s16, 0x7f800001
	s_xor_b32 s13, exec_lo, -1
; %bb.4665:                             ;   in Loop: Header=BB6_3361 Depth=3
	s_or_b32 exec_lo, exec_lo, s30
	s_delay_alu instid0(SALU_CYCLE_1)
	s_and_b32 s13, s13, exec_lo
	s_or_saveexec_b32 s17, s17
	v_mov_b32_e32 v75, s16
	s_xor_b32 exec_lo, exec_lo, s17
	s_cbranch_execz .LBB6_3923
.LBB6_4666:                             ;   in Loop: Header=BB6_3361 Depth=3
	v_cmp_ne_u16_e32 vcc_lo, 0, v76
	v_mov_b32_e32 v75, 0
	s_and_not1_b32 s13, s13, exec_lo
	s_and_b32 s16, vcc_lo, exec_lo
	s_delay_alu instid0(SALU_CYCLE_1)
	s_or_b32 s13, s13, s16
	s_or_b32 exec_lo, exec_lo, s17
	s_and_saveexec_b32 s16, s13
	s_cbranch_execnz .LBB6_3924
	s_branch .LBB6_3925
.LBB6_4667:                             ;   in Loop: Header=BB6_3361 Depth=3
	s_mov_b32 s13, -1
	s_mov_b32 s30, exec_lo
                                        ; implicit-def: $sgpr16
	v_cmpx_eq_u16_e32 0x80, v20
; %bb.4668:                             ;   in Loop: Header=BB6_3361 Depth=3
	s_mov_b32 s16, 0x7f800001
	s_xor_b32 s13, exec_lo, -1
; %bb.4669:                             ;   in Loop: Header=BB6_3361 Depth=3
	s_or_b32 exec_lo, exec_lo, s30
	s_delay_alu instid0(SALU_CYCLE_1)
	s_and_b32 s13, s13, exec_lo
	s_or_saveexec_b32 s17, s17
	v_mov_b32_e32 v76, s16
	s_xor_b32 exec_lo, exec_lo, s17
	s_cbranch_execz .LBB6_3927
.LBB6_4670:                             ;   in Loop: Header=BB6_3361 Depth=3
	v_cmp_ne_u16_e32 vcc_lo, 0, v20
	v_mov_b32_e32 v76, 0
	s_and_not1_b32 s13, s13, exec_lo
	s_and_b32 s16, vcc_lo, exec_lo
	s_delay_alu instid0(SALU_CYCLE_1)
	s_or_b32 s13, s13, s16
	s_or_b32 exec_lo, exec_lo, s17
	s_and_saveexec_b32 s16, s13
	s_cbranch_execnz .LBB6_3928
	s_branch .LBB6_3929
.LBB6_4671:                             ;   in Loop: Header=BB6_3361 Depth=3
	s_mov_b32 s13, -1
	s_mov_b32 s30, exec_lo
                                        ; implicit-def: $sgpr16
	v_cmpx_eq_u16_e32 0x80, v75
; %bb.4672:                             ;   in Loop: Header=BB6_3361 Depth=3
	s_mov_b32 s16, 0x7f800001
	s_xor_b32 s13, exec_lo, -1
; %bb.4673:                             ;   in Loop: Header=BB6_3361 Depth=3
	s_or_b32 exec_lo, exec_lo, s30
	s_delay_alu instid0(SALU_CYCLE_1)
	s_and_b32 s13, s13, exec_lo
                                        ; implicit-def: $vgpr75
	s_or_saveexec_b32 s17, s17
	v_mov_b32_e32 v20, s16
	s_xor_b32 exec_lo, exec_lo, s17
	s_cbranch_execz .LBB6_3939
.LBB6_4674:                             ;   in Loop: Header=BB6_3361 Depth=3
	v_cmp_ne_u16_e32 vcc_lo, 0, v75
	v_mov_b32_e32 v20, 0
	s_and_not1_b32 s13, s13, exec_lo
	s_and_b32 s16, vcc_lo, exec_lo
	s_delay_alu instid0(SALU_CYCLE_1)
	s_or_b32 s13, s13, s16
	s_or_b32 exec_lo, exec_lo, s17
	s_and_saveexec_b32 s16, s13
	s_cbranch_execnz .LBB6_3940
	s_branch .LBB6_3941
.LBB6_4675:                             ;   in Loop: Header=BB6_3361 Depth=3
	s_mov_b32 s13, -1
	s_mov_b32 s30, exec_lo
                                        ; implicit-def: $sgpr16
	v_cmpx_eq_u16_e32 0x80, v76
; %bb.4676:                             ;   in Loop: Header=BB6_3361 Depth=3
	s_mov_b32 s16, 0x7f800001
	s_xor_b32 s13, exec_lo, -1
; %bb.4677:                             ;   in Loop: Header=BB6_3361 Depth=3
	s_or_b32 exec_lo, exec_lo, s30
	s_delay_alu instid0(SALU_CYCLE_1)
	s_and_b32 s13, s13, exec_lo
                                        ; implicit-def: $vgpr76
	s_or_saveexec_b32 s17, s17
	v_mov_b32_e32 v75, s16
	s_xor_b32 exec_lo, exec_lo, s17
	s_cbranch_execz .LBB6_3943
.LBB6_4678:                             ;   in Loop: Header=BB6_3361 Depth=3
	v_cmp_ne_u16_e32 vcc_lo, 0, v76
	v_mov_b32_e32 v75, 0
	s_and_not1_b32 s13, s13, exec_lo
	s_and_b32 s16, vcc_lo, exec_lo
	s_delay_alu instid0(SALU_CYCLE_1)
	s_or_b32 s13, s13, s16
	s_or_b32 exec_lo, exec_lo, s17
	s_and_saveexec_b32 s16, s13
	s_cbranch_execnz .LBB6_3944
	s_branch .LBB6_3945
.LBB6_4679:                             ;   in Loop: Header=BB6_3361 Depth=3
	s_mov_b32 s13, -1
	s_mov_b32 s30, exec_lo
                                        ; implicit-def: $sgpr16
	v_cmpx_eq_u16_e32 0x80, v76
; %bb.4680:                             ;   in Loop: Header=BB6_3361 Depth=3
	s_mov_b32 s16, 0x7f800001
	s_xor_b32 s13, exec_lo, -1
; %bb.4681:                             ;   in Loop: Header=BB6_3361 Depth=3
	s_or_b32 exec_lo, exec_lo, s30
	s_delay_alu instid0(SALU_CYCLE_1)
	s_and_b32 s13, s13, exec_lo
	s_or_saveexec_b32 s17, s17
	v_mov_b32_e32 v75, s16
	s_xor_b32 exec_lo, exec_lo, s17
	s_cbranch_execz .LBB6_3955
.LBB6_4682:                             ;   in Loop: Header=BB6_3361 Depth=3
	v_cmp_ne_u16_e32 vcc_lo, 0, v76
	v_mov_b32_e32 v75, 0
	s_and_not1_b32 s13, s13, exec_lo
	s_and_b32 s16, vcc_lo, exec_lo
	s_delay_alu instid0(SALU_CYCLE_1)
	s_or_b32 s13, s13, s16
	s_or_b32 exec_lo, exec_lo, s17
	s_and_saveexec_b32 s16, s13
	s_cbranch_execnz .LBB6_3956
	s_branch .LBB6_3957
.LBB6_4683:                             ;   in Loop: Header=BB6_3361 Depth=3
	s_mov_b32 s13, -1
	s_mov_b32 s30, exec_lo
                                        ; implicit-def: $sgpr16
	v_cmpx_eq_u16_e32 0x80, v76
; %bb.4684:                             ;   in Loop: Header=BB6_3361 Depth=3
	s_mov_b32 s16, 0x7f800001
	s_xor_b32 s13, exec_lo, -1
; %bb.4685:                             ;   in Loop: Header=BB6_3361 Depth=3
	s_or_b32 exec_lo, exec_lo, s30
	s_delay_alu instid0(SALU_CYCLE_1)
	s_and_b32 s13, s13, exec_lo
	s_or_saveexec_b32 s17, s17
	v_mov_b32_e32 v77, s16
	s_xor_b32 exec_lo, exec_lo, s17
	s_cbranch_execz .LBB6_3959
.LBB6_4686:                             ;   in Loop: Header=BB6_3361 Depth=3
	v_cmp_ne_u16_e32 vcc_lo, 0, v76
	v_mov_b32_e32 v77, 0
	s_and_not1_b32 s13, s13, exec_lo
	s_and_b32 s16, vcc_lo, exec_lo
	s_delay_alu instid0(SALU_CYCLE_1)
	s_or_b32 s13, s13, s16
	s_or_b32 exec_lo, exec_lo, s17
	s_and_saveexec_b32 s16, s13
	s_cbranch_execnz .LBB6_3960
	s_branch .LBB6_3961
.LBB6_4687:                             ;   in Loop: Header=BB6_3361 Depth=3
	s_mov_b32 s13, -1
	s_mov_b32 s30, exec_lo
                                        ; implicit-def: $sgpr16
	v_cmpx_eq_u16_e32 0x80, v78
; %bb.4688:                             ;   in Loop: Header=BB6_3361 Depth=3
	s_mov_b32 s16, 0x7f800001
	s_xor_b32 s13, exec_lo, -1
; %bb.4689:                             ;   in Loop: Header=BB6_3361 Depth=3
	s_or_b32 exec_lo, exec_lo, s30
	s_delay_alu instid0(SALU_CYCLE_1)
	s_and_b32 s13, s13, exec_lo
                                        ; implicit-def: $vgpr78
	s_or_saveexec_b32 s17, s17
	v_mov_b32_e32 v76, s16
	s_xor_b32 exec_lo, exec_lo, s17
	s_cbranch_execz .LBB6_3971
.LBB6_4690:                             ;   in Loop: Header=BB6_3361 Depth=3
	v_cmp_ne_u16_e32 vcc_lo, 0, v78
	v_mov_b32_e32 v76, 0
	s_and_not1_b32 s13, s13, exec_lo
	s_and_b32 s16, vcc_lo, exec_lo
	s_delay_alu instid0(SALU_CYCLE_1)
	s_or_b32 s13, s13, s16
	s_or_b32 exec_lo, exec_lo, s17
	s_and_saveexec_b32 s16, s13
	s_cbranch_execnz .LBB6_3972
	s_branch .LBB6_3973
.LBB6_4691:                             ;   in Loop: Header=BB6_3361 Depth=3
	s_mov_b32 s13, -1
	s_mov_b32 s30, exec_lo
                                        ; implicit-def: $sgpr16
	v_cmpx_eq_u16_e32 0x80, v79
; %bb.4692:                             ;   in Loop: Header=BB6_3361 Depth=3
	s_mov_b32 s16, 0x7f800001
	s_xor_b32 s13, exec_lo, -1
; %bb.4693:                             ;   in Loop: Header=BB6_3361 Depth=3
	s_or_b32 exec_lo, exec_lo, s30
	s_delay_alu instid0(SALU_CYCLE_1)
	s_and_b32 s13, s13, exec_lo
                                        ; implicit-def: $vgpr79
	s_or_saveexec_b32 s17, s17
	v_mov_b32_e32 v78, s16
	s_xor_b32 exec_lo, exec_lo, s17
	s_cbranch_execz .LBB6_3975
.LBB6_4694:                             ;   in Loop: Header=BB6_3361 Depth=3
	v_cmp_ne_u16_e32 vcc_lo, 0, v79
	v_mov_b32_e32 v78, 0
	s_and_not1_b32 s13, s13, exec_lo
	s_and_b32 s16, vcc_lo, exec_lo
	s_delay_alu instid0(SALU_CYCLE_1)
	s_or_b32 s13, s13, s16
	s_or_b32 exec_lo, exec_lo, s17
	s_and_saveexec_b32 s16, s13
	s_cbranch_execnz .LBB6_3976
	s_branch .LBB6_3977
.LBB6_4695:                             ;   in Loop: Header=BB6_3361 Depth=3
	s_mov_b32 s13, -1
	s_mov_b32 s30, exec_lo
                                        ; implicit-def: $sgpr16
	v_cmpx_eq_u16_e32 0x80, v78
; %bb.4696:                             ;   in Loop: Header=BB6_3361 Depth=3
	s_mov_b32 s16, 0x7f800001
	s_xor_b32 s13, exec_lo, -1
; %bb.4697:                             ;   in Loop: Header=BB6_3361 Depth=3
	s_or_b32 exec_lo, exec_lo, s30
	s_delay_alu instid0(SALU_CYCLE_1)
	s_and_b32 s13, s13, exec_lo
	s_or_saveexec_b32 s17, s17
	v_mov_b32_e32 v77, s16
	s_xor_b32 exec_lo, exec_lo, s17
	s_cbranch_execz .LBB6_3987
.LBB6_4698:                             ;   in Loop: Header=BB6_3361 Depth=3
	v_cmp_ne_u16_e32 vcc_lo, 0, v78
	v_mov_b32_e32 v77, 0
	s_and_not1_b32 s13, s13, exec_lo
	s_and_b32 s16, vcc_lo, exec_lo
	s_delay_alu instid0(SALU_CYCLE_1)
	s_or_b32 s13, s13, s16
	s_or_b32 exec_lo, exec_lo, s17
	s_and_saveexec_b32 s16, s13
	s_cbranch_execnz .LBB6_3988
	s_branch .LBB6_3989
.LBB6_4699:                             ;   in Loop: Header=BB6_3361 Depth=3
	s_mov_b32 s13, -1
	s_mov_b32 s30, exec_lo
                                        ; implicit-def: $sgpr16
	v_cmpx_eq_u16_e32 0x80, v21
; %bb.4700:                             ;   in Loop: Header=BB6_3361 Depth=3
	s_mov_b32 s16, 0x7f800001
	s_xor_b32 s13, exec_lo, -1
; %bb.4701:                             ;   in Loop: Header=BB6_3361 Depth=3
	s_or_b32 exec_lo, exec_lo, s30
	s_delay_alu instid0(SALU_CYCLE_1)
	s_and_b32 s13, s13, exec_lo
	s_or_saveexec_b32 s17, s17
	v_mov_b32_e32 v78, s16
	s_xor_b32 exec_lo, exec_lo, s17
	s_cbranch_execz .LBB6_3991
.LBB6_4702:                             ;   in Loop: Header=BB6_3361 Depth=3
	v_cmp_ne_u16_e32 vcc_lo, 0, v21
	v_mov_b32_e32 v78, 0
	s_and_not1_b32 s13, s13, exec_lo
	s_and_b32 s16, vcc_lo, exec_lo
	s_delay_alu instid0(SALU_CYCLE_1)
	s_or_b32 s13, s13, s16
	s_or_b32 exec_lo, exec_lo, s17
	s_and_saveexec_b32 s16, s13
	s_cbranch_execnz .LBB6_3992
	s_branch .LBB6_3993
.LBB6_4703:                             ;   in Loop: Header=BB6_3361 Depth=3
	s_mov_b32 s13, -1
	s_mov_b32 s30, exec_lo
                                        ; implicit-def: $sgpr16
	v_cmpx_eq_u16_e32 0x80, v77
; %bb.4704:                             ;   in Loop: Header=BB6_3361 Depth=3
	s_mov_b32 s16, 0x7f800001
	s_xor_b32 s13, exec_lo, -1
; %bb.4705:                             ;   in Loop: Header=BB6_3361 Depth=3
	s_or_b32 exec_lo, exec_lo, s30
	s_delay_alu instid0(SALU_CYCLE_1)
	s_and_b32 s13, s13, exec_lo
                                        ; implicit-def: $vgpr77
	s_or_saveexec_b32 s17, s17
	v_mov_b32_e32 v21, s16
	s_xor_b32 exec_lo, exec_lo, s17
	s_cbranch_execz .LBB6_4003
.LBB6_4706:                             ;   in Loop: Header=BB6_3361 Depth=3
	v_cmp_ne_u16_e32 vcc_lo, 0, v77
	v_mov_b32_e32 v21, 0
	s_and_not1_b32 s13, s13, exec_lo
	s_and_b32 s16, vcc_lo, exec_lo
	s_delay_alu instid0(SALU_CYCLE_1)
	s_or_b32 s13, s13, s16
	s_or_b32 exec_lo, exec_lo, s17
	s_and_saveexec_b32 s16, s13
	s_cbranch_execnz .LBB6_4004
	s_branch .LBB6_4005
.LBB6_4707:                             ;   in Loop: Header=BB6_3361 Depth=3
	s_mov_b32 s13, -1
	s_mov_b32 s30, exec_lo
                                        ; implicit-def: $sgpr16
	v_cmpx_eq_u16_e32 0x80, v78
; %bb.4708:                             ;   in Loop: Header=BB6_3361 Depth=3
	s_mov_b32 s16, 0x7f800001
	s_xor_b32 s13, exec_lo, -1
; %bb.4709:                             ;   in Loop: Header=BB6_3361 Depth=3
	s_or_b32 exec_lo, exec_lo, s30
	s_delay_alu instid0(SALU_CYCLE_1)
	s_and_b32 s13, s13, exec_lo
                                        ; implicit-def: $vgpr78
	s_or_saveexec_b32 s17, s17
	v_mov_b32_e32 v77, s16
	s_xor_b32 exec_lo, exec_lo, s17
	s_cbranch_execz .LBB6_4007
.LBB6_4710:                             ;   in Loop: Header=BB6_3361 Depth=3
	v_cmp_ne_u16_e32 vcc_lo, 0, v78
	v_mov_b32_e32 v77, 0
	s_and_not1_b32 s13, s13, exec_lo
	s_and_b32 s16, vcc_lo, exec_lo
	s_delay_alu instid0(SALU_CYCLE_1)
	s_or_b32 s13, s13, s16
	s_or_b32 exec_lo, exec_lo, s17
	s_and_saveexec_b32 s16, s13
	s_cbranch_execnz .LBB6_4008
	s_branch .LBB6_4009
.LBB6_4711:                             ;   in Loop: Header=BB6_3361 Depth=3
	s_mov_b32 s13, -1
	s_mov_b32 s30, exec_lo
                                        ; implicit-def: $sgpr16
	v_cmpx_eq_u16_e32 0x80, v78
; %bb.4712:                             ;   in Loop: Header=BB6_3361 Depth=3
	s_mov_b32 s16, 0x7f800001
	s_xor_b32 s13, exec_lo, -1
; %bb.4713:                             ;   in Loop: Header=BB6_3361 Depth=3
	s_or_b32 exec_lo, exec_lo, s30
	s_delay_alu instid0(SALU_CYCLE_1)
	s_and_b32 s13, s13, exec_lo
	s_or_saveexec_b32 s17, s17
	v_mov_b32_e32 v77, s16
	s_xor_b32 exec_lo, exec_lo, s17
	s_cbranch_execz .LBB6_4019
.LBB6_4714:                             ;   in Loop: Header=BB6_3361 Depth=3
	v_cmp_ne_u16_e32 vcc_lo, 0, v78
	v_mov_b32_e32 v77, 0
	s_and_not1_b32 s13, s13, exec_lo
	s_and_b32 s16, vcc_lo, exec_lo
	s_delay_alu instid0(SALU_CYCLE_1)
	s_or_b32 s13, s13, s16
	s_or_b32 exec_lo, exec_lo, s17
	s_and_saveexec_b32 s16, s13
	s_cbranch_execnz .LBB6_4020
	s_branch .LBB6_4021
.LBB6_4715:                             ;   in Loop: Header=BB6_3361 Depth=3
	s_mov_b32 s13, -1
	s_mov_b32 s30, exec_lo
                                        ; implicit-def: $sgpr16
	v_cmpx_eq_u16_e32 0x80, v78
; %bb.4716:                             ;   in Loop: Header=BB6_3361 Depth=3
	s_mov_b32 s16, 0x7f800001
	s_xor_b32 s13, exec_lo, -1
; %bb.4717:                             ;   in Loop: Header=BB6_3361 Depth=3
	s_or_b32 exec_lo, exec_lo, s30
	s_delay_alu instid0(SALU_CYCLE_1)
	s_and_b32 s13, s13, exec_lo
	s_or_saveexec_b32 s17, s17
	v_mov_b32_e32 v79, s16
	s_xor_b32 exec_lo, exec_lo, s17
	s_cbranch_execz .LBB6_4023
.LBB6_4718:                             ;   in Loop: Header=BB6_3361 Depth=3
	v_cmp_ne_u16_e32 vcc_lo, 0, v78
	v_mov_b32_e32 v79, 0
	s_and_not1_b32 s13, s13, exec_lo
	s_and_b32 s16, vcc_lo, exec_lo
	s_delay_alu instid0(SALU_CYCLE_1)
	s_or_b32 s13, s13, s16
	s_or_b32 exec_lo, exec_lo, s17
	s_and_saveexec_b32 s16, s13
	s_cbranch_execnz .LBB6_4024
	s_branch .LBB6_4025
.LBB6_4719:                             ;   in Loop: Header=BB6_3361 Depth=3
	s_mov_b32 s13, -1
	s_mov_b32 s30, exec_lo
                                        ; implicit-def: $sgpr16
	v_cmpx_eq_u16_e32 0x80, v88
; %bb.4720:                             ;   in Loop: Header=BB6_3361 Depth=3
	s_mov_b32 s16, 0x7f800001
	s_xor_b32 s13, exec_lo, -1
; %bb.4721:                             ;   in Loop: Header=BB6_3361 Depth=3
	s_or_b32 exec_lo, exec_lo, s30
	s_delay_alu instid0(SALU_CYCLE_1)
	s_and_b32 s13, s13, exec_lo
                                        ; implicit-def: $vgpr88
	s_or_saveexec_b32 s17, s17
	v_mov_b32_e32 v78, s16
	s_xor_b32 exec_lo, exec_lo, s17
	s_cbranch_execz .LBB6_4035
.LBB6_4722:                             ;   in Loop: Header=BB6_3361 Depth=3
	v_cmp_ne_u16_e32 vcc_lo, 0, v88
	v_mov_b32_e32 v78, 0
	s_and_not1_b32 s13, s13, exec_lo
	s_and_b32 s16, vcc_lo, exec_lo
	s_delay_alu instid0(SALU_CYCLE_1)
	s_or_b32 s13, s13, s16
	s_or_b32 exec_lo, exec_lo, s17
	s_and_saveexec_b32 s16, s13
	s_cbranch_execnz .LBB6_4036
	s_branch .LBB6_4037
.LBB6_4723:                             ;   in Loop: Header=BB6_3361 Depth=3
	s_mov_b32 s13, -1
	s_mov_b32 s30, exec_lo
                                        ; implicit-def: $sgpr16
	v_cmpx_eq_u16_e32 0x80, v89
; %bb.4724:                             ;   in Loop: Header=BB6_3361 Depth=3
	s_mov_b32 s16, 0x7f800001
	s_xor_b32 s13, exec_lo, -1
; %bb.4725:                             ;   in Loop: Header=BB6_3361 Depth=3
	s_or_b32 exec_lo, exec_lo, s30
	s_delay_alu instid0(SALU_CYCLE_1)
	s_and_b32 s13, s13, exec_lo
                                        ; implicit-def: $vgpr89
	s_or_saveexec_b32 s17, s17
	v_mov_b32_e32 v88, s16
	s_xor_b32 exec_lo, exec_lo, s17
	s_cbranch_execz .LBB6_4039
.LBB6_4726:                             ;   in Loop: Header=BB6_3361 Depth=3
	v_cmp_ne_u16_e32 vcc_lo, 0, v89
	v_mov_b32_e32 v88, 0
	s_and_not1_b32 s13, s13, exec_lo
	s_and_b32 s16, vcc_lo, exec_lo
	s_delay_alu instid0(SALU_CYCLE_1)
	s_or_b32 s13, s13, s16
	s_or_b32 exec_lo, exec_lo, s17
	s_and_saveexec_b32 s16, s13
	s_cbranch_execnz .LBB6_4040
	s_branch .LBB6_4041
.LBB6_4727:                             ;   in Loop: Header=BB6_3361 Depth=3
	s_mov_b32 s13, -1
	s_mov_b32 s30, exec_lo
                                        ; implicit-def: $sgpr16
	v_cmpx_eq_u16_e32 0x80, v88
; %bb.4728:                             ;   in Loop: Header=BB6_3361 Depth=3
	s_mov_b32 s16, 0x7f800001
	s_xor_b32 s13, exec_lo, -1
; %bb.4729:                             ;   in Loop: Header=BB6_3361 Depth=3
	s_or_b32 exec_lo, exec_lo, s30
	s_delay_alu instid0(SALU_CYCLE_1)
	s_and_b32 s13, s13, exec_lo
	s_or_saveexec_b32 s17, s17
	v_mov_b32_e32 v79, s16
	s_xor_b32 exec_lo, exec_lo, s17
	s_cbranch_execz .LBB6_4051
.LBB6_4730:                             ;   in Loop: Header=BB6_3361 Depth=3
	v_cmp_ne_u16_e32 vcc_lo, 0, v88
	v_mov_b32_e32 v79, 0
	s_and_not1_b32 s13, s13, exec_lo
	s_and_b32 s16, vcc_lo, exec_lo
	s_delay_alu instid0(SALU_CYCLE_1)
	s_or_b32 s13, s13, s16
	s_or_b32 exec_lo, exec_lo, s17
	s_and_saveexec_b32 s16, s13
	s_cbranch_execnz .LBB6_4052
	s_branch .LBB6_4053
.LBB6_4731:                             ;   in Loop: Header=BB6_3361 Depth=3
	s_mov_b32 s13, -1
	s_mov_b32 s30, exec_lo
                                        ; implicit-def: $sgpr16
	v_cmpx_eq_u16_e32 0x80, v22
; %bb.4732:                             ;   in Loop: Header=BB6_3361 Depth=3
	s_mov_b32 s16, 0x7f800001
	s_xor_b32 s13, exec_lo, -1
; %bb.4733:                             ;   in Loop: Header=BB6_3361 Depth=3
	s_or_b32 exec_lo, exec_lo, s30
	s_delay_alu instid0(SALU_CYCLE_1)
	s_and_b32 s13, s13, exec_lo
	s_or_saveexec_b32 s17, s17
	v_mov_b32_e32 v88, s16
	s_xor_b32 exec_lo, exec_lo, s17
	s_cbranch_execz .LBB6_4055
.LBB6_4734:                             ;   in Loop: Header=BB6_3361 Depth=3
	v_cmp_ne_u16_e32 vcc_lo, 0, v22
	v_mov_b32_e32 v88, 0
	s_and_not1_b32 s13, s13, exec_lo
	s_and_b32 s16, vcc_lo, exec_lo
	s_delay_alu instid0(SALU_CYCLE_1)
	s_or_b32 s13, s13, s16
	s_or_b32 exec_lo, exec_lo, s17
	s_and_saveexec_b32 s16, s13
	s_cbranch_execnz .LBB6_4056
	s_branch .LBB6_4057
.LBB6_4735:                             ;   in Loop: Header=BB6_3361 Depth=3
	s_mov_b32 s13, -1
	s_mov_b32 s30, exec_lo
                                        ; implicit-def: $sgpr16
	v_cmpx_eq_u16_e32 0x80, v79
; %bb.4736:                             ;   in Loop: Header=BB6_3361 Depth=3
	s_mov_b32 s16, 0x7f800001
	s_xor_b32 s13, exec_lo, -1
; %bb.4737:                             ;   in Loop: Header=BB6_3361 Depth=3
	s_or_b32 exec_lo, exec_lo, s30
	s_delay_alu instid0(SALU_CYCLE_1)
	s_and_b32 s13, s13, exec_lo
                                        ; implicit-def: $vgpr79
	s_or_saveexec_b32 s17, s17
	v_mov_b32_e32 v22, s16
	s_xor_b32 exec_lo, exec_lo, s17
	s_cbranch_execz .LBB6_4067
.LBB6_4738:                             ;   in Loop: Header=BB6_3361 Depth=3
	v_cmp_ne_u16_e32 vcc_lo, 0, v79
	v_mov_b32_e32 v22, 0
	s_and_not1_b32 s13, s13, exec_lo
	s_and_b32 s16, vcc_lo, exec_lo
	s_delay_alu instid0(SALU_CYCLE_1)
	s_or_b32 s13, s13, s16
	s_or_b32 exec_lo, exec_lo, s17
	s_and_saveexec_b32 s16, s13
	s_cbranch_execnz .LBB6_4068
	s_branch .LBB6_4069
.LBB6_4739:                             ;   in Loop: Header=BB6_3361 Depth=3
	s_mov_b32 s13, -1
	s_mov_b32 s30, exec_lo
                                        ; implicit-def: $sgpr16
	v_cmpx_eq_u16_e32 0x80, v88
; %bb.4740:                             ;   in Loop: Header=BB6_3361 Depth=3
	s_mov_b32 s16, 0x7f800001
	s_xor_b32 s13, exec_lo, -1
; %bb.4741:                             ;   in Loop: Header=BB6_3361 Depth=3
	s_or_b32 exec_lo, exec_lo, s30
	s_delay_alu instid0(SALU_CYCLE_1)
	s_and_b32 s13, s13, exec_lo
                                        ; implicit-def: $vgpr88
	s_or_saveexec_b32 s17, s17
	v_mov_b32_e32 v79, s16
	s_xor_b32 exec_lo, exec_lo, s17
	s_cbranch_execz .LBB6_4071
.LBB6_4742:                             ;   in Loop: Header=BB6_3361 Depth=3
	v_cmp_ne_u16_e32 vcc_lo, 0, v88
	v_mov_b32_e32 v79, 0
	s_and_not1_b32 s13, s13, exec_lo
	s_and_b32 s16, vcc_lo, exec_lo
	s_delay_alu instid0(SALU_CYCLE_1)
	s_or_b32 s13, s13, s16
	s_or_b32 exec_lo, exec_lo, s17
	s_and_saveexec_b32 s16, s13
	s_cbranch_execnz .LBB6_4072
	s_branch .LBB6_4073
.LBB6_4743:                             ;   in Loop: Header=BB6_3361 Depth=3
	s_mov_b32 s13, -1
	s_mov_b32 s30, exec_lo
                                        ; implicit-def: $sgpr16
	v_cmpx_eq_u16_e32 0x80, v88
; %bb.4744:                             ;   in Loop: Header=BB6_3361 Depth=3
	s_mov_b32 s16, 0x7f800001
	s_xor_b32 s13, exec_lo, -1
; %bb.4745:                             ;   in Loop: Header=BB6_3361 Depth=3
	s_or_b32 exec_lo, exec_lo, s30
	s_delay_alu instid0(SALU_CYCLE_1)
	s_and_b32 s13, s13, exec_lo
	s_or_saveexec_b32 s17, s17
	v_mov_b32_e32 v79, s16
	s_xor_b32 exec_lo, exec_lo, s17
	s_cbranch_execz .LBB6_4083
.LBB6_4746:                             ;   in Loop: Header=BB6_3361 Depth=3
	v_cmp_ne_u16_e32 vcc_lo, 0, v88
	v_mov_b32_e32 v79, 0
	s_and_not1_b32 s13, s13, exec_lo
	s_and_b32 s16, vcc_lo, exec_lo
	s_delay_alu instid0(SALU_CYCLE_1)
	s_or_b32 s13, s13, s16
	s_or_b32 exec_lo, exec_lo, s17
	s_and_saveexec_b32 s16, s13
	s_cbranch_execnz .LBB6_4084
	s_branch .LBB6_4085
.LBB6_4747:                             ;   in Loop: Header=BB6_3361 Depth=3
	s_mov_b32 s13, -1
	s_mov_b32 s30, exec_lo
                                        ; implicit-def: $sgpr16
	v_cmpx_eq_u16_e32 0x80, v88
; %bb.4748:                             ;   in Loop: Header=BB6_3361 Depth=3
	s_mov_b32 s16, 0x7f800001
	s_xor_b32 s13, exec_lo, -1
; %bb.4749:                             ;   in Loop: Header=BB6_3361 Depth=3
	s_or_b32 exec_lo, exec_lo, s30
	s_delay_alu instid0(SALU_CYCLE_1)
	s_and_b32 s13, s13, exec_lo
	s_or_saveexec_b32 s17, s17
	v_mov_b32_e32 v89, s16
	s_xor_b32 exec_lo, exec_lo, s17
	s_cbranch_execz .LBB6_4087
.LBB6_4750:                             ;   in Loop: Header=BB6_3361 Depth=3
	v_cmp_ne_u16_e32 vcc_lo, 0, v88
	v_mov_b32_e32 v89, 0
	s_and_not1_b32 s13, s13, exec_lo
	s_and_b32 s16, vcc_lo, exec_lo
	s_delay_alu instid0(SALU_CYCLE_1)
	s_or_b32 s13, s13, s16
	s_or_b32 exec_lo, exec_lo, s17
	s_and_saveexec_b32 s16, s13
	s_cbranch_execnz .LBB6_4088
	s_branch .LBB6_4089
.LBB6_4751:                             ;   in Loop: Header=BB6_3361 Depth=3
	s_mov_b32 s13, -1
	s_mov_b32 s30, exec_lo
                                        ; implicit-def: $sgpr16
	v_cmpx_eq_u16_e32 0x80, v90
; %bb.4752:                             ;   in Loop: Header=BB6_3361 Depth=3
	s_mov_b32 s16, 0x7f800001
	s_xor_b32 s13, exec_lo, -1
; %bb.4753:                             ;   in Loop: Header=BB6_3361 Depth=3
	s_or_b32 exec_lo, exec_lo, s30
	s_delay_alu instid0(SALU_CYCLE_1)
	s_and_b32 s13, s13, exec_lo
                                        ; implicit-def: $vgpr90
	s_or_saveexec_b32 s17, s17
	v_mov_b32_e32 v88, s16
	s_xor_b32 exec_lo, exec_lo, s17
	s_cbranch_execz .LBB6_4099
.LBB6_4754:                             ;   in Loop: Header=BB6_3361 Depth=3
	v_cmp_ne_u16_e32 vcc_lo, 0, v90
	v_mov_b32_e32 v88, 0
	s_and_not1_b32 s13, s13, exec_lo
	s_and_b32 s16, vcc_lo, exec_lo
	s_delay_alu instid0(SALU_CYCLE_1)
	s_or_b32 s13, s13, s16
	s_or_b32 exec_lo, exec_lo, s17
	s_and_saveexec_b32 s16, s13
	s_cbranch_execnz .LBB6_4100
	s_branch .LBB6_4101
.LBB6_4755:                             ;   in Loop: Header=BB6_3361 Depth=3
	s_mov_b32 s13, -1
	s_mov_b32 s30, exec_lo
                                        ; implicit-def: $sgpr16
	v_cmpx_eq_u16_e32 0x80, v91
; %bb.4756:                             ;   in Loop: Header=BB6_3361 Depth=3
	s_mov_b32 s16, 0x7f800001
	s_xor_b32 s13, exec_lo, -1
; %bb.4757:                             ;   in Loop: Header=BB6_3361 Depth=3
	s_or_b32 exec_lo, exec_lo, s30
	s_delay_alu instid0(SALU_CYCLE_1)
	s_and_b32 s13, s13, exec_lo
                                        ; implicit-def: $vgpr91
	s_or_saveexec_b32 s17, s17
	v_mov_b32_e32 v90, s16
	s_xor_b32 exec_lo, exec_lo, s17
	s_cbranch_execz .LBB6_4103
.LBB6_4758:                             ;   in Loop: Header=BB6_3361 Depth=3
	v_cmp_ne_u16_e32 vcc_lo, 0, v91
	v_mov_b32_e32 v90, 0
	s_and_not1_b32 s13, s13, exec_lo
	s_and_b32 s16, vcc_lo, exec_lo
	s_delay_alu instid0(SALU_CYCLE_1)
	s_or_b32 s13, s13, s16
	s_or_b32 exec_lo, exec_lo, s17
	s_and_saveexec_b32 s16, s13
	s_cbranch_execnz .LBB6_4104
	s_branch .LBB6_4105
.LBB6_4759:                             ;   in Loop: Header=BB6_3361 Depth=3
	s_mov_b32 s13, -1
	s_mov_b32 s30, exec_lo
                                        ; implicit-def: $sgpr16
	v_cmpx_eq_u16_e32 0x80, v90
; %bb.4760:                             ;   in Loop: Header=BB6_3361 Depth=3
	s_mov_b32 s16, 0x7f800001
	s_xor_b32 s13, exec_lo, -1
; %bb.4761:                             ;   in Loop: Header=BB6_3361 Depth=3
	s_or_b32 exec_lo, exec_lo, s30
	s_delay_alu instid0(SALU_CYCLE_1)
	s_and_b32 s13, s13, exec_lo
	s_or_saveexec_b32 s17, s17
	v_mov_b32_e32 v89, s16
	s_xor_b32 exec_lo, exec_lo, s17
	s_cbranch_execz .LBB6_4115
.LBB6_4762:                             ;   in Loop: Header=BB6_3361 Depth=3
	v_cmp_ne_u16_e32 vcc_lo, 0, v90
	v_mov_b32_e32 v89, 0
	s_and_not1_b32 s13, s13, exec_lo
	s_and_b32 s16, vcc_lo, exec_lo
	s_delay_alu instid0(SALU_CYCLE_1)
	s_or_b32 s13, s13, s16
	s_or_b32 exec_lo, exec_lo, s17
	s_and_saveexec_b32 s16, s13
	s_cbranch_execnz .LBB6_4116
	s_branch .LBB6_4117
.LBB6_4763:                             ;   in Loop: Header=BB6_3361 Depth=3
	s_mov_b32 s13, -1
	s_mov_b32 s30, exec_lo
                                        ; implicit-def: $sgpr16
	v_cmpx_eq_u16_e32 0x80, v23
; %bb.4764:                             ;   in Loop: Header=BB6_3361 Depth=3
	s_mov_b32 s16, 0x7f800001
	s_xor_b32 s13, exec_lo, -1
; %bb.4765:                             ;   in Loop: Header=BB6_3361 Depth=3
	s_or_b32 exec_lo, exec_lo, s30
	s_delay_alu instid0(SALU_CYCLE_1)
	s_and_b32 s13, s13, exec_lo
	s_or_saveexec_b32 s17, s17
	v_mov_b32_e32 v90, s16
	s_xor_b32 exec_lo, exec_lo, s17
	s_cbranch_execz .LBB6_4119
.LBB6_4766:                             ;   in Loop: Header=BB6_3361 Depth=3
	v_cmp_ne_u16_e32 vcc_lo, 0, v23
	v_mov_b32_e32 v90, 0
	s_and_not1_b32 s13, s13, exec_lo
	s_and_b32 s16, vcc_lo, exec_lo
	s_delay_alu instid0(SALU_CYCLE_1)
	s_or_b32 s13, s13, s16
	s_or_b32 exec_lo, exec_lo, s17
	s_and_saveexec_b32 s16, s13
	s_cbranch_execnz .LBB6_4120
	s_branch .LBB6_4121
.LBB6_4767:                             ;   in Loop: Header=BB6_3361 Depth=3
	s_mov_b32 s13, -1
	s_mov_b32 s30, exec_lo
                                        ; implicit-def: $sgpr16
	v_cmpx_eq_u16_e32 0x80, v89
; %bb.4768:                             ;   in Loop: Header=BB6_3361 Depth=3
	s_mov_b32 s16, 0x7f800001
	s_xor_b32 s13, exec_lo, -1
; %bb.4769:                             ;   in Loop: Header=BB6_3361 Depth=3
	s_or_b32 exec_lo, exec_lo, s30
	s_delay_alu instid0(SALU_CYCLE_1)
	s_and_b32 s13, s13, exec_lo
                                        ; implicit-def: $vgpr89
	s_or_saveexec_b32 s17, s17
	v_mov_b32_e32 v23, s16
	s_xor_b32 exec_lo, exec_lo, s17
	s_cbranch_execz .LBB6_4131
.LBB6_4770:                             ;   in Loop: Header=BB6_3361 Depth=3
	v_cmp_ne_u16_e32 vcc_lo, 0, v89
	v_mov_b32_e32 v23, 0
	s_and_not1_b32 s13, s13, exec_lo
	s_and_b32 s16, vcc_lo, exec_lo
	s_delay_alu instid0(SALU_CYCLE_1)
	s_or_b32 s13, s13, s16
	s_or_b32 exec_lo, exec_lo, s17
	s_and_saveexec_b32 s16, s13
	s_cbranch_execnz .LBB6_4132
	s_branch .LBB6_4133
.LBB6_4771:                             ;   in Loop: Header=BB6_3361 Depth=3
	s_mov_b32 s13, -1
	s_mov_b32 s30, exec_lo
                                        ; implicit-def: $sgpr16
	v_cmpx_eq_u16_e32 0x80, v90
; %bb.4772:                             ;   in Loop: Header=BB6_3361 Depth=3
	s_mov_b32 s16, 0x7f800001
	s_xor_b32 s13, exec_lo, -1
; %bb.4773:                             ;   in Loop: Header=BB6_3361 Depth=3
	s_or_b32 exec_lo, exec_lo, s30
	s_delay_alu instid0(SALU_CYCLE_1)
	s_and_b32 s13, s13, exec_lo
                                        ; implicit-def: $vgpr90
	s_or_saveexec_b32 s17, s17
	v_mov_b32_e32 v89, s16
	s_xor_b32 exec_lo, exec_lo, s17
	s_cbranch_execz .LBB6_4135
.LBB6_4774:                             ;   in Loop: Header=BB6_3361 Depth=3
	v_cmp_ne_u16_e32 vcc_lo, 0, v90
	v_mov_b32_e32 v89, 0
	s_and_not1_b32 s13, s13, exec_lo
	s_and_b32 s16, vcc_lo, exec_lo
	s_delay_alu instid0(SALU_CYCLE_1)
	s_or_b32 s13, s13, s16
	s_or_b32 exec_lo, exec_lo, s17
	s_and_saveexec_b32 s16, s13
	s_cbranch_execnz .LBB6_4136
	s_branch .LBB6_4137
.LBB6_4775:                             ;   in Loop: Header=BB6_3361 Depth=3
	s_mov_b32 s13, -1
	s_mov_b32 s30, exec_lo
                                        ; implicit-def: $sgpr16
	v_cmpx_eq_u16_e32 0x80, v90
; %bb.4776:                             ;   in Loop: Header=BB6_3361 Depth=3
	s_mov_b32 s16, 0x7f800001
	s_xor_b32 s13, exec_lo, -1
; %bb.4777:                             ;   in Loop: Header=BB6_3361 Depth=3
	s_or_b32 exec_lo, exec_lo, s30
	s_delay_alu instid0(SALU_CYCLE_1)
	s_and_b32 s13, s13, exec_lo
	s_or_saveexec_b32 s17, s17
	v_mov_b32_e32 v89, s16
	s_xor_b32 exec_lo, exec_lo, s17
	s_cbranch_execz .LBB6_4147
.LBB6_4778:                             ;   in Loop: Header=BB6_3361 Depth=3
	v_cmp_ne_u16_e32 vcc_lo, 0, v90
	v_mov_b32_e32 v89, 0
	s_and_not1_b32 s13, s13, exec_lo
	s_and_b32 s16, vcc_lo, exec_lo
	s_delay_alu instid0(SALU_CYCLE_1)
	s_or_b32 s13, s13, s16
	s_or_b32 exec_lo, exec_lo, s17
	s_and_saveexec_b32 s16, s13
	s_cbranch_execnz .LBB6_4148
	s_branch .LBB6_4149
.LBB6_4779:                             ;   in Loop: Header=BB6_3361 Depth=3
	s_mov_b32 s13, -1
	s_mov_b32 s30, exec_lo
                                        ; implicit-def: $sgpr16
	v_cmpx_eq_u16_e32 0x80, v90
; %bb.4780:                             ;   in Loop: Header=BB6_3361 Depth=3
	s_mov_b32 s16, 0x7f800001
	s_xor_b32 s13, exec_lo, -1
; %bb.4781:                             ;   in Loop: Header=BB6_3361 Depth=3
	s_or_b32 exec_lo, exec_lo, s30
	s_delay_alu instid0(SALU_CYCLE_1)
	s_and_b32 s13, s13, exec_lo
	s_or_saveexec_b32 s17, s17
	v_mov_b32_e32 v91, s16
	s_xor_b32 exec_lo, exec_lo, s17
	s_cbranch_execz .LBB6_4151
.LBB6_4782:                             ;   in Loop: Header=BB6_3361 Depth=3
	v_cmp_ne_u16_e32 vcc_lo, 0, v90
	v_mov_b32_e32 v91, 0
	s_and_not1_b32 s13, s13, exec_lo
	s_and_b32 s16, vcc_lo, exec_lo
	s_delay_alu instid0(SALU_CYCLE_1)
	s_or_b32 s13, s13, s16
	s_or_b32 exec_lo, exec_lo, s17
	s_and_saveexec_b32 s16, s13
	s_cbranch_execnz .LBB6_4152
	s_branch .LBB6_4153
.LBB6_4783:                             ;   in Loop: Header=BB6_3361 Depth=3
	s_mov_b32 s13, -1
	s_mov_b32 s30, exec_lo
                                        ; implicit-def: $sgpr16
	v_cmpx_eq_u16_e32 0x80, v92
; %bb.4784:                             ;   in Loop: Header=BB6_3361 Depth=3
	s_mov_b32 s16, 0x7f800001
	s_xor_b32 s13, exec_lo, -1
; %bb.4785:                             ;   in Loop: Header=BB6_3361 Depth=3
	s_or_b32 exec_lo, exec_lo, s30
	s_delay_alu instid0(SALU_CYCLE_1)
	s_and_b32 s13, s13, exec_lo
                                        ; implicit-def: $vgpr92
	s_or_saveexec_b32 s17, s17
	v_mov_b32_e32 v90, s16
	s_xor_b32 exec_lo, exec_lo, s17
	s_cbranch_execz .LBB6_4163
.LBB6_4786:                             ;   in Loop: Header=BB6_3361 Depth=3
	v_cmp_ne_u16_e32 vcc_lo, 0, v92
	v_mov_b32_e32 v90, 0
	s_and_not1_b32 s13, s13, exec_lo
	s_and_b32 s16, vcc_lo, exec_lo
	s_delay_alu instid0(SALU_CYCLE_1)
	s_or_b32 s13, s13, s16
	s_or_b32 exec_lo, exec_lo, s17
	s_and_saveexec_b32 s16, s13
	s_cbranch_execnz .LBB6_4164
	s_branch .LBB6_4165
.LBB6_4787:                             ;   in Loop: Header=BB6_3361 Depth=3
	s_mov_b32 s13, -1
	s_mov_b32 s30, exec_lo
                                        ; implicit-def: $sgpr16
	v_cmpx_eq_u16_e32 0x80, v93
; %bb.4788:                             ;   in Loop: Header=BB6_3361 Depth=3
	s_mov_b32 s16, 0x7f800001
	s_xor_b32 s13, exec_lo, -1
; %bb.4789:                             ;   in Loop: Header=BB6_3361 Depth=3
	s_or_b32 exec_lo, exec_lo, s30
	s_delay_alu instid0(SALU_CYCLE_1)
	s_and_b32 s13, s13, exec_lo
                                        ; implicit-def: $vgpr93
	s_or_saveexec_b32 s17, s17
	v_mov_b32_e32 v92, s16
	s_xor_b32 exec_lo, exec_lo, s17
	s_cbranch_execz .LBB6_4167
.LBB6_4790:                             ;   in Loop: Header=BB6_3361 Depth=3
	v_cmp_ne_u16_e32 vcc_lo, 0, v93
	v_mov_b32_e32 v92, 0
	s_and_not1_b32 s13, s13, exec_lo
	s_and_b32 s16, vcc_lo, exec_lo
	s_delay_alu instid0(SALU_CYCLE_1)
	s_or_b32 s13, s13, s16
	s_or_b32 exec_lo, exec_lo, s17
	s_and_saveexec_b32 s16, s13
	s_cbranch_execnz .LBB6_4168
	s_branch .LBB6_4169
.LBB6_4791:                             ;   in Loop: Header=BB6_3361 Depth=3
	s_mov_b32 s13, -1
	s_mov_b32 s30, exec_lo
                                        ; implicit-def: $sgpr16
	v_cmpx_eq_u16_e32 0x80, v92
; %bb.4792:                             ;   in Loop: Header=BB6_3361 Depth=3
	s_mov_b32 s16, 0x7f800001
	s_xor_b32 s13, exec_lo, -1
; %bb.4793:                             ;   in Loop: Header=BB6_3361 Depth=3
	s_or_b32 exec_lo, exec_lo, s30
	s_delay_alu instid0(SALU_CYCLE_1)
	s_and_b32 s13, s13, exec_lo
	s_or_saveexec_b32 s17, s17
	v_mov_b32_e32 v91, s16
	s_xor_b32 exec_lo, exec_lo, s17
	s_cbranch_execz .LBB6_4179
.LBB6_4794:                             ;   in Loop: Header=BB6_3361 Depth=3
	v_cmp_ne_u16_e32 vcc_lo, 0, v92
	v_mov_b32_e32 v91, 0
	s_and_not1_b32 s13, s13, exec_lo
	s_and_b32 s16, vcc_lo, exec_lo
	s_delay_alu instid0(SALU_CYCLE_1)
	s_or_b32 s13, s13, s16
	s_or_b32 exec_lo, exec_lo, s17
	s_and_saveexec_b32 s16, s13
	s_cbranch_execnz .LBB6_4180
	s_branch .LBB6_4181
.LBB6_4795:                             ;   in Loop: Header=BB6_3361 Depth=3
	s_mov_b32 s13, -1
	s_mov_b32 s30, exec_lo
                                        ; implicit-def: $sgpr16
	v_cmpx_eq_u16_e32 0x80, v12
; %bb.4796:                             ;   in Loop: Header=BB6_3361 Depth=3
	s_mov_b32 s16, 0x7f800001
	s_xor_b32 s13, exec_lo, -1
; %bb.4797:                             ;   in Loop: Header=BB6_3361 Depth=3
	s_or_b32 exec_lo, exec_lo, s30
	s_delay_alu instid0(SALU_CYCLE_1)
	s_and_b32 s13, s13, exec_lo
	s_or_saveexec_b32 s17, s17
	v_mov_b32_e32 v92, s16
	s_xor_b32 exec_lo, exec_lo, s17
	s_cbranch_execz .LBB6_4183
.LBB6_4798:                             ;   in Loop: Header=BB6_3361 Depth=3
	v_cmp_ne_u16_e32 vcc_lo, 0, v12
	v_mov_b32_e32 v92, 0
	s_and_not1_b32 s13, s13, exec_lo
	s_and_b32 s16, vcc_lo, exec_lo
	s_delay_alu instid0(SALU_CYCLE_1)
	s_or_b32 s13, s13, s16
	s_or_b32 exec_lo, exec_lo, s17
	s_and_saveexec_b32 s16, s13
	s_cbranch_execnz .LBB6_4184
	s_branch .LBB6_4185
.LBB6_4799:                             ;   in Loop: Header=BB6_3361 Depth=3
	s_mov_b32 s13, -1
	s_mov_b32 s30, exec_lo
                                        ; implicit-def: $sgpr16
	v_cmpx_eq_u16_e32 0x80, v91
; %bb.4800:                             ;   in Loop: Header=BB6_3361 Depth=3
	s_mov_b32 s16, 0x7f800001
	s_xor_b32 s13, exec_lo, -1
; %bb.4801:                             ;   in Loop: Header=BB6_3361 Depth=3
	s_or_b32 exec_lo, exec_lo, s30
	s_delay_alu instid0(SALU_CYCLE_1)
	s_and_b32 s13, s13, exec_lo
                                        ; implicit-def: $vgpr91
	s_or_saveexec_b32 s17, s17
	v_mov_b32_e32 v12, s16
	s_xor_b32 exec_lo, exec_lo, s17
	s_cbranch_execz .LBB6_4195
.LBB6_4802:                             ;   in Loop: Header=BB6_3361 Depth=3
	v_cmp_ne_u16_e32 vcc_lo, 0, v91
	v_mov_b32_e32 v12, 0
	s_and_not1_b32 s13, s13, exec_lo
	s_and_b32 s16, vcc_lo, exec_lo
	s_delay_alu instid0(SALU_CYCLE_1)
	s_or_b32 s13, s13, s16
	s_or_b32 exec_lo, exec_lo, s17
	s_and_saveexec_b32 s16, s13
	s_cbranch_execnz .LBB6_4196
	s_branch .LBB6_4197
.LBB6_4803:                             ;   in Loop: Header=BB6_3361 Depth=3
	s_mov_b32 s13, -1
	s_mov_b32 s30, exec_lo
                                        ; implicit-def: $sgpr16
	v_cmpx_eq_u16_e32 0x80, v92
; %bb.4804:                             ;   in Loop: Header=BB6_3361 Depth=3
	s_mov_b32 s16, 0x7f800001
	s_xor_b32 s13, exec_lo, -1
; %bb.4805:                             ;   in Loop: Header=BB6_3361 Depth=3
	s_or_b32 exec_lo, exec_lo, s30
	s_delay_alu instid0(SALU_CYCLE_1)
	s_and_b32 s13, s13, exec_lo
                                        ; implicit-def: $vgpr92
	s_or_saveexec_b32 s17, s17
	v_mov_b32_e32 v91, s16
	s_xor_b32 exec_lo, exec_lo, s17
	s_cbranch_execz .LBB6_4199
.LBB6_4806:                             ;   in Loop: Header=BB6_3361 Depth=3
	v_cmp_ne_u16_e32 vcc_lo, 0, v92
	v_mov_b32_e32 v91, 0
	s_and_not1_b32 s13, s13, exec_lo
	s_and_b32 s16, vcc_lo, exec_lo
	s_delay_alu instid0(SALU_CYCLE_1)
	s_or_b32 s13, s13, s16
	s_or_b32 exec_lo, exec_lo, s17
	s_and_saveexec_b32 s16, s13
	s_cbranch_execnz .LBB6_4200
	s_branch .LBB6_4201
.LBB6_4807:                             ;   in Loop: Header=BB6_3361 Depth=3
	s_mov_b32 s13, -1
	s_mov_b32 s30, exec_lo
                                        ; implicit-def: $sgpr16
	v_cmpx_eq_u16_e32 0x80, v92
; %bb.4808:                             ;   in Loop: Header=BB6_3361 Depth=3
	s_mov_b32 s16, 0x7f800001
	s_xor_b32 s13, exec_lo, -1
; %bb.4809:                             ;   in Loop: Header=BB6_3361 Depth=3
	s_or_b32 exec_lo, exec_lo, s30
	s_delay_alu instid0(SALU_CYCLE_1)
	s_and_b32 s13, s13, exec_lo
	s_or_saveexec_b32 s17, s17
	v_mov_b32_e32 v91, s16
	s_xor_b32 exec_lo, exec_lo, s17
	s_cbranch_execz .LBB6_4211
.LBB6_4810:                             ;   in Loop: Header=BB6_3361 Depth=3
	v_cmp_ne_u16_e32 vcc_lo, 0, v92
	v_mov_b32_e32 v91, 0
	s_and_not1_b32 s13, s13, exec_lo
	s_and_b32 s16, vcc_lo, exec_lo
	s_delay_alu instid0(SALU_CYCLE_1)
	s_or_b32 s13, s13, s16
	s_or_b32 exec_lo, exec_lo, s17
	s_and_saveexec_b32 s16, s13
	s_cbranch_execnz .LBB6_4212
	s_branch .LBB6_4213
.LBB6_4811:                             ;   in Loop: Header=BB6_3361 Depth=3
	s_mov_b32 s13, -1
	s_mov_b32 s30, exec_lo
                                        ; implicit-def: $sgpr16
	v_cmpx_eq_u16_e32 0x80, v92
; %bb.4812:                             ;   in Loop: Header=BB6_3361 Depth=3
	s_mov_b32 s16, 0x7f800001
	s_xor_b32 s13, exec_lo, -1
; %bb.4813:                             ;   in Loop: Header=BB6_3361 Depth=3
	s_or_b32 exec_lo, exec_lo, s30
	s_delay_alu instid0(SALU_CYCLE_1)
	s_and_b32 s13, s13, exec_lo
	s_or_saveexec_b32 s17, s17
	v_mov_b32_e32 v93, s16
	s_xor_b32 exec_lo, exec_lo, s17
	s_cbranch_execz .LBB6_4215
.LBB6_4814:                             ;   in Loop: Header=BB6_3361 Depth=3
	v_cmp_ne_u16_e32 vcc_lo, 0, v92
	v_mov_b32_e32 v93, 0
	s_and_not1_b32 s13, s13, exec_lo
	s_and_b32 s16, vcc_lo, exec_lo
	s_delay_alu instid0(SALU_CYCLE_1)
	s_or_b32 s13, s13, s16
	s_or_b32 exec_lo, exec_lo, s17
	s_and_saveexec_b32 s16, s13
	s_cbranch_execnz .LBB6_4216
	s_branch .LBB6_4217
.LBB6_4815:                             ;   in Loop: Header=BB6_3361 Depth=3
	s_mov_b32 s13, -1
	s_mov_b32 s30, exec_lo
                                        ; implicit-def: $sgpr16
	v_cmpx_eq_u16_e32 0x80, v94
; %bb.4816:                             ;   in Loop: Header=BB6_3361 Depth=3
	s_mov_b32 s16, 0x7f800001
	s_xor_b32 s13, exec_lo, -1
; %bb.4817:                             ;   in Loop: Header=BB6_3361 Depth=3
	s_or_b32 exec_lo, exec_lo, s30
	s_delay_alu instid0(SALU_CYCLE_1)
	s_and_b32 s13, s13, exec_lo
                                        ; implicit-def: $vgpr94
	s_or_saveexec_b32 s17, s17
	v_mov_b32_e32 v92, s16
	s_xor_b32 exec_lo, exec_lo, s17
	s_cbranch_execz .LBB6_4227
.LBB6_4818:                             ;   in Loop: Header=BB6_3361 Depth=3
	v_cmp_ne_u16_e32 vcc_lo, 0, v94
	v_mov_b32_e32 v92, 0
	s_and_not1_b32 s13, s13, exec_lo
	s_and_b32 s16, vcc_lo, exec_lo
	s_delay_alu instid0(SALU_CYCLE_1)
	s_or_b32 s13, s13, s16
	s_or_b32 exec_lo, exec_lo, s17
	s_and_saveexec_b32 s16, s13
	s_cbranch_execnz .LBB6_4228
	s_branch .LBB6_4229
.LBB6_4819:                             ;   in Loop: Header=BB6_3361 Depth=3
	s_mov_b32 s13, -1
	s_mov_b32 s30, exec_lo
                                        ; implicit-def: $sgpr16
	v_cmpx_eq_u16_e32 0x80, v95
; %bb.4820:                             ;   in Loop: Header=BB6_3361 Depth=3
	s_mov_b32 s16, 0x7f800001
	s_xor_b32 s13, exec_lo, -1
; %bb.4821:                             ;   in Loop: Header=BB6_3361 Depth=3
	s_or_b32 exec_lo, exec_lo, s30
	s_delay_alu instid0(SALU_CYCLE_1)
	s_and_b32 s13, s13, exec_lo
                                        ; implicit-def: $vgpr95
	s_or_saveexec_b32 s17, s17
	v_mov_b32_e32 v94, s16
	s_xor_b32 exec_lo, exec_lo, s17
	s_cbranch_execz .LBB6_4231
.LBB6_4822:                             ;   in Loop: Header=BB6_3361 Depth=3
	v_cmp_ne_u16_e32 vcc_lo, 0, v95
	v_mov_b32_e32 v94, 0
	s_and_not1_b32 s13, s13, exec_lo
	s_and_b32 s16, vcc_lo, exec_lo
	s_delay_alu instid0(SALU_CYCLE_1)
	s_or_b32 s13, s13, s16
	s_or_b32 exec_lo, exec_lo, s17
	s_and_saveexec_b32 s16, s13
	s_cbranch_execnz .LBB6_4232
	s_branch .LBB6_4233
.LBB6_4823:                             ;   in Loop: Header=BB6_3361 Depth=3
	s_mov_b32 s13, -1
	s_mov_b32 s30, exec_lo
                                        ; implicit-def: $sgpr16
	v_cmpx_eq_u16_e32 0x80, v94
; %bb.4824:                             ;   in Loop: Header=BB6_3361 Depth=3
	s_mov_b32 s16, 0x7f800001
	s_xor_b32 s13, exec_lo, -1
; %bb.4825:                             ;   in Loop: Header=BB6_3361 Depth=3
	s_or_b32 exec_lo, exec_lo, s30
	s_delay_alu instid0(SALU_CYCLE_1)
	s_and_b32 s13, s13, exec_lo
	s_or_saveexec_b32 s17, s17
	v_mov_b32_e32 v93, s16
	s_xor_b32 exec_lo, exec_lo, s17
	s_cbranch_execz .LBB6_4243
.LBB6_4826:                             ;   in Loop: Header=BB6_3361 Depth=3
	v_cmp_ne_u16_e32 vcc_lo, 0, v94
	v_mov_b32_e32 v93, 0
	s_and_not1_b32 s13, s13, exec_lo
	s_and_b32 s16, vcc_lo, exec_lo
	s_delay_alu instid0(SALU_CYCLE_1)
	s_or_b32 s13, s13, s16
	s_or_b32 exec_lo, exec_lo, s17
	s_and_saveexec_b32 s16, s13
	s_cbranch_execnz .LBB6_4244
	s_branch .LBB6_4245
.LBB6_4827:                             ;   in Loop: Header=BB6_3361 Depth=3
	s_mov_b32 s13, -1
	s_mov_b32 s30, exec_lo
                                        ; implicit-def: $sgpr16
	v_cmpx_eq_u16_e32 0x80, v13
; %bb.4828:                             ;   in Loop: Header=BB6_3361 Depth=3
	s_mov_b32 s16, 0x7f800001
	s_xor_b32 s13, exec_lo, -1
; %bb.4829:                             ;   in Loop: Header=BB6_3361 Depth=3
	s_or_b32 exec_lo, exec_lo, s30
	s_delay_alu instid0(SALU_CYCLE_1)
	s_and_b32 s13, s13, exec_lo
	s_or_saveexec_b32 s17, s17
	v_mov_b32_e32 v94, s16
	s_xor_b32 exec_lo, exec_lo, s17
	s_cbranch_execz .LBB6_4247
.LBB6_4830:                             ;   in Loop: Header=BB6_3361 Depth=3
	v_cmp_ne_u16_e32 vcc_lo, 0, v13
	v_mov_b32_e32 v94, 0
	s_and_not1_b32 s13, s13, exec_lo
	s_and_b32 s16, vcc_lo, exec_lo
	s_delay_alu instid0(SALU_CYCLE_1)
	s_or_b32 s13, s13, s16
	s_or_b32 exec_lo, exec_lo, s17
	s_and_saveexec_b32 s16, s13
	s_cbranch_execnz .LBB6_4248
	s_branch .LBB6_4249
.LBB6_4831:                             ;   in Loop: Header=BB6_3361 Depth=3
	s_mov_b32 s13, -1
	s_mov_b32 s30, exec_lo
                                        ; implicit-def: $sgpr16
	v_cmpx_eq_u16_e32 0x80, v93
; %bb.4832:                             ;   in Loop: Header=BB6_3361 Depth=3
	s_mov_b32 s16, 0x7f800001
	s_xor_b32 s13, exec_lo, -1
; %bb.4833:                             ;   in Loop: Header=BB6_3361 Depth=3
	s_or_b32 exec_lo, exec_lo, s30
	s_delay_alu instid0(SALU_CYCLE_1)
	s_and_b32 s13, s13, exec_lo
                                        ; implicit-def: $vgpr93
	s_or_saveexec_b32 s17, s17
	v_mov_b32_e32 v13, s16
	s_xor_b32 exec_lo, exec_lo, s17
	s_cbranch_execz .LBB6_4259
.LBB6_4834:                             ;   in Loop: Header=BB6_3361 Depth=3
	v_cmp_ne_u16_e32 vcc_lo, 0, v93
	v_mov_b32_e32 v13, 0
	s_and_not1_b32 s13, s13, exec_lo
	s_and_b32 s16, vcc_lo, exec_lo
	s_delay_alu instid0(SALU_CYCLE_1)
	s_or_b32 s13, s13, s16
	s_or_b32 exec_lo, exec_lo, s17
	s_and_saveexec_b32 s16, s13
	s_cbranch_execnz .LBB6_4260
	s_branch .LBB6_4261
.LBB6_4835:                             ;   in Loop: Header=BB6_3361 Depth=3
	s_mov_b32 s13, -1
	s_mov_b32 s30, exec_lo
                                        ; implicit-def: $sgpr16
	v_cmpx_eq_u16_e32 0x80, v94
; %bb.4836:                             ;   in Loop: Header=BB6_3361 Depth=3
	s_mov_b32 s16, 0x7f800001
	s_xor_b32 s13, exec_lo, -1
; %bb.4837:                             ;   in Loop: Header=BB6_3361 Depth=3
	s_or_b32 exec_lo, exec_lo, s30
	s_delay_alu instid0(SALU_CYCLE_1)
	s_and_b32 s13, s13, exec_lo
                                        ; implicit-def: $vgpr94
	s_or_saveexec_b32 s17, s17
	v_mov_b32_e32 v93, s16
	s_xor_b32 exec_lo, exec_lo, s17
	s_cbranch_execz .LBB6_4263
.LBB6_4838:                             ;   in Loop: Header=BB6_3361 Depth=3
	v_cmp_ne_u16_e32 vcc_lo, 0, v94
	v_mov_b32_e32 v93, 0
	s_and_not1_b32 s13, s13, exec_lo
	s_and_b32 s16, vcc_lo, exec_lo
	s_delay_alu instid0(SALU_CYCLE_1)
	s_or_b32 s13, s13, s16
	s_or_b32 exec_lo, exec_lo, s17
	s_and_saveexec_b32 s16, s13
	s_cbranch_execnz .LBB6_4264
	s_branch .LBB6_4265
.LBB6_4839:                             ;   in Loop: Header=BB6_3361 Depth=3
	s_mov_b32 s13, -1
	s_mov_b32 s30, exec_lo
                                        ; implicit-def: $sgpr16
	v_cmpx_eq_u16_e32 0x80, v94
; %bb.4840:                             ;   in Loop: Header=BB6_3361 Depth=3
	s_mov_b32 s16, 0x7f800001
	s_xor_b32 s13, exec_lo, -1
; %bb.4841:                             ;   in Loop: Header=BB6_3361 Depth=3
	s_or_b32 exec_lo, exec_lo, s30
	s_delay_alu instid0(SALU_CYCLE_1)
	s_and_b32 s13, s13, exec_lo
	s_or_saveexec_b32 s17, s17
	v_mov_b32_e32 v93, s16
	s_xor_b32 exec_lo, exec_lo, s17
	s_cbranch_execz .LBB6_4275
.LBB6_4842:                             ;   in Loop: Header=BB6_3361 Depth=3
	v_cmp_ne_u16_e32 vcc_lo, 0, v94
	v_mov_b32_e32 v93, 0
	s_and_not1_b32 s13, s13, exec_lo
	s_and_b32 s16, vcc_lo, exec_lo
	s_delay_alu instid0(SALU_CYCLE_1)
	s_or_b32 s13, s13, s16
	s_or_b32 exec_lo, exec_lo, s17
	s_and_saveexec_b32 s16, s13
	s_cbranch_execnz .LBB6_4276
	s_branch .LBB6_4277
.LBB6_4843:                             ;   in Loop: Header=BB6_3361 Depth=3
	s_mov_b32 s13, -1
	s_mov_b32 s30, exec_lo
                                        ; implicit-def: $sgpr16
	v_cmpx_eq_u16_e32 0x80, v94
; %bb.4844:                             ;   in Loop: Header=BB6_3361 Depth=3
	s_mov_b32 s16, 0x7f800001
	s_xor_b32 s13, exec_lo, -1
; %bb.4845:                             ;   in Loop: Header=BB6_3361 Depth=3
	s_or_b32 exec_lo, exec_lo, s30
	s_delay_alu instid0(SALU_CYCLE_1)
	s_and_b32 s13, s13, exec_lo
	s_or_saveexec_b32 s17, s17
	v_mov_b32_e32 v95, s16
	s_xor_b32 exec_lo, exec_lo, s17
	s_cbranch_execz .LBB6_4279
.LBB6_4846:                             ;   in Loop: Header=BB6_3361 Depth=3
	v_cmp_ne_u16_e32 vcc_lo, 0, v94
	v_mov_b32_e32 v95, 0
	s_and_not1_b32 s13, s13, exec_lo
	s_and_b32 s16, vcc_lo, exec_lo
	s_delay_alu instid0(SALU_CYCLE_1)
	s_or_b32 s13, s13, s16
	s_or_b32 exec_lo, exec_lo, s17
	s_and_saveexec_b32 s16, s13
	s_cbranch_execnz .LBB6_4280
	s_branch .LBB6_4281
.LBB6_4847:                             ;   in Loop: Header=BB6_3361 Depth=3
	s_mov_b32 s13, -1
	s_mov_b32 s30, exec_lo
                                        ; implicit-def: $sgpr16
	v_cmpx_eq_u16_e32 0x80, v104
; %bb.4848:                             ;   in Loop: Header=BB6_3361 Depth=3
	s_mov_b32 s16, 0x7f800001
	s_xor_b32 s13, exec_lo, -1
; %bb.4849:                             ;   in Loop: Header=BB6_3361 Depth=3
	s_or_b32 exec_lo, exec_lo, s30
	s_delay_alu instid0(SALU_CYCLE_1)
	s_and_b32 s13, s13, exec_lo
                                        ; implicit-def: $vgpr104
	s_or_saveexec_b32 s17, s17
	v_mov_b32_e32 v94, s16
	s_xor_b32 exec_lo, exec_lo, s17
	s_cbranch_execz .LBB6_4291
.LBB6_4850:                             ;   in Loop: Header=BB6_3361 Depth=3
	v_cmp_ne_u16_e32 vcc_lo, 0, v104
	v_mov_b32_e32 v94, 0
	s_and_not1_b32 s13, s13, exec_lo
	s_and_b32 s16, vcc_lo, exec_lo
	s_delay_alu instid0(SALU_CYCLE_1)
	s_or_b32 s13, s13, s16
	s_or_b32 exec_lo, exec_lo, s17
	s_and_saveexec_b32 s16, s13
	s_cbranch_execnz .LBB6_4292
	s_branch .LBB6_4293
.LBB6_4851:                             ;   in Loop: Header=BB6_3361 Depth=3
	s_mov_b32 s13, -1
	s_mov_b32 s30, exec_lo
                                        ; implicit-def: $sgpr16
	v_cmpx_eq_u16_e32 0x80, v105
; %bb.4852:                             ;   in Loop: Header=BB6_3361 Depth=3
	s_mov_b32 s16, 0x7f800001
	s_xor_b32 s13, exec_lo, -1
; %bb.4853:                             ;   in Loop: Header=BB6_3361 Depth=3
	s_or_b32 exec_lo, exec_lo, s30
	s_delay_alu instid0(SALU_CYCLE_1)
	s_and_b32 s13, s13, exec_lo
                                        ; implicit-def: $vgpr105
	s_or_saveexec_b32 s17, s17
	v_mov_b32_e32 v104, s16
	s_xor_b32 exec_lo, exec_lo, s17
	s_cbranch_execz .LBB6_4295
.LBB6_4854:                             ;   in Loop: Header=BB6_3361 Depth=3
	v_cmp_ne_u16_e32 vcc_lo, 0, v105
	v_mov_b32_e32 v104, 0
	s_and_not1_b32 s13, s13, exec_lo
	s_and_b32 s16, vcc_lo, exec_lo
	s_delay_alu instid0(SALU_CYCLE_1)
	s_or_b32 s13, s13, s16
	s_or_b32 exec_lo, exec_lo, s17
	s_and_saveexec_b32 s16, s13
	s_cbranch_execnz .LBB6_4296
	s_branch .LBB6_4297
.LBB6_4855:                             ;   in Loop: Header=BB6_3361 Depth=3
	s_mov_b32 s13, -1
	s_mov_b32 s30, exec_lo
                                        ; implicit-def: $sgpr16
	v_cmpx_eq_u16_e32 0x80, v104
; %bb.4856:                             ;   in Loop: Header=BB6_3361 Depth=3
	s_mov_b32 s16, 0x7f800001
	s_xor_b32 s13, exec_lo, -1
; %bb.4857:                             ;   in Loop: Header=BB6_3361 Depth=3
	s_or_b32 exec_lo, exec_lo, s30
	s_delay_alu instid0(SALU_CYCLE_1)
	s_and_b32 s13, s13, exec_lo
	s_or_saveexec_b32 s17, s17
	v_mov_b32_e32 v95, s16
	s_xor_b32 exec_lo, exec_lo, s17
	s_cbranch_execz .LBB6_4307
.LBB6_4858:                             ;   in Loop: Header=BB6_3361 Depth=3
	v_cmp_ne_u16_e32 vcc_lo, 0, v104
	v_mov_b32_e32 v95, 0
	s_and_not1_b32 s13, s13, exec_lo
	s_and_b32 s16, vcc_lo, exec_lo
	s_delay_alu instid0(SALU_CYCLE_1)
	s_or_b32 s13, s13, s16
	s_or_b32 exec_lo, exec_lo, s17
	s_and_saveexec_b32 s16, s13
	s_cbranch_execnz .LBB6_4308
	s_branch .LBB6_4309
.LBB6_4859:                             ;   in Loop: Header=BB6_3361 Depth=3
	s_mov_b32 s13, -1
	s_mov_b32 s30, exec_lo
                                        ; implicit-def: $sgpr16
	v_cmpx_eq_u16_e32 0x80, v14
; %bb.4860:                             ;   in Loop: Header=BB6_3361 Depth=3
	s_mov_b32 s16, 0x7f800001
	s_xor_b32 s13, exec_lo, -1
; %bb.4861:                             ;   in Loop: Header=BB6_3361 Depth=3
	s_or_b32 exec_lo, exec_lo, s30
	s_delay_alu instid0(SALU_CYCLE_1)
	s_and_b32 s13, s13, exec_lo
	s_or_saveexec_b32 s17, s17
	v_mov_b32_e32 v104, s16
	s_xor_b32 exec_lo, exec_lo, s17
	s_cbranch_execz .LBB6_4311
.LBB6_4862:                             ;   in Loop: Header=BB6_3361 Depth=3
	v_cmp_ne_u16_e32 vcc_lo, 0, v14
	v_mov_b32_e32 v104, 0
	s_and_not1_b32 s13, s13, exec_lo
	s_and_b32 s16, vcc_lo, exec_lo
	s_delay_alu instid0(SALU_CYCLE_1)
	s_or_b32 s13, s13, s16
	s_or_b32 exec_lo, exec_lo, s17
	s_and_saveexec_b32 s16, s13
	s_cbranch_execnz .LBB6_4312
	s_branch .LBB6_4313
.LBB6_4863:                             ;   in Loop: Header=BB6_3361 Depth=3
	s_mov_b32 s13, -1
	s_mov_b32 s30, exec_lo
                                        ; implicit-def: $sgpr16
	v_cmpx_eq_u16_e32 0x80, v95
; %bb.4864:                             ;   in Loop: Header=BB6_3361 Depth=3
	s_mov_b32 s16, 0x7f800001
	s_xor_b32 s13, exec_lo, -1
; %bb.4865:                             ;   in Loop: Header=BB6_3361 Depth=3
	s_or_b32 exec_lo, exec_lo, s30
	s_delay_alu instid0(SALU_CYCLE_1)
	s_and_b32 s13, s13, exec_lo
                                        ; implicit-def: $vgpr95
	s_or_saveexec_b32 s17, s17
	v_mov_b32_e32 v14, s16
	s_xor_b32 exec_lo, exec_lo, s17
	s_cbranch_execz .LBB6_4323
.LBB6_4866:                             ;   in Loop: Header=BB6_3361 Depth=3
	v_cmp_ne_u16_e32 vcc_lo, 0, v95
	v_mov_b32_e32 v14, 0
	s_and_not1_b32 s13, s13, exec_lo
	s_and_b32 s16, vcc_lo, exec_lo
	s_delay_alu instid0(SALU_CYCLE_1)
	s_or_b32 s13, s13, s16
	s_or_b32 exec_lo, exec_lo, s17
	s_and_saveexec_b32 s16, s13
	s_cbranch_execnz .LBB6_4324
	s_branch .LBB6_4325
.LBB6_4867:                             ;   in Loop: Header=BB6_3361 Depth=3
	s_mov_b32 s13, -1
	s_mov_b32 s30, exec_lo
                                        ; implicit-def: $sgpr16
	v_cmpx_eq_u16_e32 0x80, v104
; %bb.4868:                             ;   in Loop: Header=BB6_3361 Depth=3
	s_mov_b32 s16, 0x7f800001
	s_xor_b32 s13, exec_lo, -1
; %bb.4869:                             ;   in Loop: Header=BB6_3361 Depth=3
	s_or_b32 exec_lo, exec_lo, s30
	s_delay_alu instid0(SALU_CYCLE_1)
	s_and_b32 s13, s13, exec_lo
                                        ; implicit-def: $vgpr104
	s_or_saveexec_b32 s17, s17
	v_mov_b32_e32 v95, s16
	s_xor_b32 exec_lo, exec_lo, s17
	s_cbranch_execz .LBB6_4327
.LBB6_4870:                             ;   in Loop: Header=BB6_3361 Depth=3
	v_cmp_ne_u16_e32 vcc_lo, 0, v104
	v_mov_b32_e32 v95, 0
	s_and_not1_b32 s13, s13, exec_lo
	s_and_b32 s16, vcc_lo, exec_lo
	s_delay_alu instid0(SALU_CYCLE_1)
	s_or_b32 s13, s13, s16
	s_or_b32 exec_lo, exec_lo, s17
	s_and_saveexec_b32 s16, s13
	s_cbranch_execnz .LBB6_4328
	s_branch .LBB6_4329
.LBB6_4871:                             ;   in Loop: Header=BB6_3361 Depth=3
	s_mov_b32 s13, -1
	s_mov_b32 s30, exec_lo
                                        ; implicit-def: $sgpr16
	v_cmpx_eq_u16_e32 0x80, v104
; %bb.4872:                             ;   in Loop: Header=BB6_3361 Depth=3
	s_mov_b32 s16, 0x7f800001
	s_xor_b32 s13, exec_lo, -1
; %bb.4873:                             ;   in Loop: Header=BB6_3361 Depth=3
	s_or_b32 exec_lo, exec_lo, s30
	s_delay_alu instid0(SALU_CYCLE_1)
	s_and_b32 s13, s13, exec_lo
	s_or_saveexec_b32 s17, s17
	v_mov_b32_e32 v95, s16
	s_xor_b32 exec_lo, exec_lo, s17
	s_cbranch_execz .LBB6_4339
.LBB6_4874:                             ;   in Loop: Header=BB6_3361 Depth=3
	v_cmp_ne_u16_e32 vcc_lo, 0, v104
	v_mov_b32_e32 v95, 0
	s_and_not1_b32 s13, s13, exec_lo
	s_and_b32 s16, vcc_lo, exec_lo
	s_delay_alu instid0(SALU_CYCLE_1)
	s_or_b32 s13, s13, s16
	s_or_b32 exec_lo, exec_lo, s17
	s_and_saveexec_b32 s16, s13
	s_cbranch_execnz .LBB6_4340
	s_branch .LBB6_4341
.LBB6_4875:                             ;   in Loop: Header=BB6_3361 Depth=3
	s_mov_b32 s13, -1
	s_mov_b32 s30, exec_lo
                                        ; implicit-def: $sgpr16
	v_cmpx_eq_u16_e32 0x80, v104
; %bb.4876:                             ;   in Loop: Header=BB6_3361 Depth=3
	s_mov_b32 s16, 0x7f800001
	s_xor_b32 s13, exec_lo, -1
; %bb.4877:                             ;   in Loop: Header=BB6_3361 Depth=3
	s_or_b32 exec_lo, exec_lo, s30
	s_delay_alu instid0(SALU_CYCLE_1)
	s_and_b32 s13, s13, exec_lo
	s_or_saveexec_b32 s17, s17
	v_mov_b32_e32 v105, s16
	s_xor_b32 exec_lo, exec_lo, s17
	s_cbranch_execz .LBB6_4343
.LBB6_4878:                             ;   in Loop: Header=BB6_3361 Depth=3
	v_cmp_ne_u16_e32 vcc_lo, 0, v104
	v_mov_b32_e32 v105, 0
	s_and_not1_b32 s13, s13, exec_lo
	s_and_b32 s16, vcc_lo, exec_lo
	s_delay_alu instid0(SALU_CYCLE_1)
	s_or_b32 s13, s13, s16
	s_or_b32 exec_lo, exec_lo, s17
	s_and_saveexec_b32 s16, s13
	s_cbranch_execnz .LBB6_4344
	s_branch .LBB6_4345
.LBB6_4879:                             ;   in Loop: Header=BB6_3361 Depth=3
	s_mov_b32 s13, -1
	s_mov_b32 s30, exec_lo
                                        ; implicit-def: $sgpr16
	v_cmpx_eq_u16_e32 0x80, v106
; %bb.4880:                             ;   in Loop: Header=BB6_3361 Depth=3
	s_mov_b32 s16, 0x7f800001
	s_xor_b32 s13, exec_lo, -1
; %bb.4881:                             ;   in Loop: Header=BB6_3361 Depth=3
	s_or_b32 exec_lo, exec_lo, s30
	s_delay_alu instid0(SALU_CYCLE_1)
	s_and_b32 s13, s13, exec_lo
                                        ; implicit-def: $vgpr106
	s_or_saveexec_b32 s17, s17
	v_mov_b32_e32 v104, s16
	s_xor_b32 exec_lo, exec_lo, s17
	s_cbranch_execz .LBB6_4355
.LBB6_4882:                             ;   in Loop: Header=BB6_3361 Depth=3
	v_cmp_ne_u16_e32 vcc_lo, 0, v106
	v_mov_b32_e32 v104, 0
	s_and_not1_b32 s13, s13, exec_lo
	s_and_b32 s16, vcc_lo, exec_lo
	s_delay_alu instid0(SALU_CYCLE_1)
	s_or_b32 s13, s13, s16
	s_or_b32 exec_lo, exec_lo, s17
	s_and_saveexec_b32 s16, s13
	s_cbranch_execnz .LBB6_4356
	s_branch .LBB6_4357
.LBB6_4883:                             ;   in Loop: Header=BB6_3361 Depth=3
	s_mov_b32 s13, -1
	s_mov_b32 s30, exec_lo
                                        ; implicit-def: $sgpr16
	v_cmpx_eq_u16_e32 0x80, v107
; %bb.4884:                             ;   in Loop: Header=BB6_3361 Depth=3
	s_mov_b32 s16, 0x7f800001
	s_xor_b32 s13, exec_lo, -1
; %bb.4885:                             ;   in Loop: Header=BB6_3361 Depth=3
	s_or_b32 exec_lo, exec_lo, s30
	s_delay_alu instid0(SALU_CYCLE_1)
	s_and_b32 s13, s13, exec_lo
                                        ; implicit-def: $vgpr107
	s_or_saveexec_b32 s17, s17
	v_mov_b32_e32 v106, s16
	s_xor_b32 exec_lo, exec_lo, s17
	s_cbranch_execz .LBB6_4359
.LBB6_4886:                             ;   in Loop: Header=BB6_3361 Depth=3
	v_cmp_ne_u16_e32 vcc_lo, 0, v107
	v_mov_b32_e32 v106, 0
	s_and_not1_b32 s13, s13, exec_lo
	s_and_b32 s16, vcc_lo, exec_lo
	s_delay_alu instid0(SALU_CYCLE_1)
	s_or_b32 s13, s13, s16
	s_or_b32 exec_lo, exec_lo, s17
	s_and_saveexec_b32 s16, s13
	s_cbranch_execnz .LBB6_4360
	s_branch .LBB6_4361
.LBB6_4887:                             ;   in Loop: Header=BB6_3361 Depth=3
	s_mov_b32 s13, -1
	s_mov_b32 s30, exec_lo
                                        ; implicit-def: $sgpr16
	v_cmpx_eq_u16_e32 0x80, v106
; %bb.4888:                             ;   in Loop: Header=BB6_3361 Depth=3
	s_mov_b32 s16, 0x7f800001
	s_xor_b32 s13, exec_lo, -1
; %bb.4889:                             ;   in Loop: Header=BB6_3361 Depth=3
	s_or_b32 exec_lo, exec_lo, s30
	s_delay_alu instid0(SALU_CYCLE_1)
	s_and_b32 s13, s13, exec_lo
	s_or_saveexec_b32 s17, s17
	v_mov_b32_e32 v105, s16
	s_xor_b32 exec_lo, exec_lo, s17
	s_cbranch_execz .LBB6_4371
.LBB6_4890:                             ;   in Loop: Header=BB6_3361 Depth=3
	v_cmp_ne_u16_e32 vcc_lo, 0, v106
	v_mov_b32_e32 v105, 0
	s_and_not1_b32 s13, s13, exec_lo
	s_and_b32 s16, vcc_lo, exec_lo
	s_delay_alu instid0(SALU_CYCLE_1)
	s_or_b32 s13, s13, s16
	s_or_b32 exec_lo, exec_lo, s17
	s_and_saveexec_b32 s16, s13
	s_cbranch_execnz .LBB6_4372
	s_branch .LBB6_4373
.LBB6_4891:                             ;   in Loop: Header=BB6_3361 Depth=3
	s_mov_b32 s13, -1
	s_mov_b32 s30, exec_lo
                                        ; implicit-def: $sgpr16
	v_cmpx_eq_u16_e32 0x80, v15
; %bb.4892:                             ;   in Loop: Header=BB6_3361 Depth=3
	s_mov_b32 s16, 0x7f800001
	s_xor_b32 s13, exec_lo, -1
; %bb.4893:                             ;   in Loop: Header=BB6_3361 Depth=3
	s_or_b32 exec_lo, exec_lo, s30
	s_delay_alu instid0(SALU_CYCLE_1)
	s_and_b32 s13, s13, exec_lo
	s_or_saveexec_b32 s17, s17
	v_mov_b32_e32 v106, s16
	s_xor_b32 exec_lo, exec_lo, s17
	s_cbranch_execz .LBB6_4375
.LBB6_4894:                             ;   in Loop: Header=BB6_3361 Depth=3
	v_cmp_ne_u16_e32 vcc_lo, 0, v15
	v_mov_b32_e32 v106, 0
	s_and_not1_b32 s13, s13, exec_lo
	s_and_b32 s16, vcc_lo, exec_lo
	s_delay_alu instid0(SALU_CYCLE_1)
	s_or_b32 s13, s13, s16
	s_or_b32 exec_lo, exec_lo, s17
	s_and_saveexec_b32 s16, s13
	s_cbranch_execnz .LBB6_4376
	s_branch .LBB6_4377
.LBB6_4895:                             ;   in Loop: Header=BB6_3271 Depth=2
	s_mov_b32 s13, -1
	s_branch .LBB6_6100
.LBB6_4896:                             ;   in Loop: Header=BB6_3271 Depth=2
	s_or_b32 exec_lo, exec_lo, s15
.LBB6_4897:                             ;   in Loop: Header=BB6_3271 Depth=2
	s_delay_alu instid0(SALU_CYCLE_1) | instskip(SKIP_4) | instid1(VALU_DEP_2)
	s_or_b32 exec_lo, exec_lo, s14
	v_lshlrev_b32_e32 v24, 11, v183
	v_mov_b32_e32 v16, 0
	s_mov_b32 s13, 0
	s_mov_b32 s16, exec_lo
                                        ; implicit-def: $vgpr17
                                        ; implicit-def: $vgpr18
                                        ; implicit-def: $vgpr8
	v_cmpx_ne_u32_e64 v182, v24
	s_cbranch_execz .LBB6_5292
; %bb.4898:                             ;   in Loop: Header=BB6_3271 Depth=2
	v_lshlrev_b32_e32 v2, 5, v2
	v_sub_nc_u32_e32 v9, v182, v24
	s_mov_b32 s17, exec_lo
	s_delay_alu instid0(VALU_DEP_2) | instskip(NEXT) | instid1(VALU_DEP_2)
	v_sub_nc_u32_e32 v2, v131, v2
	v_ashrrev_i32_e32 v10, 31, v9
	s_delay_alu instid0(VALU_DEP_2) | instskip(NEXT) | instid1(VALU_DEP_2)
	v_ashrrev_i32_e32 v8, 31, v2
	v_lshrrev_b32_e32 v10, 23, v10
	s_delay_alu instid0(VALU_DEP_2) | instskip(NEXT) | instid1(VALU_DEP_2)
	v_lshrrev_b32_e32 v8, 27, v8
	v_add_nc_u32_e32 v10, v9, v10
	s_delay_alu instid0(VALU_DEP_2) | instskip(NEXT) | instid1(VALU_DEP_1)
	v_add_nc_u32_e32 v8, v2, v8
	v_and_b32_e32 v11, 0xffffffe0, v8
	s_delay_alu instid0(VALU_DEP_1) | instskip(NEXT) | instid1(VALU_DEP_4)
	v_sub_nc_u32_e32 v25, v2, v11
	v_and_b32_e32 v2, 0xfffffe00, v10
	v_ashrrev_i32_e32 v11, 5, v8
	v_ashrrev_i32_e32 v10, 9, v10
	s_delay_alu instid0(VALU_DEP_4) | instskip(NEXT) | instid1(VALU_DEP_4)
	v_lshlrev_b32_e32 v8, 4, v25
	v_sub_nc_u32_e32 v26, v9, v2
	s_delay_alu instid0(VALU_DEP_2) | instskip(NEXT) | instid1(VALU_DEP_2)
	v_lshl_add_u32 v8, v11, 9, v8
	v_cmp_lt_i32_e64 s13, 15, v26
	s_delay_alu instid0(VALU_DEP_2) | instskip(NEXT) | instid1(VALU_DEP_2)
	v_sub_nc_u32_e32 v32, v9, v8
	v_add_co_ci_u32_e64 v10, vcc_lo, 0, v10, s13
	s_delay_alu instid0(VALU_DEP_1) | instskip(NEXT) | instid1(VALU_DEP_3)
	v_sub_nc_u32_e32 v27, v10, v11
	v_cmpx_lt_i32_e32 15, v32
	s_cbranch_execz .LBB6_5289
; %bb.4899:                             ;   in Loop: Header=BB6_3271 Depth=2
	s_cbranch_execz .LBB6_4900
; %bb.10319:
	s_getpc_b64 s[48:49]
.Lpost_getpc335:
	s_add_u32 s48, s48, (.LBB6_9953-.Lpost_getpc335)&4294967295
	s_addc_u32 s49, s49, (.LBB6_9953-.Lpost_getpc335)>>32
	s_setpc_b64 s[48:49]
.LBB6_4900:                             ;   in Loop: Header=BB6_3271 Depth=2
	ds_load_b128 v[9:12], v0
	v_add_nc_u32_e32 v8, v8, v24
	s_mov_b32 s30, 0
	s_delay_alu instid0(VALU_DEP_1) | instskip(SKIP_2) | instid1(VALU_DEP_2)
	v_ashrrev_i32_e32 v13, 31, v8
	s_waitcnt lgkmcnt(0)
	v_add_co_u32 v16, vcc_lo, v9, v8
	v_add_co_ci_u32_e32 v17, vcc_lo, v10, v13, vcc_lo
	s_delay_alu instid0(VALU_DEP_1) | instskip(SKIP_2) | instid1(VALU_DEP_1)
	v_mov_b32_e32 v21, v17
	v_add_co_u32 v18, vcc_lo, v11, v8
	v_add_co_ci_u32_e32 v19, vcc_lo, v12, v13, vcc_lo
	v_dual_mov_b32 v20, v16 :: v_dual_mov_b32 v23, v19
	s_delay_alu instid0(VALU_DEP_3)
	v_mov_b32_e32 v22, v18
.LBB6_4901:                             ;   Parent Loop BB6_51 Depth=1
                                        ;     Parent Loop BB6_3271 Depth=2
                                        ; =>    This Loop Header: Depth=3
                                        ;         Child Loop BB6_5158 Depth 4
	global_load_b128 v[12:15], v[20:21], off slc dlc
	global_load_b128 v[8:11], v[22:23], off slc dlc
	s_mov_b32 s14, 0
	s_mov_b32 s31, exec_lo
                                        ; implicit-def: $sgpr15
	s_waitcnt vmcnt(1)
	v_and_b32_e32 v34, 0xff, v12
	s_delay_alu instid0(VALU_DEP_1)
	v_cmpx_lt_i16_e32 0x7f, v34
	s_xor_b32 s31, exec_lo, s31
	s_cbranch_execnz .LBB6_5160
; %bb.4902:                             ;   in Loop: Header=BB6_4901 Depth=3
	s_or_saveexec_b32 s31, s31
	v_mov_b32_e32 v33, s15
	s_xor_b32 exec_lo, exec_lo, s31
	s_cbranch_execnz .LBB6_5163
.LBB6_4903:                             ;   in Loop: Header=BB6_4901 Depth=3
	s_or_b32 exec_lo, exec_lo, s31
	s_and_saveexec_b32 s15, s14
	s_cbranch_execz .LBB6_4905
.LBB6_4904:                             ;   in Loop: Header=BB6_4901 Depth=3
	v_bfe_u32 v36, v12, 3, 4
	v_lshlrev_b32_e32 v37, 24, v12
	s_delay_alu instid0(VALU_DEP_2) | instskip(SKIP_1) | instid1(VALU_DEP_1)
	v_cmp_eq_u32_e32 vcc_lo, 0, v36
	v_and_b32_e32 v33, 7, v12
	v_clz_i32_u32_e32 v34, v33
	s_delay_alu instid0(VALU_DEP_1) | instskip(NEXT) | instid1(VALU_DEP_1)
	v_min_u32_e32 v34, 32, v34
	v_subrev_nc_u32_e32 v35, 28, v34
	v_sub_nc_u32_e32 v34, 29, v34
	s_delay_alu instid0(VALU_DEP_1) | instskip(NEXT) | instid1(VALU_DEP_1)
	v_dual_cndmask_b32 v34, v36, v34 :: v_dual_lshlrev_b32 v35, v35, v12
	v_and_b32_e32 v35, 7, v35
	s_delay_alu instid0(VALU_DEP_2) | instskip(NEXT) | instid1(VALU_DEP_2)
	v_lshl_add_u32 v34, v34, 23, 0x3b800000
	v_cndmask_b32_e32 v33, v33, v35, vcc_lo
	v_and_b32_e32 v35, 0x80000000, v37
	s_delay_alu instid0(VALU_DEP_2) | instskip(NEXT) | instid1(VALU_DEP_1)
	v_lshlrev_b32_e32 v33, 20, v33
	v_or3_b32 v33, v35, v34, v33
.LBB6_4905:                             ;   in Loop: Header=BB6_4901 Depth=3
	s_or_b32 exec_lo, exec_lo, s15
	s_waitcnt vmcnt(0)
	v_and_b32_e32 v35, 0xff, v8
	s_mov_b32 s14, 0
	s_mov_b32 s31, exec_lo
                                        ; implicit-def: $sgpr15
	s_delay_alu instid0(VALU_DEP_1)
	v_cmpx_lt_i16_e32 0x7f, v35
	s_xor_b32 s31, exec_lo, s31
	s_cbranch_execnz .LBB6_5164
; %bb.4906:                             ;   in Loop: Header=BB6_4901 Depth=3
	s_or_saveexec_b32 s31, s31
	v_mov_b32_e32 v34, s15
	s_xor_b32 exec_lo, exec_lo, s31
	s_cbranch_execnz .LBB6_5167
.LBB6_4907:                             ;   in Loop: Header=BB6_4901 Depth=3
	s_or_b32 exec_lo, exec_lo, s31
	s_and_saveexec_b32 s15, s14
	s_cbranch_execz .LBB6_4909
.LBB6_4908:                             ;   in Loop: Header=BB6_4901 Depth=3
	v_bfe_u32 v37, v8, 3, 4
	v_lshlrev_b32_e32 v38, 24, v8
	s_delay_alu instid0(VALU_DEP_2) | instskip(SKIP_1) | instid1(VALU_DEP_1)
	v_cmp_eq_u32_e32 vcc_lo, 0, v37
	v_and_b32_e32 v34, 7, v8
	v_clz_i32_u32_e32 v35, v34
	s_delay_alu instid0(VALU_DEP_1) | instskip(NEXT) | instid1(VALU_DEP_1)
	v_min_u32_e32 v35, 32, v35
	v_subrev_nc_u32_e32 v36, 28, v35
	v_sub_nc_u32_e32 v35, 29, v35
	s_delay_alu instid0(VALU_DEP_1) | instskip(NEXT) | instid1(VALU_DEP_1)
	v_dual_cndmask_b32 v35, v37, v35 :: v_dual_lshlrev_b32 v36, v36, v8
	v_and_b32_e32 v36, 7, v36
	s_delay_alu instid0(VALU_DEP_2) | instskip(NEXT) | instid1(VALU_DEP_2)
	v_lshl_add_u32 v35, v35, 23, 0x3b800000
	v_cndmask_b32_e32 v34, v34, v36, vcc_lo
	v_and_b32_e32 v36, 0x80000000, v38
	s_delay_alu instid0(VALU_DEP_2) | instskip(NEXT) | instid1(VALU_DEP_1)
	v_lshlrev_b32_e32 v34, 20, v34
	v_or3_b32 v34, v36, v35, v34
.LBB6_4909:                             ;   in Loop: Header=BB6_4901 Depth=3
	s_or_b32 exec_lo, exec_lo, s15
	s_delay_alu instid0(VALU_DEP_1) | instskip(NEXT) | instid1(VALU_DEP_1)
	v_add_f32_e32 v34, v33, v34
	v_and_b32_e32 v33, 0x7f800000, v34
	s_delay_alu instid0(VALU_DEP_1)
	v_cmp_ne_u32_e32 vcc_lo, 0x7f800000, v33
	v_mov_b32_e32 v33, 0x80
	s_and_saveexec_b32 s15, vcc_lo
	s_cbranch_execz .LBB6_4917
; %bb.4910:                             ;   in Loop: Header=BB6_4901 Depth=3
	v_mov_b32_e32 v33, 0
	s_mov_b32 s31, exec_lo
	v_cmpx_ne_u32_e32 0, v34
	s_cbranch_execz .LBB6_4916
; %bb.4911:                             ;   in Loop: Header=BB6_4901 Depth=3
	v_bfe_u32 v33, v34, 23, 8
	s_delay_alu instid0(VALU_DEP_1) | instskip(SKIP_1) | instid1(VALU_DEP_2)
	v_sub_nc_u32_e32 v36, 0x78, v33
	v_cmp_gt_u32_e32 vcc_lo, 0x79, v33
	v_dual_cndmask_b32 v36, 0, v36 :: v_dual_and_b32 v35, 0x7fffff, v34
	s_delay_alu instid0(VALU_DEP_1) | instskip(SKIP_2) | instid1(VALU_DEP_4)
	v_or_b32_e32 v37, 0x800000, v35
	v_cmp_eq_u32_e32 vcc_lo, 0, v33
	v_add_nc_u32_e32 v33, 0xffffff89, v33
	v_cndmask_b32_e64 v36, v36, 0x77, vcc_lo
	s_delay_alu instid0(VALU_DEP_2) | instskip(SKIP_1) | instid1(VALU_DEP_3)
	v_cndmask_b32_e64 v33, v33, 0xffffff8a, vcc_lo
	v_cndmask_b32_e32 v35, v37, v35, vcc_lo
	v_lshl_add_u32 v37, 0x100000, v36, -1
	v_lshlrev_b32_e64 v48, v36, 0x80000
	s_delay_alu instid0(VALU_DEP_3) | instskip(SKIP_1) | instid1(VALU_DEP_4)
	v_lshrrev_b32_e32 v38, v36, v35
	v_add_nc_u32_e32 v36, v36, v33
	v_and_b32_e32 v35, v37, v35
	s_delay_alu instid0(VALU_DEP_3) | instskip(NEXT) | instid1(VALU_DEP_2)
	v_bfe_u32 v39, v38, 20, 1
	v_cmp_eq_u32_e64 s14, v35, v48
	s_delay_alu instid0(VALU_DEP_2) | instskip(NEXT) | instid1(VALU_DEP_1)
	v_add_nc_u32_e32 v37, -1, v39
	v_cndmask_b32_e64 v35, 0, v37, s14
	v_lshrrev_b32_e32 v37, 23, v38
	s_mov_b32 s14, exec_lo
	s_delay_alu instid0(VALU_DEP_2) | instskip(NEXT) | instid1(VALU_DEP_2)
	v_add_nc_u32_e32 v35, v35, v38
	v_xor_b32_e32 v37, 1, v37
	s_delay_alu instid0(VALU_DEP_2) | instskip(NEXT) | instid1(VALU_DEP_1)
	v_and_b32_e32 v33, 0xfffff, v35
	v_add_nc_u32_e32 v35, v33, v38
                                        ; implicit-def: $vgpr33
	s_delay_alu instid0(VALU_DEP_3)
	v_cmpx_ne_u32_e64 v36, v37
	s_xor_b32 s14, exec_lo, s14
; %bb.4912:                             ;   in Loop: Header=BB6_4901 Depth=3
	s_delay_alu instid0(VALU_DEP_2) | instskip(SKIP_2) | instid1(VALU_DEP_2)
	v_cmp_lt_u32_e32 vcc_lo, 0xffffff, v35
	v_sub_nc_u32_e32 v33, v36, v37
	v_cndmask_b32_e64 v36, 0, 1, vcc_lo
	v_add_co_ci_u32_e32 v33, vcc_lo, 0, v33, vcc_lo
	s_delay_alu instid0(VALU_DEP_2)
	v_lshrrev_b32_e32 v35, v36, v35
; %bb.4913:                             ;   in Loop: Header=BB6_4901 Depth=3
	s_and_not1_saveexec_b32 s14, s14
; %bb.4914:                             ;   in Loop: Header=BB6_4901 Depth=3
	s_delay_alu instid0(VALU_DEP_1)
	v_bfe_u32 v33, v35, 23, 1
; %bb.4915:                             ;   in Loop: Header=BB6_4901 Depth=3
	s_or_b32 exec_lo, exec_lo, s14
	v_lshrrev_b32_e32 v35, 20, v35
	s_delay_alu instid0(VALU_DEP_2) | instskip(SKIP_2) | instid1(VALU_DEP_2)
	v_cmp_gt_i32_e32 vcc_lo, 16, v33
	v_lshrrev_b32_e32 v34, 24, v34
	v_min_i32_e32 v36, 15, v33
	v_dual_cndmask_b32 v35, 7, v35 :: v_dual_and_b32 v34, 0x80, v34
	s_delay_alu instid0(VALU_DEP_1) | instskip(SKIP_1) | instid1(VALU_DEP_2)
	v_or_b32_e32 v33, v33, v35
	v_and_b32_e32 v37, 7, v35
	v_cmp_ne_u32_e32 vcc_lo, 0, v33
	v_lshlrev_b32_e32 v36, 3, v36
	s_delay_alu instid0(VALU_DEP_1) | instskip(NEXT) | instid1(VALU_DEP_1)
	v_or3_b32 v34, v36, v34, v37
	v_cndmask_b32_e32 v33, 0, v34, vcc_lo
.LBB6_4916:                             ;   in Loop: Header=BB6_4901 Depth=3
	s_or_b32 exec_lo, exec_lo, s31
.LBB6_4917:                             ;   in Loop: Header=BB6_4901 Depth=3
	s_delay_alu instid0(SALU_CYCLE_1) | instskip(SKIP_3) | instid1(VALU_DEP_1)
	s_or_b32 exec_lo, exec_lo, s15
	v_lshrrev_b16 v35, 8, v12
	s_mov_b32 s14, 0
	s_mov_b32 s31, exec_lo
                                        ; implicit-def: $sgpr15
	v_cmpx_lt_i16_e32 0x7f, v35
	s_xor_b32 s31, exec_lo, s31
	s_cbranch_execnz .LBB6_5168
; %bb.4918:                             ;   in Loop: Header=BB6_4901 Depth=3
	s_or_saveexec_b32 s31, s31
	v_mov_b32_e32 v34, s15
	s_xor_b32 exec_lo, exec_lo, s31
	s_cbranch_execnz .LBB6_5171
.LBB6_4919:                             ;   in Loop: Header=BB6_4901 Depth=3
	s_or_b32 exec_lo, exec_lo, s31
	s_and_saveexec_b32 s15, s14
	s_cbranch_execz .LBB6_4921
.LBB6_4920:                             ;   in Loop: Header=BB6_4901 Depth=3
	v_and_b32_e32 v34, 0xffff, v35
	s_delay_alu instid0(VALU_DEP_1) | instskip(NEXT) | instid1(VALU_DEP_1)
	v_and_b32_e32 v36, 7, v34
	v_clz_i32_u32_e32 v37, v36
	s_delay_alu instid0(VALU_DEP_1) | instskip(NEXT) | instid1(VALU_DEP_1)
	v_min_u32_e32 v37, 32, v37
	v_subrev_nc_u32_e32 v38, 28, v37
	v_sub_nc_u32_e32 v37, 29, v37
	s_delay_alu instid0(VALU_DEP_2) | instskip(SKIP_1) | instid1(VALU_DEP_2)
	v_lshlrev_b32_e32 v38, v38, v34
	v_bfe_u32 v34, v34, 3, 4
	v_and_b32_e32 v38, 7, v38
	s_delay_alu instid0(VALU_DEP_2) | instskip(SKIP_1) | instid1(VALU_DEP_1)
	v_cmp_eq_u32_e32 vcc_lo, 0, v34
	v_dual_cndmask_b32 v34, v34, v37 :: v_dual_lshlrev_b32 v35, 24, v35
	v_dual_cndmask_b32 v36, v36, v38 :: v_dual_and_b32 v35, 0x80000000, v35
	s_delay_alu instid0(VALU_DEP_2) | instskip(NEXT) | instid1(VALU_DEP_2)
	v_lshl_add_u32 v34, v34, 23, 0x3b800000
	v_lshlrev_b32_e32 v36, 20, v36
	s_delay_alu instid0(VALU_DEP_1)
	v_or3_b32 v34, v35, v34, v36
.LBB6_4921:                             ;   in Loop: Header=BB6_4901 Depth=3
	s_or_b32 exec_lo, exec_lo, s15
	v_lshrrev_b16 v35, 8, v8
	s_mov_b32 s14, 0
	s_mov_b32 s31, exec_lo
                                        ; implicit-def: $sgpr15
	s_delay_alu instid0(VALU_DEP_1)
	v_cmpx_lt_i16_e32 0x7f, v35
	s_xor_b32 s31, exec_lo, s31
	s_cbranch_execnz .LBB6_5172
; %bb.4922:                             ;   in Loop: Header=BB6_4901 Depth=3
	s_or_saveexec_b32 s31, s31
	v_mov_b32_e32 v36, s15
	s_xor_b32 exec_lo, exec_lo, s31
	s_cbranch_execnz .LBB6_5175
.LBB6_4923:                             ;   in Loop: Header=BB6_4901 Depth=3
	s_or_b32 exec_lo, exec_lo, s31
	s_and_saveexec_b32 s15, s14
	s_cbranch_execz .LBB6_4925
.LBB6_4924:                             ;   in Loop: Header=BB6_4901 Depth=3
	v_and_b32_e32 v36, 0xffff, v35
	v_lshlrev_b32_e32 v35, 24, v35
	s_delay_alu instid0(VALU_DEP_2) | instskip(NEXT) | instid1(VALU_DEP_2)
	v_and_b32_e32 v37, 7, v36
	v_and_b32_e32 v35, 0x80000000, v35
	s_delay_alu instid0(VALU_DEP_2) | instskip(NEXT) | instid1(VALU_DEP_1)
	v_clz_i32_u32_e32 v38, v37
	v_min_u32_e32 v38, 32, v38
	s_delay_alu instid0(VALU_DEP_1) | instskip(SKIP_1) | instid1(VALU_DEP_2)
	v_subrev_nc_u32_e32 v39, 28, v38
	v_sub_nc_u32_e32 v38, 29, v38
	v_lshlrev_b32_e32 v39, v39, v36
	v_bfe_u32 v36, v36, 3, 4
	s_delay_alu instid0(VALU_DEP_2) | instskip(NEXT) | instid1(VALU_DEP_2)
	v_and_b32_e32 v39, 7, v39
	v_cmp_eq_u32_e32 vcc_lo, 0, v36
	s_delay_alu instid0(VALU_DEP_2) | instskip(NEXT) | instid1(VALU_DEP_1)
	v_dual_cndmask_b32 v36, v36, v38 :: v_dual_cndmask_b32 v37, v37, v39
	v_lshl_add_u32 v36, v36, 23, 0x3b800000
	s_delay_alu instid0(VALU_DEP_2) | instskip(NEXT) | instid1(VALU_DEP_1)
	v_lshlrev_b32_e32 v37, 20, v37
	v_or3_b32 v36, v35, v36, v37
.LBB6_4925:                             ;   in Loop: Header=BB6_4901 Depth=3
	s_or_b32 exec_lo, exec_lo, s15
	s_delay_alu instid0(VALU_DEP_1) | instskip(NEXT) | instid1(VALU_DEP_1)
	v_add_f32_e32 v35, v34, v36
	v_and_b32_e32 v34, 0x7f800000, v35
	s_delay_alu instid0(VALU_DEP_1)
	v_cmp_ne_u32_e32 vcc_lo, 0x7f800000, v34
	v_mov_b32_e32 v34, 0x80
	s_and_saveexec_b32 s15, vcc_lo
	s_cbranch_execz .LBB6_4933
; %bb.4926:                             ;   in Loop: Header=BB6_4901 Depth=3
	v_mov_b32_e32 v34, 0
	s_mov_b32 s31, exec_lo
	v_cmpx_ne_u32_e32 0, v35
	s_cbranch_execz .LBB6_4932
; %bb.4927:                             ;   in Loop: Header=BB6_4901 Depth=3
	v_bfe_u32 v34, v35, 23, 8
	s_delay_alu instid0(VALU_DEP_1) | instskip(SKIP_1) | instid1(VALU_DEP_2)
	v_sub_nc_u32_e32 v37, 0x78, v34
	v_cmp_gt_u32_e32 vcc_lo, 0x79, v34
	v_dual_cndmask_b32 v37, 0, v37 :: v_dual_and_b32 v36, 0x7fffff, v35
	s_delay_alu instid0(VALU_DEP_1) | instskip(SKIP_2) | instid1(VALU_DEP_4)
	v_or_b32_e32 v38, 0x800000, v36
	v_cmp_eq_u32_e32 vcc_lo, 0, v34
	v_add_nc_u32_e32 v34, 0xffffff89, v34
	v_cndmask_b32_e64 v37, v37, 0x77, vcc_lo
	s_delay_alu instid0(VALU_DEP_2) | instskip(SKIP_1) | instid1(VALU_DEP_3)
	v_cndmask_b32_e64 v34, v34, 0xffffff8a, vcc_lo
	v_cndmask_b32_e32 v36, v38, v36, vcc_lo
	v_lshl_add_u32 v38, 0x100000, v37, -1
	v_lshlrev_b32_e64 v49, v37, 0x80000
	s_delay_alu instid0(VALU_DEP_3) | instskip(SKIP_1) | instid1(VALU_DEP_4)
	v_lshrrev_b32_e32 v39, v37, v36
	v_add_nc_u32_e32 v37, v37, v34
	v_and_b32_e32 v36, v38, v36
	s_delay_alu instid0(VALU_DEP_3) | instskip(NEXT) | instid1(VALU_DEP_2)
	v_bfe_u32 v48, v39, 20, 1
	v_cmp_eq_u32_e64 s14, v36, v49
	s_delay_alu instid0(VALU_DEP_2) | instskip(NEXT) | instid1(VALU_DEP_1)
	v_add_nc_u32_e32 v38, -1, v48
	v_cndmask_b32_e64 v36, 0, v38, s14
	v_lshrrev_b32_e32 v38, 23, v39
	s_mov_b32 s14, exec_lo
	s_delay_alu instid0(VALU_DEP_2) | instskip(NEXT) | instid1(VALU_DEP_2)
	v_add_nc_u32_e32 v36, v36, v39
	v_xor_b32_e32 v38, 1, v38
	s_delay_alu instid0(VALU_DEP_2) | instskip(NEXT) | instid1(VALU_DEP_1)
	v_and_b32_e32 v34, 0xfffff, v36
	v_add_nc_u32_e32 v36, v34, v39
                                        ; implicit-def: $vgpr34
	s_delay_alu instid0(VALU_DEP_3)
	v_cmpx_ne_u32_e64 v37, v38
	s_xor_b32 s14, exec_lo, s14
; %bb.4928:                             ;   in Loop: Header=BB6_4901 Depth=3
	s_delay_alu instid0(VALU_DEP_2) | instskip(SKIP_2) | instid1(VALU_DEP_2)
	v_cmp_lt_u32_e32 vcc_lo, 0xffffff, v36
	v_sub_nc_u32_e32 v34, v37, v38
	v_cndmask_b32_e64 v37, 0, 1, vcc_lo
	v_add_co_ci_u32_e32 v34, vcc_lo, 0, v34, vcc_lo
	s_delay_alu instid0(VALU_DEP_2)
	v_lshrrev_b32_e32 v36, v37, v36
; %bb.4929:                             ;   in Loop: Header=BB6_4901 Depth=3
	s_and_not1_saveexec_b32 s14, s14
; %bb.4930:                             ;   in Loop: Header=BB6_4901 Depth=3
	s_delay_alu instid0(VALU_DEP_1)
	v_bfe_u32 v34, v36, 23, 1
; %bb.4931:                             ;   in Loop: Header=BB6_4901 Depth=3
	s_or_b32 exec_lo, exec_lo, s14
	v_lshrrev_b32_e32 v36, 20, v36
	s_delay_alu instid0(VALU_DEP_2) | instskip(SKIP_2) | instid1(VALU_DEP_2)
	v_cmp_gt_i32_e32 vcc_lo, 16, v34
	v_lshrrev_b32_e32 v35, 24, v35
	v_min_i32_e32 v37, 15, v34
	v_dual_cndmask_b32 v36, 7, v36 :: v_dual_and_b32 v35, 0x80, v35
	s_delay_alu instid0(VALU_DEP_1) | instskip(SKIP_1) | instid1(VALU_DEP_2)
	v_or_b32_e32 v34, v34, v36
	v_and_b32_e32 v38, 7, v36
	v_cmp_ne_u32_e32 vcc_lo, 0, v34
	v_lshlrev_b32_e32 v37, 3, v37
	s_delay_alu instid0(VALU_DEP_1) | instskip(NEXT) | instid1(VALU_DEP_1)
	v_or3_b32 v35, v37, v35, v38
	v_cndmask_b32_e32 v34, 0, v35, vcc_lo
.LBB6_4932:                             ;   in Loop: Header=BB6_4901 Depth=3
	s_or_b32 exec_lo, exec_lo, s31
.LBB6_4933:                             ;   in Loop: Header=BB6_4901 Depth=3
	s_delay_alu instid0(SALU_CYCLE_1) | instskip(SKIP_3) | instid1(VALU_DEP_1)
	s_or_b32 exec_lo, exec_lo, s15
	v_lshrrev_b32_e32 v36, 16, v12
	s_mov_b32 s14, 0
	s_mov_b32 s31, exec_lo
                                        ; implicit-def: $sgpr15
	v_and_b32_e32 v37, 0xff, v36
	s_delay_alu instid0(VALU_DEP_1)
	v_cmpx_lt_i16_e32 0x7f, v37
	s_xor_b32 s31, exec_lo, s31
	s_cbranch_execnz .LBB6_5176
; %bb.4934:                             ;   in Loop: Header=BB6_4901 Depth=3
	s_or_saveexec_b32 s31, s31
	v_mov_b32_e32 v35, s15
	s_xor_b32 exec_lo, exec_lo, s31
	s_cbranch_execnz .LBB6_5179
.LBB6_4935:                             ;   in Loop: Header=BB6_4901 Depth=3
	s_or_b32 exec_lo, exec_lo, s31
	s_and_saveexec_b32 s15, s14
	s_cbranch_execz .LBB6_4937
.LBB6_4936:                             ;   in Loop: Header=BB6_4901 Depth=3
	v_bfe_u32 v35, v12, 16, 3
	v_lshlrev_b32_e32 v39, 8, v12
	s_delay_alu instid0(VALU_DEP_2) | instskip(NEXT) | instid1(VALU_DEP_1)
	v_clz_i32_u32_e32 v37, v35
	v_min_u32_e32 v37, 32, v37
	s_delay_alu instid0(VALU_DEP_1) | instskip(SKIP_1) | instid1(VALU_DEP_2)
	v_subrev_nc_u32_e32 v38, 28, v37
	v_sub_nc_u32_e32 v37, 29, v37
	v_lshlrev_b32_e32 v36, v38, v36
	v_bfe_u32 v38, v12, 19, 4
	s_delay_alu instid0(VALU_DEP_1) | instskip(NEXT) | instid1(VALU_DEP_3)
	v_cmp_eq_u32_e32 vcc_lo, 0, v38
	v_dual_cndmask_b32 v37, v38, v37 :: v_dual_and_b32 v36, 7, v36
	s_delay_alu instid0(VALU_DEP_1) | instskip(NEXT) | instid1(VALU_DEP_2)
	v_dual_cndmask_b32 v35, v35, v36 :: v_dual_and_b32 v36, 0x80000000, v39
	v_lshl_add_u32 v37, v37, 23, 0x3b800000
	s_delay_alu instid0(VALU_DEP_2) | instskip(NEXT) | instid1(VALU_DEP_1)
	v_lshlrev_b32_e32 v35, 20, v35
	v_or3_b32 v35, v36, v37, v35
.LBB6_4937:                             ;   in Loop: Header=BB6_4901 Depth=3
	s_or_b32 exec_lo, exec_lo, s15
	v_lshrrev_b32_e32 v36, 16, v8
	s_mov_b32 s14, 0
	s_mov_b32 s31, exec_lo
                                        ; implicit-def: $sgpr15
	s_delay_alu instid0(VALU_DEP_1) | instskip(NEXT) | instid1(VALU_DEP_1)
	v_and_b32_e32 v38, 0xff, v36
	v_cmpx_lt_i16_e32 0x7f, v38
	s_xor_b32 s31, exec_lo, s31
	s_cbranch_execnz .LBB6_5180
; %bb.4938:                             ;   in Loop: Header=BB6_4901 Depth=3
	s_or_saveexec_b32 s31, s31
	v_mov_b32_e32 v37, s15
	s_xor_b32 exec_lo, exec_lo, s31
	s_cbranch_execnz .LBB6_5183
.LBB6_4939:                             ;   in Loop: Header=BB6_4901 Depth=3
	s_or_b32 exec_lo, exec_lo, s31
	s_and_saveexec_b32 s15, s14
	s_cbranch_execz .LBB6_4941
.LBB6_4940:                             ;   in Loop: Header=BB6_4901 Depth=3
	v_bfe_u32 v37, v8, 16, 3
	v_lshlrev_b32_e32 v48, 8, v8
	s_delay_alu instid0(VALU_DEP_2) | instskip(NEXT) | instid1(VALU_DEP_1)
	v_clz_i32_u32_e32 v38, v37
	v_min_u32_e32 v38, 32, v38
	s_delay_alu instid0(VALU_DEP_1) | instskip(SKIP_1) | instid1(VALU_DEP_2)
	v_subrev_nc_u32_e32 v39, 28, v38
	v_sub_nc_u32_e32 v38, 29, v38
	v_lshlrev_b32_e32 v36, v39, v36
	v_bfe_u32 v39, v8, 19, 4
	s_delay_alu instid0(VALU_DEP_2) | instskip(NEXT) | instid1(VALU_DEP_2)
	v_and_b32_e32 v36, 7, v36
	v_cmp_eq_u32_e32 vcc_lo, 0, v39
	v_cndmask_b32_e32 v38, v39, v38, vcc_lo
	s_delay_alu instid0(VALU_DEP_3) | instskip(SKIP_1) | instid1(VALU_DEP_3)
	v_cndmask_b32_e32 v36, v37, v36, vcc_lo
	v_and_b32_e32 v37, 0x80000000, v48
	v_lshl_add_u32 v38, v38, 23, 0x3b800000
	s_delay_alu instid0(VALU_DEP_3) | instskip(NEXT) | instid1(VALU_DEP_1)
	v_lshlrev_b32_e32 v36, 20, v36
	v_or3_b32 v37, v37, v38, v36
.LBB6_4941:                             ;   in Loop: Header=BB6_4901 Depth=3
	s_or_b32 exec_lo, exec_lo, s15
	s_delay_alu instid0(VALU_DEP_1) | instskip(NEXT) | instid1(VALU_DEP_1)
	v_add_f32_e32 v36, v35, v37
	v_and_b32_e32 v35, 0x7f800000, v36
	s_delay_alu instid0(VALU_DEP_1)
	v_cmp_ne_u32_e32 vcc_lo, 0x7f800000, v35
	v_mov_b32_e32 v35, 0x80
	s_and_saveexec_b32 s15, vcc_lo
	s_cbranch_execz .LBB6_4949
; %bb.4942:                             ;   in Loop: Header=BB6_4901 Depth=3
	v_mov_b32_e32 v35, 0
	s_mov_b32 s31, exec_lo
	v_cmpx_ne_u32_e32 0, v36
	s_cbranch_execz .LBB6_4948
; %bb.4943:                             ;   in Loop: Header=BB6_4901 Depth=3
	v_bfe_u32 v35, v36, 23, 8
	s_delay_alu instid0(VALU_DEP_1) | instskip(SKIP_1) | instid1(VALU_DEP_2)
	v_sub_nc_u32_e32 v38, 0x78, v35
	v_cmp_gt_u32_e32 vcc_lo, 0x79, v35
	v_dual_cndmask_b32 v38, 0, v38 :: v_dual_and_b32 v37, 0x7fffff, v36
	s_delay_alu instid0(VALU_DEP_1) | instskip(SKIP_2) | instid1(VALU_DEP_4)
	v_or_b32_e32 v39, 0x800000, v37
	v_cmp_eq_u32_e32 vcc_lo, 0, v35
	v_add_nc_u32_e32 v35, 0xffffff89, v35
	v_cndmask_b32_e64 v38, v38, 0x77, vcc_lo
	s_delay_alu instid0(VALU_DEP_2) | instskip(SKIP_1) | instid1(VALU_DEP_3)
	v_cndmask_b32_e64 v35, v35, 0xffffff8a, vcc_lo
	v_cndmask_b32_e32 v37, v39, v37, vcc_lo
	v_lshl_add_u32 v39, 0x100000, v38, -1
	v_lshlrev_b32_e64 v50, v38, 0x80000
	s_delay_alu instid0(VALU_DEP_3) | instskip(SKIP_1) | instid1(VALU_DEP_4)
	v_lshrrev_b32_e32 v48, v38, v37
	v_add_nc_u32_e32 v38, v38, v35
	v_and_b32_e32 v37, v39, v37
	s_delay_alu instid0(VALU_DEP_3) | instskip(NEXT) | instid1(VALU_DEP_2)
	v_bfe_u32 v49, v48, 20, 1
	v_cmp_eq_u32_e64 s14, v37, v50
	s_delay_alu instid0(VALU_DEP_2) | instskip(NEXT) | instid1(VALU_DEP_1)
	v_add_nc_u32_e32 v39, -1, v49
	v_cndmask_b32_e64 v37, 0, v39, s14
	v_lshrrev_b32_e32 v39, 23, v48
	s_mov_b32 s14, exec_lo
	s_delay_alu instid0(VALU_DEP_2) | instskip(NEXT) | instid1(VALU_DEP_2)
	v_add_nc_u32_e32 v37, v37, v48
	v_xor_b32_e32 v39, 1, v39
	s_delay_alu instid0(VALU_DEP_2) | instskip(NEXT) | instid1(VALU_DEP_1)
	v_and_b32_e32 v35, 0xfffff, v37
	v_add_nc_u32_e32 v37, v35, v48
                                        ; implicit-def: $vgpr35
	s_delay_alu instid0(VALU_DEP_3)
	v_cmpx_ne_u32_e64 v38, v39
	s_xor_b32 s14, exec_lo, s14
; %bb.4944:                             ;   in Loop: Header=BB6_4901 Depth=3
	s_delay_alu instid0(VALU_DEP_2) | instskip(SKIP_2) | instid1(VALU_DEP_2)
	v_cmp_lt_u32_e32 vcc_lo, 0xffffff, v37
	v_sub_nc_u32_e32 v35, v38, v39
	v_cndmask_b32_e64 v38, 0, 1, vcc_lo
	v_add_co_ci_u32_e32 v35, vcc_lo, 0, v35, vcc_lo
	s_delay_alu instid0(VALU_DEP_2)
	v_lshrrev_b32_e32 v37, v38, v37
; %bb.4945:                             ;   in Loop: Header=BB6_4901 Depth=3
	s_and_not1_saveexec_b32 s14, s14
; %bb.4946:                             ;   in Loop: Header=BB6_4901 Depth=3
	s_delay_alu instid0(VALU_DEP_1)
	v_bfe_u32 v35, v37, 23, 1
; %bb.4947:                             ;   in Loop: Header=BB6_4901 Depth=3
	s_or_b32 exec_lo, exec_lo, s14
	v_lshrrev_b32_e32 v37, 20, v37
	s_delay_alu instid0(VALU_DEP_2) | instskip(SKIP_2) | instid1(VALU_DEP_2)
	v_cmp_gt_i32_e32 vcc_lo, 16, v35
	v_lshrrev_b32_e32 v36, 24, v36
	v_min_i32_e32 v38, 15, v35
	v_dual_cndmask_b32 v37, 7, v37 :: v_dual_and_b32 v36, 0x80, v36
	s_delay_alu instid0(VALU_DEP_1) | instskip(SKIP_1) | instid1(VALU_DEP_2)
	v_or_b32_e32 v35, v35, v37
	v_and_b32_e32 v39, 7, v37
	v_cmp_ne_u32_e32 vcc_lo, 0, v35
	v_lshlrev_b32_e32 v38, 3, v38
	s_delay_alu instid0(VALU_DEP_1) | instskip(NEXT) | instid1(VALU_DEP_1)
	v_or3_b32 v36, v38, v36, v39
	v_cndmask_b32_e32 v35, 0, v36, vcc_lo
.LBB6_4948:                             ;   in Loop: Header=BB6_4901 Depth=3
	s_or_b32 exec_lo, exec_lo, s31
.LBB6_4949:                             ;   in Loop: Header=BB6_4901 Depth=3
	s_delay_alu instid0(SALU_CYCLE_1) | instskip(SKIP_3) | instid1(VALU_DEP_1)
	s_or_b32 exec_lo, exec_lo, s15
	v_lshrrev_b32_e32 v37, 24, v12
	s_mov_b32 s14, 0
	s_mov_b32 s31, exec_lo
                                        ; implicit-def: $sgpr15
	v_cmpx_lt_i16_e32 0x7f, v37
	s_xor_b32 s31, exec_lo, s31
	s_cbranch_execnz .LBB6_5184
; %bb.4950:                             ;   in Loop: Header=BB6_4901 Depth=3
	s_or_saveexec_b32 s31, s31
	v_mov_b32_e32 v36, s15
	s_xor_b32 exec_lo, exec_lo, s31
	s_cbranch_execnz .LBB6_5187
.LBB6_4951:                             ;   in Loop: Header=BB6_4901 Depth=3
	s_or_b32 exec_lo, exec_lo, s31
	s_and_saveexec_b32 s15, s14
	s_cbranch_execz .LBB6_4953
.LBB6_4952:                             ;   in Loop: Header=BB6_4901 Depth=3
	v_bfe_u32 v36, v12, 24, 3
	s_delay_alu instid0(VALU_DEP_1) | instskip(NEXT) | instid1(VALU_DEP_1)
	v_clz_i32_u32_e32 v38, v36
	v_min_u32_e32 v38, 32, v38
	s_delay_alu instid0(VALU_DEP_1) | instskip(SKIP_1) | instid1(VALU_DEP_2)
	v_subrev_nc_u32_e32 v39, 28, v38
	v_sub_nc_u32_e32 v38, 29, v38
	v_lshlrev_b32_e32 v37, v39, v37
	v_bfe_u32 v39, v12, 27, 4
	v_and_b32_e32 v12, 0x80000000, v12
	s_delay_alu instid0(VALU_DEP_2) | instskip(NEXT) | instid1(VALU_DEP_4)
	v_cmp_eq_u32_e32 vcc_lo, 0, v39
	v_dual_cndmask_b32 v38, v39, v38 :: v_dual_and_b32 v37, 7, v37
	s_delay_alu instid0(VALU_DEP_1) | instskip(NEXT) | instid1(VALU_DEP_2)
	v_cndmask_b32_e32 v36, v36, v37, vcc_lo
	v_lshl_add_u32 v37, v38, 23, 0x3b800000
	s_delay_alu instid0(VALU_DEP_2) | instskip(NEXT) | instid1(VALU_DEP_1)
	v_lshlrev_b32_e32 v36, 20, v36
	v_or3_b32 v36, v12, v37, v36
.LBB6_4953:                             ;   in Loop: Header=BB6_4901 Depth=3
	s_or_b32 exec_lo, exec_lo, s15
	v_lshrrev_b32_e32 v12, 24, v8
	s_mov_b32 s14, 0
	s_mov_b32 s31, exec_lo
                                        ; implicit-def: $sgpr15
	s_delay_alu instid0(VALU_DEP_1)
	v_cmpx_lt_i16_e32 0x7f, v12
	s_xor_b32 s31, exec_lo, s31
	s_cbranch_execnz .LBB6_5188
; %bb.4954:                             ;   in Loop: Header=BB6_4901 Depth=3
	s_or_saveexec_b32 s31, s31
	v_mov_b32_e32 v37, s15
	s_xor_b32 exec_lo, exec_lo, s31
	s_cbranch_execnz .LBB6_5191
.LBB6_4955:                             ;   in Loop: Header=BB6_4901 Depth=3
	s_or_b32 exec_lo, exec_lo, s31
	s_and_saveexec_b32 s15, s14
	s_cbranch_execz .LBB6_4957
.LBB6_4956:                             ;   in Loop: Header=BB6_4901 Depth=3
	v_bfe_u32 v37, v8, 24, 3
	s_delay_alu instid0(VALU_DEP_1) | instskip(NEXT) | instid1(VALU_DEP_1)
	v_clz_i32_u32_e32 v38, v37
	v_min_u32_e32 v38, 32, v38
	s_delay_alu instid0(VALU_DEP_1) | instskip(SKIP_1) | instid1(VALU_DEP_2)
	v_subrev_nc_u32_e32 v39, 28, v38
	v_sub_nc_u32_e32 v38, 29, v38
	v_lshlrev_b32_e32 v12, v39, v12
	v_bfe_u32 v39, v8, 27, 4
	v_and_b32_e32 v8, 0x80000000, v8
	s_delay_alu instid0(VALU_DEP_3) | instskip(NEXT) | instid1(VALU_DEP_3)
	v_and_b32_e32 v12, 7, v12
	v_cmp_eq_u32_e32 vcc_lo, 0, v39
	v_cndmask_b32_e32 v38, v39, v38, vcc_lo
	s_delay_alu instid0(VALU_DEP_3) | instskip(NEXT) | instid1(VALU_DEP_2)
	v_cndmask_b32_e32 v12, v37, v12, vcc_lo
	v_lshl_add_u32 v37, v38, 23, 0x3b800000
	s_delay_alu instid0(VALU_DEP_2) | instskip(NEXT) | instid1(VALU_DEP_1)
	v_lshlrev_b32_e32 v12, 20, v12
	v_or3_b32 v37, v8, v37, v12
.LBB6_4957:                             ;   in Loop: Header=BB6_4901 Depth=3
	s_or_b32 exec_lo, exec_lo, s15
	s_delay_alu instid0(VALU_DEP_1) | instskip(NEXT) | instid1(VALU_DEP_1)
	v_add_f32_e32 v12, v36, v37
	v_and_b32_e32 v8, 0x7f800000, v12
	s_delay_alu instid0(VALU_DEP_1)
	v_cmp_ne_u32_e32 vcc_lo, 0x7f800000, v8
	v_mov_b32_e32 v8, 0x80
	s_and_saveexec_b32 s15, vcc_lo
	s_cbranch_execz .LBB6_4965
; %bb.4958:                             ;   in Loop: Header=BB6_4901 Depth=3
	v_mov_b32_e32 v8, 0
	s_mov_b32 s31, exec_lo
	v_cmpx_ne_u32_e32 0, v12
	s_cbranch_execz .LBB6_4964
; %bb.4959:                             ;   in Loop: Header=BB6_4901 Depth=3
	v_bfe_u32 v8, v12, 23, 8
	s_delay_alu instid0(VALU_DEP_1) | instskip(SKIP_1) | instid1(VALU_DEP_2)
	v_sub_nc_u32_e32 v37, 0x78, v8
	v_cmp_gt_u32_e32 vcc_lo, 0x79, v8
	v_dual_cndmask_b32 v37, 0, v37 :: v_dual_and_b32 v36, 0x7fffff, v12
	s_delay_alu instid0(VALU_DEP_1) | instskip(SKIP_2) | instid1(VALU_DEP_4)
	v_or_b32_e32 v38, 0x800000, v36
	v_cmp_eq_u32_e32 vcc_lo, 0, v8
	v_add_nc_u32_e32 v8, 0xffffff89, v8
	v_cndmask_b32_e64 v37, v37, 0x77, vcc_lo
	s_delay_alu instid0(VALU_DEP_4) | instskip(NEXT) | instid1(VALU_DEP_3)
	v_cndmask_b32_e32 v36, v38, v36, vcc_lo
	v_cndmask_b32_e64 v8, v8, 0xffffff8a, vcc_lo
	s_delay_alu instid0(VALU_DEP_3) | instskip(NEXT) | instid1(VALU_DEP_3)
	v_lshl_add_u32 v38, 0x100000, v37, -1
	v_lshrrev_b32_e32 v39, v37, v36
	v_lshlrev_b32_e64 v49, v37, 0x80000
	s_delay_alu instid0(VALU_DEP_4) | instskip(NEXT) | instid1(VALU_DEP_4)
	v_add_nc_u32_e32 v37, v37, v8
	v_and_b32_e32 v36, v38, v36
	s_delay_alu instid0(VALU_DEP_4) | instskip(NEXT) | instid1(VALU_DEP_2)
	v_bfe_u32 v48, v39, 20, 1
	v_cmp_eq_u32_e64 s14, v36, v49
	s_delay_alu instid0(VALU_DEP_2) | instskip(NEXT) | instid1(VALU_DEP_1)
	v_add_nc_u32_e32 v38, -1, v48
	v_cndmask_b32_e64 v36, 0, v38, s14
	v_lshrrev_b32_e32 v38, 23, v39
	s_mov_b32 s14, exec_lo
	s_delay_alu instid0(VALU_DEP_2) | instskip(NEXT) | instid1(VALU_DEP_2)
	v_add_nc_u32_e32 v36, v36, v39
	v_xor_b32_e32 v38, 1, v38
	s_delay_alu instid0(VALU_DEP_2) | instskip(NEXT) | instid1(VALU_DEP_1)
	v_and_b32_e32 v8, 0xfffff, v36
	v_add_nc_u32_e32 v36, v8, v39
                                        ; implicit-def: $vgpr8
	s_delay_alu instid0(VALU_DEP_3)
	v_cmpx_ne_u32_e64 v37, v38
	s_xor_b32 s14, exec_lo, s14
; %bb.4960:                             ;   in Loop: Header=BB6_4901 Depth=3
	s_delay_alu instid0(VALU_DEP_2) | instskip(SKIP_2) | instid1(VALU_DEP_2)
	v_cmp_lt_u32_e32 vcc_lo, 0xffffff, v36
	v_sub_nc_u32_e32 v8, v37, v38
	v_cndmask_b32_e64 v37, 0, 1, vcc_lo
	v_add_co_ci_u32_e32 v8, vcc_lo, 0, v8, vcc_lo
	s_delay_alu instid0(VALU_DEP_2)
	v_lshrrev_b32_e32 v36, v37, v36
; %bb.4961:                             ;   in Loop: Header=BB6_4901 Depth=3
	s_and_not1_saveexec_b32 s14, s14
; %bb.4962:                             ;   in Loop: Header=BB6_4901 Depth=3
	s_delay_alu instid0(VALU_DEP_1)
	v_bfe_u32 v8, v36, 23, 1
; %bb.4963:                             ;   in Loop: Header=BB6_4901 Depth=3
	s_or_b32 exec_lo, exec_lo, s14
	v_lshrrev_b32_e32 v36, 20, v36
	s_delay_alu instid0(VALU_DEP_2) | instskip(SKIP_2) | instid1(VALU_DEP_4)
	v_cmp_gt_i32_e32 vcc_lo, 16, v8
	v_lshrrev_b32_e32 v12, 24, v12
	v_min_i32_e32 v37, 15, v8
	v_cndmask_b32_e32 v36, 7, v36, vcc_lo
	s_delay_alu instid0(VALU_DEP_3) | instskip(NEXT) | instid1(VALU_DEP_3)
	v_and_b32_e32 v12, 0x80, v12
	v_lshlrev_b32_e32 v37, 3, v37
	s_delay_alu instid0(VALU_DEP_3) | instskip(SKIP_1) | instid1(VALU_DEP_2)
	v_and_b32_e32 v38, 7, v36
	v_or_b32_e32 v8, v8, v36
	v_or3_b32 v12, v37, v12, v38
	s_delay_alu instid0(VALU_DEP_2) | instskip(NEXT) | instid1(VALU_DEP_2)
	v_cmp_ne_u32_e32 vcc_lo, 0, v8
	v_cndmask_b32_e32 v8, 0, v12, vcc_lo
.LBB6_4964:                             ;   in Loop: Header=BB6_4901 Depth=3
	s_or_b32 exec_lo, exec_lo, s31
.LBB6_4965:                             ;   in Loop: Header=BB6_4901 Depth=3
	s_delay_alu instid0(SALU_CYCLE_1) | instskip(SKIP_3) | instid1(VALU_DEP_1)
	s_or_b32 exec_lo, exec_lo, s15
	v_and_b32_e32 v36, 0xff, v13
	s_mov_b32 s14, 0
	s_mov_b32 s31, exec_lo
                                        ; implicit-def: $sgpr15
	v_cmpx_lt_i16_e32 0x7f, v36
	s_xor_b32 s31, exec_lo, s31
	s_cbranch_execnz .LBB6_5192
; %bb.4966:                             ;   in Loop: Header=BB6_4901 Depth=3
	s_or_saveexec_b32 s31, s31
	v_mov_b32_e32 v12, s15
	s_xor_b32 exec_lo, exec_lo, s31
	s_cbranch_execnz .LBB6_5195
.LBB6_4967:                             ;   in Loop: Header=BB6_4901 Depth=3
	s_or_b32 exec_lo, exec_lo, s31
	s_and_saveexec_b32 s15, s14
	s_cbranch_execz .LBB6_4969
.LBB6_4968:                             ;   in Loop: Header=BB6_4901 Depth=3
	v_and_b32_e32 v12, 7, v13
	v_bfe_u32 v38, v13, 3, 4
	v_lshlrev_b32_e32 v39, 24, v13
	s_delay_alu instid0(VALU_DEP_3) | instskip(NEXT) | instid1(VALU_DEP_3)
	v_clz_i32_u32_e32 v36, v12
	v_cmp_eq_u32_e32 vcc_lo, 0, v38
	s_delay_alu instid0(VALU_DEP_2) | instskip(NEXT) | instid1(VALU_DEP_1)
	v_min_u32_e32 v36, 32, v36
	v_subrev_nc_u32_e32 v37, 28, v36
	v_sub_nc_u32_e32 v36, 29, v36
	s_delay_alu instid0(VALU_DEP_1) | instskip(NEXT) | instid1(VALU_DEP_1)
	v_dual_cndmask_b32 v36, v38, v36 :: v_dual_lshlrev_b32 v37, v37, v13
	v_and_b32_e32 v37, 7, v37
	s_delay_alu instid0(VALU_DEP_2) | instskip(NEXT) | instid1(VALU_DEP_2)
	v_lshl_add_u32 v36, v36, 23, 0x3b800000
	v_dual_cndmask_b32 v12, v12, v37 :: v_dual_and_b32 v37, 0x80000000, v39
	s_delay_alu instid0(VALU_DEP_1) | instskip(NEXT) | instid1(VALU_DEP_1)
	v_lshlrev_b32_e32 v12, 20, v12
	v_or3_b32 v12, v37, v36, v12
.LBB6_4969:                             ;   in Loop: Header=BB6_4901 Depth=3
	s_or_b32 exec_lo, exec_lo, s15
	v_and_b32_e32 v37, 0xff, v9
	s_mov_b32 s14, 0
	s_mov_b32 s31, exec_lo
                                        ; implicit-def: $sgpr15
	s_delay_alu instid0(VALU_DEP_1)
	v_cmpx_lt_i16_e32 0x7f, v37
	s_xor_b32 s31, exec_lo, s31
	s_cbranch_execnz .LBB6_5196
; %bb.4970:                             ;   in Loop: Header=BB6_4901 Depth=3
	s_or_saveexec_b32 s31, s31
	v_mov_b32_e32 v36, s15
	s_xor_b32 exec_lo, exec_lo, s31
	s_cbranch_execnz .LBB6_5199
.LBB6_4971:                             ;   in Loop: Header=BB6_4901 Depth=3
	s_or_b32 exec_lo, exec_lo, s31
	s_and_saveexec_b32 s15, s14
	s_cbranch_execz .LBB6_4973
.LBB6_4972:                             ;   in Loop: Header=BB6_4901 Depth=3
	v_and_b32_e32 v36, 7, v9
	v_bfe_u32 v39, v9, 3, 4
	v_lshlrev_b32_e32 v48, 24, v9
	s_delay_alu instid0(VALU_DEP_3) | instskip(NEXT) | instid1(VALU_DEP_3)
	v_clz_i32_u32_e32 v37, v36
	v_cmp_eq_u32_e32 vcc_lo, 0, v39
	s_delay_alu instid0(VALU_DEP_2) | instskip(NEXT) | instid1(VALU_DEP_1)
	v_min_u32_e32 v37, 32, v37
	v_subrev_nc_u32_e32 v38, 28, v37
	v_sub_nc_u32_e32 v37, 29, v37
	s_delay_alu instid0(VALU_DEP_2) | instskip(NEXT) | instid1(VALU_DEP_1)
	v_lshlrev_b32_e32 v38, v38, v9
	v_dual_cndmask_b32 v37, v39, v37 :: v_dual_and_b32 v38, 7, v38
	s_delay_alu instid0(VALU_DEP_1) | instskip(NEXT) | instid1(VALU_DEP_2)
	v_lshl_add_u32 v37, v37, 23, 0x3b800000
	v_cndmask_b32_e32 v36, v36, v38, vcc_lo
	v_and_b32_e32 v38, 0x80000000, v48
	s_delay_alu instid0(VALU_DEP_2) | instskip(NEXT) | instid1(VALU_DEP_1)
	v_lshlrev_b32_e32 v36, 20, v36
	v_or3_b32 v36, v38, v37, v36
.LBB6_4973:                             ;   in Loop: Header=BB6_4901 Depth=3
	s_or_b32 exec_lo, exec_lo, s15
	s_delay_alu instid0(VALU_DEP_1) | instskip(NEXT) | instid1(VALU_DEP_1)
	v_add_f32_e32 v36, v12, v36
	v_and_b32_e32 v12, 0x7f800000, v36
	s_delay_alu instid0(VALU_DEP_1)
	v_cmp_ne_u32_e32 vcc_lo, 0x7f800000, v12
	v_mov_b32_e32 v12, 0x80
	s_and_saveexec_b32 s15, vcc_lo
	s_cbranch_execz .LBB6_4981
; %bb.4974:                             ;   in Loop: Header=BB6_4901 Depth=3
	v_mov_b32_e32 v12, 0
	s_mov_b32 s31, exec_lo
	v_cmpx_ne_u32_e32 0, v36
	s_cbranch_execz .LBB6_4980
; %bb.4975:                             ;   in Loop: Header=BB6_4901 Depth=3
	v_bfe_u32 v12, v36, 23, 8
	s_delay_alu instid0(VALU_DEP_1) | instskip(SKIP_1) | instid1(VALU_DEP_2)
	v_sub_nc_u32_e32 v38, 0x78, v12
	v_cmp_gt_u32_e32 vcc_lo, 0x79, v12
	v_dual_cndmask_b32 v38, 0, v38 :: v_dual_and_b32 v37, 0x7fffff, v36
	s_delay_alu instid0(VALU_DEP_1) | instskip(SKIP_2) | instid1(VALU_DEP_4)
	v_or_b32_e32 v39, 0x800000, v37
	v_cmp_eq_u32_e32 vcc_lo, 0, v12
	v_add_nc_u32_e32 v12, 0xffffff89, v12
	v_cndmask_b32_e64 v38, v38, 0x77, vcc_lo
	s_delay_alu instid0(VALU_DEP_4) | instskip(NEXT) | instid1(VALU_DEP_3)
	v_cndmask_b32_e32 v37, v39, v37, vcc_lo
	v_cndmask_b32_e64 v12, v12, 0xffffff8a, vcc_lo
	s_delay_alu instid0(VALU_DEP_3) | instskip(NEXT) | instid1(VALU_DEP_3)
	v_lshl_add_u32 v39, 0x100000, v38, -1
	v_lshrrev_b32_e32 v48, v38, v37
	v_lshlrev_b32_e64 v50, v38, 0x80000
	s_delay_alu instid0(VALU_DEP_4) | instskip(NEXT) | instid1(VALU_DEP_4)
	v_add_nc_u32_e32 v38, v38, v12
	v_and_b32_e32 v37, v39, v37
	s_delay_alu instid0(VALU_DEP_4) | instskip(NEXT) | instid1(VALU_DEP_2)
	v_bfe_u32 v49, v48, 20, 1
	v_cmp_eq_u32_e64 s14, v37, v50
	s_delay_alu instid0(VALU_DEP_2) | instskip(NEXT) | instid1(VALU_DEP_1)
	v_add_nc_u32_e32 v39, -1, v49
	v_cndmask_b32_e64 v37, 0, v39, s14
	v_lshrrev_b32_e32 v39, 23, v48
	s_mov_b32 s14, exec_lo
	s_delay_alu instid0(VALU_DEP_2) | instskip(NEXT) | instid1(VALU_DEP_2)
	v_add_nc_u32_e32 v37, v37, v48
	v_xor_b32_e32 v39, 1, v39
	s_delay_alu instid0(VALU_DEP_2) | instskip(NEXT) | instid1(VALU_DEP_1)
	v_and_b32_e32 v12, 0xfffff, v37
	v_add_nc_u32_e32 v37, v12, v48
                                        ; implicit-def: $vgpr12
	s_delay_alu instid0(VALU_DEP_3)
	v_cmpx_ne_u32_e64 v38, v39
	s_xor_b32 s14, exec_lo, s14
; %bb.4976:                             ;   in Loop: Header=BB6_4901 Depth=3
	s_delay_alu instid0(VALU_DEP_2) | instskip(SKIP_2) | instid1(VALU_DEP_2)
	v_cmp_lt_u32_e32 vcc_lo, 0xffffff, v37
	v_sub_nc_u32_e32 v12, v38, v39
	v_cndmask_b32_e64 v38, 0, 1, vcc_lo
	v_add_co_ci_u32_e32 v12, vcc_lo, 0, v12, vcc_lo
	s_delay_alu instid0(VALU_DEP_2)
	v_lshrrev_b32_e32 v37, v38, v37
; %bb.4977:                             ;   in Loop: Header=BB6_4901 Depth=3
	s_and_not1_saveexec_b32 s14, s14
; %bb.4978:                             ;   in Loop: Header=BB6_4901 Depth=3
	s_delay_alu instid0(VALU_DEP_1)
	v_bfe_u32 v12, v37, 23, 1
; %bb.4979:                             ;   in Loop: Header=BB6_4901 Depth=3
	s_or_b32 exec_lo, exec_lo, s14
	v_lshrrev_b32_e32 v37, 20, v37
	s_delay_alu instid0(VALU_DEP_2) | instskip(SKIP_2) | instid1(VALU_DEP_2)
	v_cmp_gt_i32_e32 vcc_lo, 16, v12
	v_lshrrev_b32_e32 v36, 24, v36
	v_min_i32_e32 v38, 15, v12
	v_dual_cndmask_b32 v37, 7, v37 :: v_dual_and_b32 v36, 0x80, v36
	s_delay_alu instid0(VALU_DEP_2) | instskip(NEXT) | instid1(VALU_DEP_2)
	v_lshlrev_b32_e32 v38, 3, v38
	v_or_b32_e32 v12, v12, v37
	s_delay_alu instid0(VALU_DEP_1) | instskip(SKIP_1) | instid1(VALU_DEP_1)
	v_cmp_ne_u32_e32 vcc_lo, 0, v12
	v_and_b32_e32 v39, 7, v37
	v_or3_b32 v36, v38, v36, v39
	s_delay_alu instid0(VALU_DEP_1)
	v_cndmask_b32_e32 v12, 0, v36, vcc_lo
.LBB6_4980:                             ;   in Loop: Header=BB6_4901 Depth=3
	s_or_b32 exec_lo, exec_lo, s31
.LBB6_4981:                             ;   in Loop: Header=BB6_4901 Depth=3
	s_delay_alu instid0(SALU_CYCLE_1) | instskip(SKIP_3) | instid1(VALU_DEP_1)
	s_or_b32 exec_lo, exec_lo, s15
	v_lshrrev_b16 v37, 8, v13
	s_mov_b32 s14, 0
	s_mov_b32 s31, exec_lo
                                        ; implicit-def: $sgpr15
	v_cmpx_lt_i16_e32 0x7f, v37
	s_xor_b32 s31, exec_lo, s31
	s_cbranch_execnz .LBB6_5200
; %bb.4982:                             ;   in Loop: Header=BB6_4901 Depth=3
	s_or_saveexec_b32 s31, s31
	v_mov_b32_e32 v36, s15
	s_xor_b32 exec_lo, exec_lo, s31
	s_cbranch_execnz .LBB6_5203
.LBB6_4983:                             ;   in Loop: Header=BB6_4901 Depth=3
	s_or_b32 exec_lo, exec_lo, s31
	s_and_saveexec_b32 s15, s14
	s_cbranch_execz .LBB6_4985
.LBB6_4984:                             ;   in Loop: Header=BB6_4901 Depth=3
	v_and_b32_e32 v36, 0xffff, v37
	s_delay_alu instid0(VALU_DEP_1) | instskip(NEXT) | instid1(VALU_DEP_1)
	v_and_b32_e32 v38, 7, v36
	v_clz_i32_u32_e32 v39, v38
	s_delay_alu instid0(VALU_DEP_1) | instskip(NEXT) | instid1(VALU_DEP_1)
	v_min_u32_e32 v39, 32, v39
	v_subrev_nc_u32_e32 v48, 28, v39
	v_sub_nc_u32_e32 v39, 29, v39
	s_delay_alu instid0(VALU_DEP_2) | instskip(SKIP_1) | instid1(VALU_DEP_2)
	v_lshlrev_b32_e32 v48, v48, v36
	v_bfe_u32 v36, v36, 3, 4
	v_and_b32_e32 v48, 7, v48
	s_delay_alu instid0(VALU_DEP_2) | instskip(SKIP_1) | instid1(VALU_DEP_1)
	v_cmp_eq_u32_e32 vcc_lo, 0, v36
	v_dual_cndmask_b32 v36, v36, v39 :: v_dual_lshlrev_b32 v37, 24, v37
	v_dual_cndmask_b32 v38, v38, v48 :: v_dual_and_b32 v37, 0x80000000, v37
	s_delay_alu instid0(VALU_DEP_2) | instskip(NEXT) | instid1(VALU_DEP_2)
	v_lshl_add_u32 v36, v36, 23, 0x3b800000
	v_lshlrev_b32_e32 v38, 20, v38
	s_delay_alu instid0(VALU_DEP_1)
	v_or3_b32 v36, v37, v36, v38
.LBB6_4985:                             ;   in Loop: Header=BB6_4901 Depth=3
	s_or_b32 exec_lo, exec_lo, s15
	v_lshrrev_b16 v37, 8, v9
	s_mov_b32 s14, 0
	s_mov_b32 s31, exec_lo
                                        ; implicit-def: $sgpr15
	s_delay_alu instid0(VALU_DEP_1)
	v_cmpx_lt_i16_e32 0x7f, v37
	s_xor_b32 s31, exec_lo, s31
	s_cbranch_execnz .LBB6_5204
; %bb.4986:                             ;   in Loop: Header=BB6_4901 Depth=3
	s_or_saveexec_b32 s31, s31
	v_mov_b32_e32 v38, s15
	s_xor_b32 exec_lo, exec_lo, s31
	s_cbranch_execnz .LBB6_5207
.LBB6_4987:                             ;   in Loop: Header=BB6_4901 Depth=3
	s_or_b32 exec_lo, exec_lo, s31
	s_and_saveexec_b32 s15, s14
	s_cbranch_execz .LBB6_4989
.LBB6_4988:                             ;   in Loop: Header=BB6_4901 Depth=3
	v_and_b32_e32 v38, 0xffff, v37
	v_lshlrev_b32_e32 v37, 24, v37
	s_delay_alu instid0(VALU_DEP_2) | instskip(NEXT) | instid1(VALU_DEP_2)
	v_and_b32_e32 v39, 7, v38
	v_and_b32_e32 v37, 0x80000000, v37
	s_delay_alu instid0(VALU_DEP_2) | instskip(NEXT) | instid1(VALU_DEP_1)
	v_clz_i32_u32_e32 v48, v39
	v_min_u32_e32 v48, 32, v48
	s_delay_alu instid0(VALU_DEP_1) | instskip(SKIP_1) | instid1(VALU_DEP_2)
	v_subrev_nc_u32_e32 v49, 28, v48
	v_sub_nc_u32_e32 v48, 29, v48
	v_lshlrev_b32_e32 v49, v49, v38
	v_bfe_u32 v38, v38, 3, 4
	s_delay_alu instid0(VALU_DEP_2) | instskip(NEXT) | instid1(VALU_DEP_2)
	v_and_b32_e32 v49, 7, v49
	v_cmp_eq_u32_e32 vcc_lo, 0, v38
	s_delay_alu instid0(VALU_DEP_2) | instskip(NEXT) | instid1(VALU_DEP_1)
	v_dual_cndmask_b32 v38, v38, v48 :: v_dual_cndmask_b32 v39, v39, v49
	v_lshl_add_u32 v38, v38, 23, 0x3b800000
	s_delay_alu instid0(VALU_DEP_2) | instskip(NEXT) | instid1(VALU_DEP_1)
	v_lshlrev_b32_e32 v39, 20, v39
	v_or3_b32 v38, v37, v38, v39
.LBB6_4989:                             ;   in Loop: Header=BB6_4901 Depth=3
	s_or_b32 exec_lo, exec_lo, s15
	s_delay_alu instid0(VALU_DEP_1) | instskip(NEXT) | instid1(VALU_DEP_1)
	v_add_f32_e32 v37, v36, v38
	v_and_b32_e32 v36, 0x7f800000, v37
	s_delay_alu instid0(VALU_DEP_1)
	v_cmp_ne_u32_e32 vcc_lo, 0x7f800000, v36
	v_mov_b32_e32 v36, 0x8000
	s_and_saveexec_b32 s15, vcc_lo
	s_cbranch_execz .LBB6_4997
; %bb.4990:                             ;   in Loop: Header=BB6_4901 Depth=3
	v_mov_b32_e32 v36, 0
	s_mov_b32 s31, exec_lo
	v_cmpx_ne_u32_e32 0, v37
	s_cbranch_execz .LBB6_4996
; %bb.4991:                             ;   in Loop: Header=BB6_4901 Depth=3
	v_bfe_u32 v36, v37, 23, 8
	s_delay_alu instid0(VALU_DEP_1) | instskip(SKIP_1) | instid1(VALU_DEP_2)
	v_sub_nc_u32_e32 v39, 0x78, v36
	v_cmp_gt_u32_e32 vcc_lo, 0x79, v36
	v_dual_cndmask_b32 v39, 0, v39 :: v_dual_and_b32 v38, 0x7fffff, v37
	s_delay_alu instid0(VALU_DEP_1) | instskip(SKIP_2) | instid1(VALU_DEP_4)
	v_or_b32_e32 v48, 0x800000, v38
	v_cmp_eq_u32_e32 vcc_lo, 0, v36
	v_add_nc_u32_e32 v36, 0xffffff89, v36
	v_cndmask_b32_e64 v39, v39, 0x77, vcc_lo
	s_delay_alu instid0(VALU_DEP_2) | instskip(SKIP_1) | instid1(VALU_DEP_3)
	v_cndmask_b32_e64 v36, v36, 0xffffff8a, vcc_lo
	v_cndmask_b32_e32 v38, v48, v38, vcc_lo
	v_lshl_add_u32 v48, 0x100000, v39, -1
	v_lshlrev_b32_e64 v51, v39, 0x80000
	s_delay_alu instid0(VALU_DEP_3) | instskip(SKIP_1) | instid1(VALU_DEP_4)
	v_lshrrev_b32_e32 v49, v39, v38
	v_add_nc_u32_e32 v39, v39, v36
	v_and_b32_e32 v38, v48, v38
	s_delay_alu instid0(VALU_DEP_3) | instskip(NEXT) | instid1(VALU_DEP_2)
	v_bfe_u32 v50, v49, 20, 1
	v_cmp_eq_u32_e64 s14, v38, v51
	s_delay_alu instid0(VALU_DEP_2) | instskip(NEXT) | instid1(VALU_DEP_1)
	v_add_nc_u32_e32 v48, -1, v50
	v_cndmask_b32_e64 v38, 0, v48, s14
	v_lshrrev_b32_e32 v48, 23, v49
	s_mov_b32 s14, exec_lo
	s_delay_alu instid0(VALU_DEP_2) | instskip(NEXT) | instid1(VALU_DEP_2)
	v_add_nc_u32_e32 v38, v38, v49
	v_xor_b32_e32 v48, 1, v48
	s_delay_alu instid0(VALU_DEP_2) | instskip(NEXT) | instid1(VALU_DEP_1)
	v_and_b32_e32 v36, 0xfffff, v38
	v_add_nc_u32_e32 v38, v36, v49
                                        ; implicit-def: $vgpr36
	s_delay_alu instid0(VALU_DEP_3)
	v_cmpx_ne_u32_e64 v39, v48
	s_xor_b32 s14, exec_lo, s14
; %bb.4992:                             ;   in Loop: Header=BB6_4901 Depth=3
	s_delay_alu instid0(VALU_DEP_2) | instskip(SKIP_2) | instid1(VALU_DEP_2)
	v_cmp_lt_u32_e32 vcc_lo, 0xffffff, v38
	v_sub_nc_u32_e32 v36, v39, v48
	v_cndmask_b32_e64 v39, 0, 1, vcc_lo
	v_add_co_ci_u32_e32 v36, vcc_lo, 0, v36, vcc_lo
	s_delay_alu instid0(VALU_DEP_2)
	v_lshrrev_b32_e32 v38, v39, v38
; %bb.4993:                             ;   in Loop: Header=BB6_4901 Depth=3
	s_and_not1_saveexec_b32 s14, s14
; %bb.4994:                             ;   in Loop: Header=BB6_4901 Depth=3
	s_delay_alu instid0(VALU_DEP_1)
	v_bfe_u32 v36, v38, 23, 1
; %bb.4995:                             ;   in Loop: Header=BB6_4901 Depth=3
	s_or_b32 exec_lo, exec_lo, s14
	v_lshrrev_b32_e32 v38, 20, v38
	s_delay_alu instid0(VALU_DEP_2) | instskip(SKIP_2) | instid1(VALU_DEP_2)
	v_cmp_gt_i32_e32 vcc_lo, 16, v36
	v_min_i32_e32 v39, 15, v36
	v_lshrrev_b32_e32 v37, 24, v37
	v_dual_cndmask_b32 v38, 7, v38 :: v_dual_lshlrev_b32 v39, 3, v39
	s_delay_alu instid0(VALU_DEP_2) | instskip(NEXT) | instid1(VALU_DEP_2)
	v_and_b32_e32 v37, 0x80, v37
	v_or_b32_e32 v36, v36, v38
	v_and_b32_e32 v48, 7, v38
	s_delay_alu instid0(VALU_DEP_2) | instskip(SKIP_1) | instid1(VALU_DEP_1)
	v_cmp_ne_u32_e32 vcc_lo, 0, v36
	v_and_b32_e32 v39, 0xf8, v39
	v_or3_b32 v37, v37, v39, v48
	s_delay_alu instid0(VALU_DEP_1) | instskip(NEXT) | instid1(VALU_DEP_1)
	v_lshlrev_b32_e32 v37, 8, v37
	v_cndmask_b32_e32 v36, 0, v37, vcc_lo
.LBB6_4996:                             ;   in Loop: Header=BB6_4901 Depth=3
	s_or_b32 exec_lo, exec_lo, s31
.LBB6_4997:                             ;   in Loop: Header=BB6_4901 Depth=3
	s_delay_alu instid0(SALU_CYCLE_1) | instskip(SKIP_3) | instid1(VALU_DEP_1)
	s_or_b32 exec_lo, exec_lo, s15
	v_lshrrev_b32_e32 v38, 16, v13
	s_mov_b32 s14, 0
	s_mov_b32 s31, exec_lo
                                        ; implicit-def: $sgpr15
	v_and_b32_e32 v39, 0xff, v38
	s_delay_alu instid0(VALU_DEP_1)
	v_cmpx_lt_i16_e32 0x7f, v39
	s_xor_b32 s31, exec_lo, s31
	s_cbranch_execnz .LBB6_5208
; %bb.4998:                             ;   in Loop: Header=BB6_4901 Depth=3
	s_or_saveexec_b32 s31, s31
	v_mov_b32_e32 v37, s15
	s_xor_b32 exec_lo, exec_lo, s31
	s_cbranch_execnz .LBB6_5211
.LBB6_4999:                             ;   in Loop: Header=BB6_4901 Depth=3
	s_or_b32 exec_lo, exec_lo, s31
	s_and_saveexec_b32 s15, s14
	s_cbranch_execz .LBB6_5001
.LBB6_5000:                             ;   in Loop: Header=BB6_4901 Depth=3
	v_bfe_u32 v37, v13, 16, 3
	v_lshlrev_b32_e32 v49, 8, v13
	s_delay_alu instid0(VALU_DEP_2) | instskip(NEXT) | instid1(VALU_DEP_1)
	v_clz_i32_u32_e32 v39, v37
	v_min_u32_e32 v39, 32, v39
	s_delay_alu instid0(VALU_DEP_1) | instskip(SKIP_1) | instid1(VALU_DEP_2)
	v_subrev_nc_u32_e32 v48, 28, v39
	v_sub_nc_u32_e32 v39, 29, v39
	v_lshlrev_b32_e32 v38, v48, v38
	v_bfe_u32 v48, v13, 19, 4
	s_delay_alu instid0(VALU_DEP_1) | instskip(NEXT) | instid1(VALU_DEP_3)
	v_cmp_eq_u32_e32 vcc_lo, 0, v48
	v_dual_cndmask_b32 v39, v48, v39 :: v_dual_and_b32 v38, 7, v38
	s_delay_alu instid0(VALU_DEP_1) | instskip(NEXT) | instid1(VALU_DEP_2)
	v_dual_cndmask_b32 v37, v37, v38 :: v_dual_and_b32 v38, 0x80000000, v49
	v_lshl_add_u32 v39, v39, 23, 0x3b800000
	s_delay_alu instid0(VALU_DEP_2) | instskip(NEXT) | instid1(VALU_DEP_1)
	v_lshlrev_b32_e32 v37, 20, v37
	v_or3_b32 v37, v38, v39, v37
.LBB6_5001:                             ;   in Loop: Header=BB6_4901 Depth=3
	s_or_b32 exec_lo, exec_lo, s15
	v_lshrrev_b32_e32 v38, 16, v9
	s_mov_b32 s14, 0
	s_mov_b32 s31, exec_lo
                                        ; implicit-def: $sgpr15
	s_delay_alu instid0(VALU_DEP_1) | instskip(NEXT) | instid1(VALU_DEP_1)
	v_and_b32_e32 v48, 0xff, v38
	v_cmpx_lt_i16_e32 0x7f, v48
	s_xor_b32 s31, exec_lo, s31
	s_cbranch_execnz .LBB6_5212
; %bb.5002:                             ;   in Loop: Header=BB6_4901 Depth=3
	s_or_saveexec_b32 s31, s31
	v_mov_b32_e32 v39, s15
	s_xor_b32 exec_lo, exec_lo, s31
	s_cbranch_execnz .LBB6_5215
.LBB6_5003:                             ;   in Loop: Header=BB6_4901 Depth=3
	s_or_b32 exec_lo, exec_lo, s31
	s_and_saveexec_b32 s15, s14
	s_cbranch_execz .LBB6_5005
.LBB6_5004:                             ;   in Loop: Header=BB6_4901 Depth=3
	v_bfe_u32 v39, v9, 16, 3
	v_lshlrev_b32_e32 v50, 8, v9
	s_delay_alu instid0(VALU_DEP_2) | instskip(NEXT) | instid1(VALU_DEP_1)
	v_clz_i32_u32_e32 v48, v39
	v_min_u32_e32 v48, 32, v48
	s_delay_alu instid0(VALU_DEP_1) | instskip(SKIP_1) | instid1(VALU_DEP_2)
	v_subrev_nc_u32_e32 v49, 28, v48
	v_sub_nc_u32_e32 v48, 29, v48
	v_lshlrev_b32_e32 v38, v49, v38
	v_bfe_u32 v49, v9, 19, 4
	s_delay_alu instid0(VALU_DEP_2) | instskip(NEXT) | instid1(VALU_DEP_2)
	v_and_b32_e32 v38, 7, v38
	v_cmp_eq_u32_e32 vcc_lo, 0, v49
	v_cndmask_b32_e32 v48, v49, v48, vcc_lo
	s_delay_alu instid0(VALU_DEP_3) | instskip(SKIP_1) | instid1(VALU_DEP_3)
	v_cndmask_b32_e32 v38, v39, v38, vcc_lo
	v_and_b32_e32 v39, 0x80000000, v50
	v_lshl_add_u32 v48, v48, 23, 0x3b800000
	s_delay_alu instid0(VALU_DEP_3) | instskip(NEXT) | instid1(VALU_DEP_1)
	v_lshlrev_b32_e32 v38, 20, v38
	v_or3_b32 v39, v39, v48, v38
.LBB6_5005:                             ;   in Loop: Header=BB6_4901 Depth=3
	s_or_b32 exec_lo, exec_lo, s15
	s_delay_alu instid0(VALU_DEP_1) | instskip(NEXT) | instid1(VALU_DEP_1)
	v_add_f32_e32 v38, v37, v39
	v_and_b32_e32 v37, 0x7f800000, v38
	s_delay_alu instid0(VALU_DEP_1)
	v_cmp_ne_u32_e32 vcc_lo, 0x7f800000, v37
	v_mov_b32_e32 v37, 0x80
	s_and_saveexec_b32 s15, vcc_lo
	s_cbranch_execz .LBB6_5013
; %bb.5006:                             ;   in Loop: Header=BB6_4901 Depth=3
	v_mov_b32_e32 v37, 0
	s_mov_b32 s31, exec_lo
	v_cmpx_ne_u32_e32 0, v38
	s_cbranch_execz .LBB6_5012
; %bb.5007:                             ;   in Loop: Header=BB6_4901 Depth=3
	v_bfe_u32 v37, v38, 23, 8
	s_delay_alu instid0(VALU_DEP_1) | instskip(SKIP_1) | instid1(VALU_DEP_2)
	v_sub_nc_u32_e32 v48, 0x78, v37
	v_cmp_gt_u32_e32 vcc_lo, 0x79, v37
	v_dual_cndmask_b32 v48, 0, v48 :: v_dual_and_b32 v39, 0x7fffff, v38
	s_delay_alu instid0(VALU_DEP_1) | instskip(SKIP_2) | instid1(VALU_DEP_4)
	v_or_b32_e32 v49, 0x800000, v39
	v_cmp_eq_u32_e32 vcc_lo, 0, v37
	v_add_nc_u32_e32 v37, 0xffffff89, v37
	v_cndmask_b32_e64 v48, v48, 0x77, vcc_lo
	s_delay_alu instid0(VALU_DEP_2) | instskip(SKIP_1) | instid1(VALU_DEP_3)
	v_cndmask_b32_e64 v37, v37, 0xffffff8a, vcc_lo
	v_cndmask_b32_e32 v39, v49, v39, vcc_lo
	v_lshl_add_u32 v49, 0x100000, v48, -1
	v_lshlrev_b32_e64 v101, v48, 0x80000
	s_delay_alu instid0(VALU_DEP_3) | instskip(SKIP_1) | instid1(VALU_DEP_4)
	v_lshrrev_b32_e32 v50, v48, v39
	v_add_nc_u32_e32 v48, v48, v37
	v_and_b32_e32 v39, v49, v39
	s_delay_alu instid0(VALU_DEP_3) | instskip(NEXT) | instid1(VALU_DEP_2)
	v_bfe_u32 v51, v50, 20, 1
	v_cmp_eq_u32_e64 s14, v39, v101
	s_delay_alu instid0(VALU_DEP_2) | instskip(NEXT) | instid1(VALU_DEP_1)
	v_add_nc_u32_e32 v49, -1, v51
	v_cndmask_b32_e64 v39, 0, v49, s14
	v_lshrrev_b32_e32 v49, 23, v50
	s_mov_b32 s14, exec_lo
	s_delay_alu instid0(VALU_DEP_2) | instskip(NEXT) | instid1(VALU_DEP_2)
	v_add_nc_u32_e32 v39, v39, v50
	v_xor_b32_e32 v49, 1, v49
	s_delay_alu instid0(VALU_DEP_2) | instskip(NEXT) | instid1(VALU_DEP_1)
	v_and_b32_e32 v37, 0xfffff, v39
	v_add_nc_u32_e32 v39, v37, v50
                                        ; implicit-def: $vgpr37
	s_delay_alu instid0(VALU_DEP_3)
	v_cmpx_ne_u32_e64 v48, v49
	s_xor_b32 s14, exec_lo, s14
; %bb.5008:                             ;   in Loop: Header=BB6_4901 Depth=3
	s_delay_alu instid0(VALU_DEP_2) | instskip(SKIP_2) | instid1(VALU_DEP_2)
	v_cmp_lt_u32_e32 vcc_lo, 0xffffff, v39
	v_sub_nc_u32_e32 v37, v48, v49
	v_cndmask_b32_e64 v48, 0, 1, vcc_lo
	v_add_co_ci_u32_e32 v37, vcc_lo, 0, v37, vcc_lo
	s_delay_alu instid0(VALU_DEP_2)
	v_lshrrev_b32_e32 v39, v48, v39
; %bb.5009:                             ;   in Loop: Header=BB6_4901 Depth=3
	s_and_not1_saveexec_b32 s14, s14
; %bb.5010:                             ;   in Loop: Header=BB6_4901 Depth=3
	s_delay_alu instid0(VALU_DEP_1)
	v_bfe_u32 v37, v39, 23, 1
; %bb.5011:                             ;   in Loop: Header=BB6_4901 Depth=3
	s_or_b32 exec_lo, exec_lo, s14
	v_lshrrev_b32_e32 v39, 20, v39
	s_delay_alu instid0(VALU_DEP_2) | instskip(SKIP_2) | instid1(VALU_DEP_2)
	v_cmp_gt_i32_e32 vcc_lo, 16, v37
	v_min_i32_e32 v48, 15, v37
	v_lshrrev_b32_e32 v38, 24, v38
	v_dual_cndmask_b32 v39, 7, v39 :: v_dual_lshlrev_b32 v48, 3, v48
	s_delay_alu instid0(VALU_DEP_2) | instskip(NEXT) | instid1(VALU_DEP_2)
	v_and_b32_e32 v38, 0x80, v38
	v_or_b32_e32 v37, v37, v39
	v_and_b32_e32 v49, 7, v39
	s_delay_alu instid0(VALU_DEP_2) | instskip(SKIP_1) | instid1(VALU_DEP_1)
	v_cmp_ne_u32_e32 vcc_lo, 0, v37
	v_and_b32_e32 v48, 0xf8, v48
	v_or3_b32 v38, v48, v38, v49
	s_delay_alu instid0(VALU_DEP_1)
	v_cndmask_b32_e32 v37, 0, v38, vcc_lo
.LBB6_5012:                             ;   in Loop: Header=BB6_4901 Depth=3
	s_or_b32 exec_lo, exec_lo, s31
.LBB6_5013:                             ;   in Loop: Header=BB6_4901 Depth=3
	s_delay_alu instid0(SALU_CYCLE_1) | instskip(SKIP_3) | instid1(VALU_DEP_1)
	s_or_b32 exec_lo, exec_lo, s15
	v_lshrrev_b32_e32 v39, 24, v13
	s_mov_b32 s14, 0
	s_mov_b32 s31, exec_lo
                                        ; implicit-def: $sgpr15
	v_cmpx_lt_i16_e32 0x7f, v39
	s_xor_b32 s31, exec_lo, s31
	s_cbranch_execnz .LBB6_5216
; %bb.5014:                             ;   in Loop: Header=BB6_4901 Depth=3
	s_or_saveexec_b32 s31, s31
	v_mov_b32_e32 v38, s15
	s_xor_b32 exec_lo, exec_lo, s31
	s_cbranch_execnz .LBB6_5219
.LBB6_5015:                             ;   in Loop: Header=BB6_4901 Depth=3
	s_or_b32 exec_lo, exec_lo, s31
	s_and_saveexec_b32 s15, s14
	s_cbranch_execz .LBB6_5017
.LBB6_5016:                             ;   in Loop: Header=BB6_4901 Depth=3
	v_bfe_u32 v38, v13, 24, 3
	s_delay_alu instid0(VALU_DEP_1) | instskip(NEXT) | instid1(VALU_DEP_1)
	v_clz_i32_u32_e32 v48, v38
	v_min_u32_e32 v48, 32, v48
	s_delay_alu instid0(VALU_DEP_1) | instskip(SKIP_1) | instid1(VALU_DEP_2)
	v_subrev_nc_u32_e32 v49, 28, v48
	v_sub_nc_u32_e32 v48, 29, v48
	v_lshlrev_b32_e32 v39, v49, v39
	v_bfe_u32 v49, v13, 27, 4
	v_and_b32_e32 v13, 0x80000000, v13
	s_delay_alu instid0(VALU_DEP_2) | instskip(NEXT) | instid1(VALU_DEP_4)
	v_cmp_eq_u32_e32 vcc_lo, 0, v49
	v_dual_cndmask_b32 v48, v49, v48 :: v_dual_and_b32 v39, 7, v39
	s_delay_alu instid0(VALU_DEP_1) | instskip(NEXT) | instid1(VALU_DEP_2)
	v_cndmask_b32_e32 v38, v38, v39, vcc_lo
	v_lshl_add_u32 v39, v48, 23, 0x3b800000
	s_delay_alu instid0(VALU_DEP_2) | instskip(NEXT) | instid1(VALU_DEP_1)
	v_lshlrev_b32_e32 v38, 20, v38
	v_or3_b32 v38, v13, v39, v38
.LBB6_5017:                             ;   in Loop: Header=BB6_4901 Depth=3
	s_or_b32 exec_lo, exec_lo, s15
	v_lshrrev_b32_e32 v13, 24, v9
	s_mov_b32 s14, 0
	s_mov_b32 s31, exec_lo
                                        ; implicit-def: $sgpr15
	s_delay_alu instid0(VALU_DEP_1)
	v_cmpx_lt_i16_e32 0x7f, v13
	s_xor_b32 s31, exec_lo, s31
	s_cbranch_execnz .LBB6_5220
; %bb.5018:                             ;   in Loop: Header=BB6_4901 Depth=3
	s_or_saveexec_b32 s31, s31
	v_mov_b32_e32 v39, s15
	s_xor_b32 exec_lo, exec_lo, s31
	s_cbranch_execnz .LBB6_5223
.LBB6_5019:                             ;   in Loop: Header=BB6_4901 Depth=3
	s_or_b32 exec_lo, exec_lo, s31
	s_and_saveexec_b32 s15, s14
	s_cbranch_execz .LBB6_5021
.LBB6_5020:                             ;   in Loop: Header=BB6_4901 Depth=3
	v_bfe_u32 v39, v9, 24, 3
	s_delay_alu instid0(VALU_DEP_1) | instskip(NEXT) | instid1(VALU_DEP_1)
	v_clz_i32_u32_e32 v48, v39
	v_min_u32_e32 v48, 32, v48
	s_delay_alu instid0(VALU_DEP_1) | instskip(SKIP_1) | instid1(VALU_DEP_2)
	v_subrev_nc_u32_e32 v49, 28, v48
	v_sub_nc_u32_e32 v48, 29, v48
	v_lshlrev_b32_e32 v13, v49, v13
	v_bfe_u32 v49, v9, 27, 4
	v_and_b32_e32 v9, 0x80000000, v9
	s_delay_alu instid0(VALU_DEP_2) | instskip(NEXT) | instid1(VALU_DEP_4)
	v_cmp_eq_u32_e32 vcc_lo, 0, v49
	v_dual_cndmask_b32 v48, v49, v48 :: v_dual_and_b32 v13, 7, v13
	s_delay_alu instid0(VALU_DEP_1) | instskip(NEXT) | instid1(VALU_DEP_2)
	v_cndmask_b32_e32 v13, v39, v13, vcc_lo
	v_lshl_add_u32 v39, v48, 23, 0x3b800000
	s_delay_alu instid0(VALU_DEP_2) | instskip(NEXT) | instid1(VALU_DEP_1)
	v_lshlrev_b32_e32 v13, 20, v13
	v_or3_b32 v39, v9, v39, v13
.LBB6_5021:                             ;   in Loop: Header=BB6_4901 Depth=3
	s_or_b32 exec_lo, exec_lo, s15
	s_delay_alu instid0(VALU_DEP_1) | instskip(NEXT) | instid1(VALU_DEP_1)
	v_add_f32_e32 v13, v38, v39
	v_and_b32_e32 v9, 0x7f800000, v13
	s_delay_alu instid0(VALU_DEP_1)
	v_cmp_ne_u32_e32 vcc_lo, 0x7f800000, v9
	v_mov_b32_e32 v9, 0x8000
	s_and_saveexec_b32 s15, vcc_lo
	s_cbranch_execz .LBB6_5029
; %bb.5022:                             ;   in Loop: Header=BB6_4901 Depth=3
	v_mov_b32_e32 v9, 0
	s_mov_b32 s31, exec_lo
	v_cmpx_ne_u32_e32 0, v13
	s_cbranch_execz .LBB6_5028
; %bb.5023:                             ;   in Loop: Header=BB6_4901 Depth=3
	v_bfe_u32 v9, v13, 23, 8
	s_delay_alu instid0(VALU_DEP_1) | instskip(SKIP_1) | instid1(VALU_DEP_2)
	v_sub_nc_u32_e32 v39, 0x78, v9
	v_cmp_gt_u32_e32 vcc_lo, 0x79, v9
	v_dual_cndmask_b32 v39, 0, v39 :: v_dual_and_b32 v38, 0x7fffff, v13
	s_delay_alu instid0(VALU_DEP_1) | instskip(SKIP_2) | instid1(VALU_DEP_4)
	v_or_b32_e32 v48, 0x800000, v38
	v_cmp_eq_u32_e32 vcc_lo, 0, v9
	v_add_nc_u32_e32 v9, 0xffffff89, v9
	v_cndmask_b32_e64 v39, v39, 0x77, vcc_lo
	s_delay_alu instid0(VALU_DEP_4) | instskip(NEXT) | instid1(VALU_DEP_3)
	v_cndmask_b32_e32 v38, v48, v38, vcc_lo
	v_cndmask_b32_e64 v9, v9, 0xffffff8a, vcc_lo
	s_delay_alu instid0(VALU_DEP_3) | instskip(NEXT) | instid1(VALU_DEP_3)
	v_lshl_add_u32 v48, 0x100000, v39, -1
	v_lshrrev_b32_e32 v49, v39, v38
	v_lshlrev_b32_e64 v51, v39, 0x80000
	s_delay_alu instid0(VALU_DEP_4) | instskip(NEXT) | instid1(VALU_DEP_4)
	v_add_nc_u32_e32 v39, v39, v9
	v_and_b32_e32 v38, v48, v38
	s_delay_alu instid0(VALU_DEP_4) | instskip(NEXT) | instid1(VALU_DEP_2)
	v_bfe_u32 v50, v49, 20, 1
	v_cmp_eq_u32_e64 s14, v38, v51
	s_delay_alu instid0(VALU_DEP_2) | instskip(NEXT) | instid1(VALU_DEP_1)
	v_add_nc_u32_e32 v48, -1, v50
	v_cndmask_b32_e64 v38, 0, v48, s14
	v_lshrrev_b32_e32 v48, 23, v49
	s_mov_b32 s14, exec_lo
	s_delay_alu instid0(VALU_DEP_2) | instskip(NEXT) | instid1(VALU_DEP_2)
	v_add_nc_u32_e32 v38, v38, v49
	v_xor_b32_e32 v48, 1, v48
	s_delay_alu instid0(VALU_DEP_2) | instskip(NEXT) | instid1(VALU_DEP_1)
	v_and_b32_e32 v9, 0xfffff, v38
	v_add_nc_u32_e32 v38, v9, v49
                                        ; implicit-def: $vgpr9
	s_delay_alu instid0(VALU_DEP_3)
	v_cmpx_ne_u32_e64 v39, v48
	s_xor_b32 s14, exec_lo, s14
; %bb.5024:                             ;   in Loop: Header=BB6_4901 Depth=3
	s_delay_alu instid0(VALU_DEP_2) | instskip(SKIP_2) | instid1(VALU_DEP_2)
	v_cmp_lt_u32_e32 vcc_lo, 0xffffff, v38
	v_sub_nc_u32_e32 v9, v39, v48
	v_cndmask_b32_e64 v39, 0, 1, vcc_lo
	v_add_co_ci_u32_e32 v9, vcc_lo, 0, v9, vcc_lo
	s_delay_alu instid0(VALU_DEP_2)
	v_lshrrev_b32_e32 v38, v39, v38
; %bb.5025:                             ;   in Loop: Header=BB6_4901 Depth=3
	s_and_not1_saveexec_b32 s14, s14
; %bb.5026:                             ;   in Loop: Header=BB6_4901 Depth=3
	s_delay_alu instid0(VALU_DEP_1)
	v_bfe_u32 v9, v38, 23, 1
; %bb.5027:                             ;   in Loop: Header=BB6_4901 Depth=3
	s_or_b32 exec_lo, exec_lo, s14
	v_lshrrev_b32_e32 v38, 20, v38
	s_delay_alu instid0(VALU_DEP_2) | instskip(SKIP_2) | instid1(VALU_DEP_2)
	v_cmp_gt_i32_e32 vcc_lo, 16, v9
	v_min_i32_e32 v39, 15, v9
	v_lshrrev_b32_e32 v13, 24, v13
	v_dual_cndmask_b32 v38, 7, v38 :: v_dual_lshlrev_b32 v39, 3, v39
	s_delay_alu instid0(VALU_DEP_2) | instskip(NEXT) | instid1(VALU_DEP_2)
	v_and_b32_e32 v13, 0x80, v13
	v_or_b32_e32 v9, v9, v38
	s_delay_alu instid0(VALU_DEP_3) | instskip(NEXT) | instid1(VALU_DEP_2)
	v_and_b32_e32 v39, 0xf8, v39
	v_cmp_ne_u32_e32 vcc_lo, 0, v9
	v_and_b32_e32 v48, 7, v38
	s_delay_alu instid0(VALU_DEP_1) | instskip(NEXT) | instid1(VALU_DEP_1)
	v_or3_b32 v13, v13, v39, v48
	v_lshlrev_b32_e32 v13, 8, v13
	s_delay_alu instid0(VALU_DEP_1)
	v_cndmask_b32_e32 v9, 0, v13, vcc_lo
.LBB6_5028:                             ;   in Loop: Header=BB6_4901 Depth=3
	s_or_b32 exec_lo, exec_lo, s31
.LBB6_5029:                             ;   in Loop: Header=BB6_4901 Depth=3
	s_delay_alu instid0(SALU_CYCLE_1) | instskip(SKIP_3) | instid1(VALU_DEP_1)
	s_or_b32 exec_lo, exec_lo, s15
	v_and_b32_e32 v38, 0xff, v14
	s_mov_b32 s14, 0
	s_mov_b32 s31, exec_lo
                                        ; implicit-def: $sgpr15
	v_cmpx_lt_i16_e32 0x7f, v38
	s_xor_b32 s31, exec_lo, s31
	s_cbranch_execnz .LBB6_5224
; %bb.5030:                             ;   in Loop: Header=BB6_4901 Depth=3
	s_or_saveexec_b32 s31, s31
	v_mov_b32_e32 v13, s15
	s_xor_b32 exec_lo, exec_lo, s31
	s_cbranch_execnz .LBB6_5227
.LBB6_5031:                             ;   in Loop: Header=BB6_4901 Depth=3
	s_or_b32 exec_lo, exec_lo, s31
	s_and_saveexec_b32 s15, s14
	s_cbranch_execz .LBB6_5033
.LBB6_5032:                             ;   in Loop: Header=BB6_4901 Depth=3
	v_and_b32_e32 v13, 7, v14
	v_bfe_u32 v48, v14, 3, 4
	v_lshlrev_b32_e32 v49, 24, v14
	s_delay_alu instid0(VALU_DEP_3) | instskip(NEXT) | instid1(VALU_DEP_3)
	v_clz_i32_u32_e32 v38, v13
	v_cmp_eq_u32_e32 vcc_lo, 0, v48
	s_delay_alu instid0(VALU_DEP_2) | instskip(NEXT) | instid1(VALU_DEP_1)
	v_min_u32_e32 v38, 32, v38
	v_subrev_nc_u32_e32 v39, 28, v38
	v_sub_nc_u32_e32 v38, 29, v38
	s_delay_alu instid0(VALU_DEP_2) | instskip(NEXT) | instid1(VALU_DEP_1)
	v_lshlrev_b32_e32 v39, v39, v14
	v_dual_cndmask_b32 v38, v48, v38 :: v_dual_and_b32 v39, 7, v39
	s_delay_alu instid0(VALU_DEP_1) | instskip(NEXT) | instid1(VALU_DEP_2)
	v_lshl_add_u32 v38, v38, 23, 0x3b800000
	v_cndmask_b32_e32 v13, v13, v39, vcc_lo
	v_and_b32_e32 v39, 0x80000000, v49
	s_delay_alu instid0(VALU_DEP_2) | instskip(NEXT) | instid1(VALU_DEP_1)
	v_lshlrev_b32_e32 v13, 20, v13
	v_or3_b32 v13, v39, v38, v13
.LBB6_5033:                             ;   in Loop: Header=BB6_4901 Depth=3
	s_or_b32 exec_lo, exec_lo, s15
	v_and_b32_e32 v39, 0xff, v10
	s_mov_b32 s14, 0
	s_mov_b32 s31, exec_lo
                                        ; implicit-def: $sgpr15
	s_delay_alu instid0(VALU_DEP_1)
	v_cmpx_lt_i16_e32 0x7f, v39
	s_xor_b32 s31, exec_lo, s31
	s_cbranch_execnz .LBB6_5228
; %bb.5034:                             ;   in Loop: Header=BB6_4901 Depth=3
	s_or_saveexec_b32 s31, s31
	v_mov_b32_e32 v38, s15
	s_xor_b32 exec_lo, exec_lo, s31
	s_cbranch_execnz .LBB6_5231
.LBB6_5035:                             ;   in Loop: Header=BB6_4901 Depth=3
	s_or_b32 exec_lo, exec_lo, s31
	s_and_saveexec_b32 s15, s14
	s_cbranch_execz .LBB6_5037
.LBB6_5036:                             ;   in Loop: Header=BB6_4901 Depth=3
	v_bfe_u32 v49, v10, 3, 4
	v_lshlrev_b32_e32 v50, 24, v10
	s_delay_alu instid0(VALU_DEP_2) | instskip(SKIP_1) | instid1(VALU_DEP_1)
	v_cmp_eq_u32_e32 vcc_lo, 0, v49
	v_and_b32_e32 v38, 7, v10
	v_clz_i32_u32_e32 v39, v38
	s_delay_alu instid0(VALU_DEP_1) | instskip(NEXT) | instid1(VALU_DEP_1)
	v_min_u32_e32 v39, 32, v39
	v_subrev_nc_u32_e32 v48, 28, v39
	v_sub_nc_u32_e32 v39, 29, v39
	s_delay_alu instid0(VALU_DEP_1) | instskip(NEXT) | instid1(VALU_DEP_1)
	v_dual_cndmask_b32 v39, v49, v39 :: v_dual_lshlrev_b32 v48, v48, v10
	v_and_b32_e32 v48, 7, v48
	s_delay_alu instid0(VALU_DEP_2) | instskip(NEXT) | instid1(VALU_DEP_2)
	v_lshl_add_u32 v39, v39, 23, 0x3b800000
	v_cndmask_b32_e32 v38, v38, v48, vcc_lo
	v_and_b32_e32 v48, 0x80000000, v50
	s_delay_alu instid0(VALU_DEP_2) | instskip(NEXT) | instid1(VALU_DEP_1)
	v_lshlrev_b32_e32 v38, 20, v38
	v_or3_b32 v38, v48, v39, v38
.LBB6_5037:                             ;   in Loop: Header=BB6_4901 Depth=3
	s_or_b32 exec_lo, exec_lo, s15
	s_delay_alu instid0(VALU_DEP_1) | instskip(NEXT) | instid1(VALU_DEP_1)
	v_add_f32_e32 v38, v13, v38
	v_and_b32_e32 v13, 0x7f800000, v38
	s_delay_alu instid0(VALU_DEP_1)
	v_cmp_ne_u32_e32 vcc_lo, 0x7f800000, v13
	v_mov_b32_e32 v13, 0x80
	s_and_saveexec_b32 s15, vcc_lo
	s_cbranch_execz .LBB6_5045
; %bb.5038:                             ;   in Loop: Header=BB6_4901 Depth=3
	v_mov_b32_e32 v13, 0
	s_mov_b32 s31, exec_lo
	v_cmpx_ne_u32_e32 0, v38
	s_cbranch_execz .LBB6_5044
; %bb.5039:                             ;   in Loop: Header=BB6_4901 Depth=3
	v_bfe_u32 v13, v38, 23, 8
	s_delay_alu instid0(VALU_DEP_1) | instskip(SKIP_1) | instid1(VALU_DEP_2)
	v_sub_nc_u32_e32 v48, 0x78, v13
	v_cmp_gt_u32_e32 vcc_lo, 0x79, v13
	v_dual_cndmask_b32 v48, 0, v48 :: v_dual_and_b32 v39, 0x7fffff, v38
	s_delay_alu instid0(VALU_DEP_1) | instskip(SKIP_2) | instid1(VALU_DEP_4)
	v_or_b32_e32 v49, 0x800000, v39
	v_cmp_eq_u32_e32 vcc_lo, 0, v13
	v_add_nc_u32_e32 v13, 0xffffff89, v13
	v_cndmask_b32_e64 v48, v48, 0x77, vcc_lo
	s_delay_alu instid0(VALU_DEP_2) | instskip(SKIP_1) | instid1(VALU_DEP_3)
	v_cndmask_b32_e64 v13, v13, 0xffffff8a, vcc_lo
	v_cndmask_b32_e32 v39, v49, v39, vcc_lo
	v_lshl_add_u32 v49, 0x100000, v48, -1
	v_lshlrev_b32_e64 v101, v48, 0x80000
	s_delay_alu instid0(VALU_DEP_3) | instskip(SKIP_1) | instid1(VALU_DEP_4)
	v_lshrrev_b32_e32 v50, v48, v39
	v_add_nc_u32_e32 v48, v48, v13
	v_and_b32_e32 v39, v49, v39
	s_delay_alu instid0(VALU_DEP_3) | instskip(NEXT) | instid1(VALU_DEP_2)
	v_bfe_u32 v51, v50, 20, 1
	v_cmp_eq_u32_e64 s14, v39, v101
	s_delay_alu instid0(VALU_DEP_2) | instskip(NEXT) | instid1(VALU_DEP_1)
	v_add_nc_u32_e32 v49, -1, v51
	v_cndmask_b32_e64 v39, 0, v49, s14
	v_lshrrev_b32_e32 v49, 23, v50
	s_mov_b32 s14, exec_lo
	s_delay_alu instid0(VALU_DEP_2) | instskip(NEXT) | instid1(VALU_DEP_2)
	v_add_nc_u32_e32 v39, v39, v50
	v_xor_b32_e32 v49, 1, v49
	s_delay_alu instid0(VALU_DEP_2) | instskip(NEXT) | instid1(VALU_DEP_1)
	v_and_b32_e32 v13, 0xfffff, v39
	v_add_nc_u32_e32 v39, v13, v50
                                        ; implicit-def: $vgpr13
	s_delay_alu instid0(VALU_DEP_3)
	v_cmpx_ne_u32_e64 v48, v49
	s_xor_b32 s14, exec_lo, s14
; %bb.5040:                             ;   in Loop: Header=BB6_4901 Depth=3
	s_delay_alu instid0(VALU_DEP_2) | instskip(SKIP_2) | instid1(VALU_DEP_2)
	v_cmp_lt_u32_e32 vcc_lo, 0xffffff, v39
	v_sub_nc_u32_e32 v13, v48, v49
	v_cndmask_b32_e64 v48, 0, 1, vcc_lo
	v_add_co_ci_u32_e32 v13, vcc_lo, 0, v13, vcc_lo
	s_delay_alu instid0(VALU_DEP_2)
	v_lshrrev_b32_e32 v39, v48, v39
; %bb.5041:                             ;   in Loop: Header=BB6_4901 Depth=3
	s_and_not1_saveexec_b32 s14, s14
; %bb.5042:                             ;   in Loop: Header=BB6_4901 Depth=3
	s_delay_alu instid0(VALU_DEP_1)
	v_bfe_u32 v13, v39, 23, 1
; %bb.5043:                             ;   in Loop: Header=BB6_4901 Depth=3
	s_or_b32 exec_lo, exec_lo, s14
	v_lshrrev_b32_e32 v39, 20, v39
	s_delay_alu instid0(VALU_DEP_2) | instskip(SKIP_2) | instid1(VALU_DEP_2)
	v_cmp_gt_i32_e32 vcc_lo, 16, v13
	v_lshrrev_b32_e32 v38, 24, v38
	v_min_i32_e32 v48, 15, v13
	v_dual_cndmask_b32 v39, 7, v39 :: v_dual_and_b32 v38, 0x80, v38
	s_delay_alu instid0(VALU_DEP_1) | instskip(SKIP_1) | instid1(VALU_DEP_2)
	v_or_b32_e32 v13, v13, v39
	v_and_b32_e32 v49, 7, v39
	v_cmp_ne_u32_e32 vcc_lo, 0, v13
	v_lshlrev_b32_e32 v48, 3, v48
	s_delay_alu instid0(VALU_DEP_1) | instskip(NEXT) | instid1(VALU_DEP_1)
	v_or3_b32 v38, v48, v38, v49
	v_cndmask_b32_e32 v13, 0, v38, vcc_lo
.LBB6_5044:                             ;   in Loop: Header=BB6_4901 Depth=3
	s_or_b32 exec_lo, exec_lo, s31
.LBB6_5045:                             ;   in Loop: Header=BB6_4901 Depth=3
	s_delay_alu instid0(SALU_CYCLE_1) | instskip(SKIP_3) | instid1(VALU_DEP_1)
	s_or_b32 exec_lo, exec_lo, s15
	v_lshrrev_b16 v39, 8, v14
	s_mov_b32 s14, 0
	s_mov_b32 s31, exec_lo
                                        ; implicit-def: $sgpr15
	v_cmpx_lt_i16_e32 0x7f, v39
	s_xor_b32 s31, exec_lo, s31
	s_cbranch_execnz .LBB6_5232
; %bb.5046:                             ;   in Loop: Header=BB6_4901 Depth=3
	s_or_saveexec_b32 s31, s31
	v_mov_b32_e32 v38, s15
	s_xor_b32 exec_lo, exec_lo, s31
	s_cbranch_execnz .LBB6_5235
.LBB6_5047:                             ;   in Loop: Header=BB6_4901 Depth=3
	s_or_b32 exec_lo, exec_lo, s31
	s_and_saveexec_b32 s15, s14
	s_cbranch_execz .LBB6_5049
.LBB6_5048:                             ;   in Loop: Header=BB6_4901 Depth=3
	v_and_b32_e32 v38, 0xffff, v39
	s_delay_alu instid0(VALU_DEP_1) | instskip(NEXT) | instid1(VALU_DEP_1)
	v_and_b32_e32 v48, 7, v38
	v_clz_i32_u32_e32 v49, v48
	s_delay_alu instid0(VALU_DEP_1) | instskip(NEXT) | instid1(VALU_DEP_1)
	v_min_u32_e32 v49, 32, v49
	v_subrev_nc_u32_e32 v50, 28, v49
	v_sub_nc_u32_e32 v49, 29, v49
	s_delay_alu instid0(VALU_DEP_2) | instskip(SKIP_1) | instid1(VALU_DEP_2)
	v_lshlrev_b32_e32 v50, v50, v38
	v_bfe_u32 v38, v38, 3, 4
	v_and_b32_e32 v50, 7, v50
	s_delay_alu instid0(VALU_DEP_2) | instskip(SKIP_1) | instid1(VALU_DEP_1)
	v_cmp_eq_u32_e32 vcc_lo, 0, v38
	v_dual_cndmask_b32 v38, v38, v49 :: v_dual_lshlrev_b32 v39, 24, v39
	v_dual_cndmask_b32 v48, v48, v50 :: v_dual_and_b32 v39, 0x80000000, v39
	s_delay_alu instid0(VALU_DEP_2) | instskip(NEXT) | instid1(VALU_DEP_2)
	v_lshl_add_u32 v38, v38, 23, 0x3b800000
	v_lshlrev_b32_e32 v48, 20, v48
	s_delay_alu instid0(VALU_DEP_1)
	v_or3_b32 v38, v39, v38, v48
.LBB6_5049:                             ;   in Loop: Header=BB6_4901 Depth=3
	s_or_b32 exec_lo, exec_lo, s15
	v_lshrrev_b16 v39, 8, v10
	s_mov_b32 s14, 0
	s_mov_b32 s31, exec_lo
                                        ; implicit-def: $sgpr15
	s_delay_alu instid0(VALU_DEP_1)
	v_cmpx_lt_i16_e32 0x7f, v39
	s_xor_b32 s31, exec_lo, s31
	s_cbranch_execnz .LBB6_5236
; %bb.5050:                             ;   in Loop: Header=BB6_4901 Depth=3
	s_or_saveexec_b32 s31, s31
	v_mov_b32_e32 v48, s15
	s_xor_b32 exec_lo, exec_lo, s31
	s_cbranch_execnz .LBB6_5239
.LBB6_5051:                             ;   in Loop: Header=BB6_4901 Depth=3
	s_or_b32 exec_lo, exec_lo, s31
	s_and_saveexec_b32 s15, s14
	s_cbranch_execz .LBB6_5053
.LBB6_5052:                             ;   in Loop: Header=BB6_4901 Depth=3
	v_and_b32_e32 v48, 0xffff, v39
	v_lshlrev_b32_e32 v39, 24, v39
	s_delay_alu instid0(VALU_DEP_2) | instskip(NEXT) | instid1(VALU_DEP_2)
	v_and_b32_e32 v49, 7, v48
	v_and_b32_e32 v39, 0x80000000, v39
	s_delay_alu instid0(VALU_DEP_2) | instskip(NEXT) | instid1(VALU_DEP_1)
	v_clz_i32_u32_e32 v50, v49
	v_min_u32_e32 v50, 32, v50
	s_delay_alu instid0(VALU_DEP_1) | instskip(SKIP_1) | instid1(VALU_DEP_2)
	v_subrev_nc_u32_e32 v51, 28, v50
	v_sub_nc_u32_e32 v50, 29, v50
	v_lshlrev_b32_e32 v51, v51, v48
	v_bfe_u32 v48, v48, 3, 4
	s_delay_alu instid0(VALU_DEP_2) | instskip(NEXT) | instid1(VALU_DEP_2)
	v_and_b32_e32 v51, 7, v51
	v_cmp_eq_u32_e32 vcc_lo, 0, v48
	s_delay_alu instid0(VALU_DEP_2) | instskip(NEXT) | instid1(VALU_DEP_1)
	v_dual_cndmask_b32 v48, v48, v50 :: v_dual_cndmask_b32 v49, v49, v51
	v_lshl_add_u32 v48, v48, 23, 0x3b800000
	s_delay_alu instid0(VALU_DEP_2) | instskip(NEXT) | instid1(VALU_DEP_1)
	v_lshlrev_b32_e32 v49, 20, v49
	v_or3_b32 v48, v39, v48, v49
.LBB6_5053:                             ;   in Loop: Header=BB6_4901 Depth=3
	s_or_b32 exec_lo, exec_lo, s15
	s_delay_alu instid0(VALU_DEP_1) | instskip(NEXT) | instid1(VALU_DEP_1)
	v_add_f32_e32 v39, v38, v48
	v_and_b32_e32 v38, 0x7f800000, v39
	s_delay_alu instid0(VALU_DEP_1)
	v_cmp_ne_u32_e32 vcc_lo, 0x7f800000, v38
	v_mov_b32_e32 v38, 0x80
	s_and_saveexec_b32 s15, vcc_lo
	s_cbranch_execz .LBB6_5061
; %bb.5054:                             ;   in Loop: Header=BB6_4901 Depth=3
	v_mov_b32_e32 v38, 0
	s_mov_b32 s31, exec_lo
	v_cmpx_ne_u32_e32 0, v39
	s_cbranch_execz .LBB6_5060
; %bb.5055:                             ;   in Loop: Header=BB6_4901 Depth=3
	v_bfe_u32 v38, v39, 23, 8
	s_delay_alu instid0(VALU_DEP_1) | instskip(SKIP_1) | instid1(VALU_DEP_2)
	v_sub_nc_u32_e32 v49, 0x78, v38
	v_cmp_gt_u32_e32 vcc_lo, 0x79, v38
	v_dual_cndmask_b32 v49, 0, v49 :: v_dual_and_b32 v48, 0x7fffff, v39
	s_delay_alu instid0(VALU_DEP_1) | instskip(SKIP_2) | instid1(VALU_DEP_4)
	v_or_b32_e32 v50, 0x800000, v48
	v_cmp_eq_u32_e32 vcc_lo, 0, v38
	v_add_nc_u32_e32 v38, 0xffffff89, v38
	v_cndmask_b32_e64 v49, v49, 0x77, vcc_lo
	s_delay_alu instid0(VALU_DEP_2) | instskip(SKIP_1) | instid1(VALU_DEP_3)
	v_cndmask_b32_e64 v38, v38, 0xffffff8a, vcc_lo
	v_cndmask_b32_e32 v48, v50, v48, vcc_lo
	v_lshl_add_u32 v50, 0x100000, v49, -1
	v_lshlrev_b32_e64 v102, v49, 0x80000
	s_delay_alu instid0(VALU_DEP_3) | instskip(SKIP_1) | instid1(VALU_DEP_4)
	v_lshrrev_b32_e32 v51, v49, v48
	v_add_nc_u32_e32 v49, v49, v38
	v_and_b32_e32 v48, v50, v48
	s_delay_alu instid0(VALU_DEP_3) | instskip(NEXT) | instid1(VALU_DEP_2)
	v_bfe_u32 v101, v51, 20, 1
	v_cmp_eq_u32_e64 s14, v48, v102
	s_delay_alu instid0(VALU_DEP_2) | instskip(NEXT) | instid1(VALU_DEP_1)
	v_add_nc_u32_e32 v50, -1, v101
	v_cndmask_b32_e64 v48, 0, v50, s14
	v_lshrrev_b32_e32 v50, 23, v51
	s_mov_b32 s14, exec_lo
	s_delay_alu instid0(VALU_DEP_2) | instskip(NEXT) | instid1(VALU_DEP_2)
	v_add_nc_u32_e32 v48, v48, v51
	v_xor_b32_e32 v50, 1, v50
	s_delay_alu instid0(VALU_DEP_2) | instskip(NEXT) | instid1(VALU_DEP_1)
	v_and_b32_e32 v38, 0xfffff, v48
	v_add_nc_u32_e32 v48, v38, v51
                                        ; implicit-def: $vgpr38
	s_delay_alu instid0(VALU_DEP_3)
	v_cmpx_ne_u32_e64 v49, v50
	s_xor_b32 s14, exec_lo, s14
; %bb.5056:                             ;   in Loop: Header=BB6_4901 Depth=3
	s_delay_alu instid0(VALU_DEP_2) | instskip(SKIP_2) | instid1(VALU_DEP_2)
	v_cmp_lt_u32_e32 vcc_lo, 0xffffff, v48
	v_sub_nc_u32_e32 v38, v49, v50
	v_cndmask_b32_e64 v49, 0, 1, vcc_lo
	v_add_co_ci_u32_e32 v38, vcc_lo, 0, v38, vcc_lo
	s_delay_alu instid0(VALU_DEP_2)
	v_lshrrev_b32_e32 v48, v49, v48
; %bb.5057:                             ;   in Loop: Header=BB6_4901 Depth=3
	s_and_not1_saveexec_b32 s14, s14
; %bb.5058:                             ;   in Loop: Header=BB6_4901 Depth=3
	s_delay_alu instid0(VALU_DEP_1)
	v_bfe_u32 v38, v48, 23, 1
; %bb.5059:                             ;   in Loop: Header=BB6_4901 Depth=3
	s_or_b32 exec_lo, exec_lo, s14
	v_lshrrev_b32_e32 v48, 20, v48
	s_delay_alu instid0(VALU_DEP_2) | instskip(SKIP_2) | instid1(VALU_DEP_2)
	v_cmp_gt_i32_e32 vcc_lo, 16, v38
	v_lshrrev_b32_e32 v39, 24, v39
	v_min_i32_e32 v49, 15, v38
	v_dual_cndmask_b32 v48, 7, v48 :: v_dual_and_b32 v39, 0x80, v39
	s_delay_alu instid0(VALU_DEP_1) | instskip(SKIP_1) | instid1(VALU_DEP_2)
	v_or_b32_e32 v38, v38, v48
	v_and_b32_e32 v50, 7, v48
	v_cmp_ne_u32_e32 vcc_lo, 0, v38
	v_lshlrev_b32_e32 v49, 3, v49
	s_delay_alu instid0(VALU_DEP_1) | instskip(NEXT) | instid1(VALU_DEP_1)
	v_or3_b32 v39, v49, v39, v50
	v_cndmask_b32_e32 v38, 0, v39, vcc_lo
.LBB6_5060:                             ;   in Loop: Header=BB6_4901 Depth=3
	s_or_b32 exec_lo, exec_lo, s31
.LBB6_5061:                             ;   in Loop: Header=BB6_4901 Depth=3
	s_delay_alu instid0(SALU_CYCLE_1) | instskip(SKIP_3) | instid1(VALU_DEP_1)
	s_or_b32 exec_lo, exec_lo, s15
	v_lshrrev_b32_e32 v48, 16, v14
	s_mov_b32 s14, 0
	s_mov_b32 s31, exec_lo
                                        ; implicit-def: $sgpr15
	v_and_b32_e32 v49, 0xff, v48
	s_delay_alu instid0(VALU_DEP_1)
	v_cmpx_lt_i16_e32 0x7f, v49
	s_xor_b32 s31, exec_lo, s31
	s_cbranch_execnz .LBB6_5240
; %bb.5062:                             ;   in Loop: Header=BB6_4901 Depth=3
	s_or_saveexec_b32 s31, s31
	v_mov_b32_e32 v39, s15
	s_xor_b32 exec_lo, exec_lo, s31
	s_cbranch_execnz .LBB6_5243
.LBB6_5063:                             ;   in Loop: Header=BB6_4901 Depth=3
	s_or_b32 exec_lo, exec_lo, s31
	s_and_saveexec_b32 s15, s14
	s_cbranch_execz .LBB6_5065
.LBB6_5064:                             ;   in Loop: Header=BB6_4901 Depth=3
	v_bfe_u32 v39, v14, 16, 3
	v_lshlrev_b32_e32 v51, 8, v14
	s_delay_alu instid0(VALU_DEP_2) | instskip(NEXT) | instid1(VALU_DEP_1)
	v_clz_i32_u32_e32 v49, v39
	v_min_u32_e32 v49, 32, v49
	s_delay_alu instid0(VALU_DEP_1) | instskip(SKIP_1) | instid1(VALU_DEP_2)
	v_subrev_nc_u32_e32 v50, 28, v49
	v_sub_nc_u32_e32 v49, 29, v49
	v_lshlrev_b32_e32 v48, v50, v48
	v_bfe_u32 v50, v14, 19, 4
	s_delay_alu instid0(VALU_DEP_1) | instskip(NEXT) | instid1(VALU_DEP_3)
	v_cmp_eq_u32_e32 vcc_lo, 0, v50
	v_dual_cndmask_b32 v49, v50, v49 :: v_dual_and_b32 v48, 7, v48
	s_delay_alu instid0(VALU_DEP_1) | instskip(NEXT) | instid1(VALU_DEP_2)
	v_dual_cndmask_b32 v39, v39, v48 :: v_dual_and_b32 v48, 0x80000000, v51
	v_lshl_add_u32 v49, v49, 23, 0x3b800000
	s_delay_alu instid0(VALU_DEP_2) | instskip(NEXT) | instid1(VALU_DEP_1)
	v_lshlrev_b32_e32 v39, 20, v39
	v_or3_b32 v39, v48, v49, v39
.LBB6_5065:                             ;   in Loop: Header=BB6_4901 Depth=3
	s_or_b32 exec_lo, exec_lo, s15
	v_lshrrev_b32_e32 v48, 16, v10
	s_mov_b32 s14, 0
	s_mov_b32 s31, exec_lo
                                        ; implicit-def: $sgpr15
	s_delay_alu instid0(VALU_DEP_1) | instskip(NEXT) | instid1(VALU_DEP_1)
	v_and_b32_e32 v50, 0xff, v48
	v_cmpx_lt_i16_e32 0x7f, v50
	s_xor_b32 s31, exec_lo, s31
	s_cbranch_execnz .LBB6_5244
; %bb.5066:                             ;   in Loop: Header=BB6_4901 Depth=3
	s_or_saveexec_b32 s31, s31
	v_mov_b32_e32 v49, s15
	s_xor_b32 exec_lo, exec_lo, s31
	s_cbranch_execnz .LBB6_5247
.LBB6_5067:                             ;   in Loop: Header=BB6_4901 Depth=3
	s_or_b32 exec_lo, exec_lo, s31
	s_and_saveexec_b32 s15, s14
	s_cbranch_execz .LBB6_5069
.LBB6_5068:                             ;   in Loop: Header=BB6_4901 Depth=3
	v_bfe_u32 v49, v10, 16, 3
	s_delay_alu instid0(VALU_DEP_1) | instskip(NEXT) | instid1(VALU_DEP_1)
	v_clz_i32_u32_e32 v50, v49
	v_min_u32_e32 v50, 32, v50
	s_delay_alu instid0(VALU_DEP_1) | instskip(SKIP_1) | instid1(VALU_DEP_2)
	v_subrev_nc_u32_e32 v51, 28, v50
	v_sub_nc_u32_e32 v50, 29, v50
	v_lshlrev_b32_e32 v48, v51, v48
	v_bfe_u32 v51, v10, 19, 4
	s_delay_alu instid0(VALU_DEP_2) | instskip(NEXT) | instid1(VALU_DEP_2)
	v_and_b32_e32 v48, 7, v48
	v_cmp_eq_u32_e32 vcc_lo, 0, v51
	s_delay_alu instid0(VALU_DEP_2) | instskip(NEXT) | instid1(VALU_DEP_1)
	v_dual_cndmask_b32 v48, v49, v48 :: v_dual_lshlrev_b32 v101, 8, v10
	v_dual_cndmask_b32 v50, v51, v50 :: v_dual_and_b32 v49, 0x80000000, v101
	s_delay_alu instid0(VALU_DEP_2) | instskip(NEXT) | instid1(VALU_DEP_2)
	v_lshlrev_b32_e32 v48, 20, v48
	v_lshl_add_u32 v50, v50, 23, 0x3b800000
	s_delay_alu instid0(VALU_DEP_1)
	v_or3_b32 v49, v49, v50, v48
.LBB6_5069:                             ;   in Loop: Header=BB6_4901 Depth=3
	s_or_b32 exec_lo, exec_lo, s15
	s_delay_alu instid0(VALU_DEP_1) | instskip(NEXT) | instid1(VALU_DEP_1)
	v_add_f32_e32 v48, v39, v49
	v_and_b32_e32 v39, 0x7f800000, v48
	s_delay_alu instid0(VALU_DEP_1)
	v_cmp_ne_u32_e32 vcc_lo, 0x7f800000, v39
	v_mov_b32_e32 v39, 0x80
	s_and_saveexec_b32 s15, vcc_lo
	s_cbranch_execz .LBB6_5077
; %bb.5070:                             ;   in Loop: Header=BB6_4901 Depth=3
	v_mov_b32_e32 v39, 0
	s_mov_b32 s31, exec_lo
	v_cmpx_ne_u32_e32 0, v48
	s_cbranch_execz .LBB6_5076
; %bb.5071:                             ;   in Loop: Header=BB6_4901 Depth=3
	v_bfe_u32 v39, v48, 23, 8
	s_delay_alu instid0(VALU_DEP_1) | instskip(SKIP_1) | instid1(VALU_DEP_2)
	v_sub_nc_u32_e32 v50, 0x78, v39
	v_cmp_gt_u32_e32 vcc_lo, 0x79, v39
	v_dual_cndmask_b32 v50, 0, v50 :: v_dual_and_b32 v49, 0x7fffff, v48
	s_delay_alu instid0(VALU_DEP_1) | instskip(SKIP_2) | instid1(VALU_DEP_4)
	v_or_b32_e32 v51, 0x800000, v49
	v_cmp_eq_u32_e32 vcc_lo, 0, v39
	v_add_nc_u32_e32 v39, 0xffffff89, v39
	v_cndmask_b32_e64 v50, v50, 0x77, vcc_lo
	s_delay_alu instid0(VALU_DEP_2) | instskip(SKIP_1) | instid1(VALU_DEP_3)
	v_cndmask_b32_e64 v39, v39, 0xffffff8a, vcc_lo
	v_cndmask_b32_e32 v49, v51, v49, vcc_lo
	v_lshl_add_u32 v51, 0x100000, v50, -1
	v_lshlrev_b32_e64 v112, v50, 0x80000
	s_delay_alu instid0(VALU_DEP_3) | instskip(SKIP_1) | instid1(VALU_DEP_4)
	v_lshrrev_b32_e32 v101, v50, v49
	v_add_nc_u32_e32 v50, v50, v39
	v_and_b32_e32 v49, v51, v49
	s_delay_alu instid0(VALU_DEP_3) | instskip(NEXT) | instid1(VALU_DEP_2)
	v_bfe_u32 v102, v101, 20, 1
	v_cmp_eq_u32_e64 s14, v49, v112
	s_delay_alu instid0(VALU_DEP_2) | instskip(NEXT) | instid1(VALU_DEP_1)
	v_add_nc_u32_e32 v51, -1, v102
	v_cndmask_b32_e64 v49, 0, v51, s14
	v_lshrrev_b32_e32 v51, 23, v101
	s_mov_b32 s14, exec_lo
	s_delay_alu instid0(VALU_DEP_2) | instskip(NEXT) | instid1(VALU_DEP_2)
	v_add_nc_u32_e32 v49, v49, v101
	v_xor_b32_e32 v51, 1, v51
	s_delay_alu instid0(VALU_DEP_2) | instskip(NEXT) | instid1(VALU_DEP_1)
	v_and_b32_e32 v39, 0xfffff, v49
	v_add_nc_u32_e32 v49, v39, v101
                                        ; implicit-def: $vgpr39
	s_delay_alu instid0(VALU_DEP_3)
	v_cmpx_ne_u32_e64 v50, v51
	s_xor_b32 s14, exec_lo, s14
; %bb.5072:                             ;   in Loop: Header=BB6_4901 Depth=3
	s_delay_alu instid0(VALU_DEP_2) | instskip(SKIP_2) | instid1(VALU_DEP_2)
	v_cmp_lt_u32_e32 vcc_lo, 0xffffff, v49
	v_sub_nc_u32_e32 v39, v50, v51
	v_cndmask_b32_e64 v50, 0, 1, vcc_lo
	v_add_co_ci_u32_e32 v39, vcc_lo, 0, v39, vcc_lo
	s_delay_alu instid0(VALU_DEP_2)
	v_lshrrev_b32_e32 v49, v50, v49
; %bb.5073:                             ;   in Loop: Header=BB6_4901 Depth=3
	s_and_not1_saveexec_b32 s14, s14
; %bb.5074:                             ;   in Loop: Header=BB6_4901 Depth=3
	s_delay_alu instid0(VALU_DEP_1)
	v_bfe_u32 v39, v49, 23, 1
; %bb.5075:                             ;   in Loop: Header=BB6_4901 Depth=3
	s_or_b32 exec_lo, exec_lo, s14
	v_lshrrev_b32_e32 v49, 20, v49
	s_delay_alu instid0(VALU_DEP_2) | instskip(SKIP_2) | instid1(VALU_DEP_2)
	v_cmp_gt_i32_e32 vcc_lo, 16, v39
	v_lshrrev_b32_e32 v48, 24, v48
	v_min_i32_e32 v50, 15, v39
	v_dual_cndmask_b32 v49, 7, v49 :: v_dual_and_b32 v48, 0x80, v48
	s_delay_alu instid0(VALU_DEP_1) | instskip(SKIP_1) | instid1(VALU_DEP_2)
	v_or_b32_e32 v39, v39, v49
	v_and_b32_e32 v51, 7, v49
	v_cmp_ne_u32_e32 vcc_lo, 0, v39
	v_lshlrev_b32_e32 v50, 3, v50
	s_delay_alu instid0(VALU_DEP_1) | instskip(NEXT) | instid1(VALU_DEP_1)
	v_or3_b32 v48, v50, v48, v51
	v_cndmask_b32_e32 v39, 0, v48, vcc_lo
.LBB6_5076:                             ;   in Loop: Header=BB6_4901 Depth=3
	s_or_b32 exec_lo, exec_lo, s31
.LBB6_5077:                             ;   in Loop: Header=BB6_4901 Depth=3
	s_delay_alu instid0(SALU_CYCLE_1) | instskip(SKIP_3) | instid1(VALU_DEP_1)
	s_or_b32 exec_lo, exec_lo, s15
	v_lshrrev_b32_e32 v49, 24, v14
	s_mov_b32 s14, 0
	s_mov_b32 s31, exec_lo
                                        ; implicit-def: $sgpr15
	v_cmpx_lt_i16_e32 0x7f, v49
	s_xor_b32 s31, exec_lo, s31
	s_cbranch_execnz .LBB6_5248
; %bb.5078:                             ;   in Loop: Header=BB6_4901 Depth=3
	s_or_saveexec_b32 s31, s31
	v_mov_b32_e32 v48, s15
	s_xor_b32 exec_lo, exec_lo, s31
	s_cbranch_execnz .LBB6_5251
.LBB6_5079:                             ;   in Loop: Header=BB6_4901 Depth=3
	s_or_b32 exec_lo, exec_lo, s31
	s_and_saveexec_b32 s15, s14
	s_cbranch_execz .LBB6_5081
.LBB6_5080:                             ;   in Loop: Header=BB6_4901 Depth=3
	v_bfe_u32 v48, v14, 24, 3
	s_delay_alu instid0(VALU_DEP_1) | instskip(NEXT) | instid1(VALU_DEP_1)
	v_clz_i32_u32_e32 v50, v48
	v_min_u32_e32 v50, 32, v50
	s_delay_alu instid0(VALU_DEP_1) | instskip(SKIP_1) | instid1(VALU_DEP_2)
	v_subrev_nc_u32_e32 v51, 28, v50
	v_sub_nc_u32_e32 v50, 29, v50
	v_lshlrev_b32_e32 v49, v51, v49
	v_bfe_u32 v51, v14, 27, 4
	v_and_b32_e32 v14, 0x80000000, v14
	s_delay_alu instid0(VALU_DEP_2) | instskip(NEXT) | instid1(VALU_DEP_4)
	v_cmp_eq_u32_e32 vcc_lo, 0, v51
	v_dual_cndmask_b32 v50, v51, v50 :: v_dual_and_b32 v49, 7, v49
	s_delay_alu instid0(VALU_DEP_1) | instskip(NEXT) | instid1(VALU_DEP_2)
	v_cndmask_b32_e32 v48, v48, v49, vcc_lo
	v_lshl_add_u32 v49, v50, 23, 0x3b800000
	s_delay_alu instid0(VALU_DEP_2) | instskip(NEXT) | instid1(VALU_DEP_1)
	v_lshlrev_b32_e32 v48, 20, v48
	v_or3_b32 v48, v14, v49, v48
.LBB6_5081:                             ;   in Loop: Header=BB6_4901 Depth=3
	s_or_b32 exec_lo, exec_lo, s15
	v_lshrrev_b32_e32 v14, 24, v10
	s_mov_b32 s14, 0
	s_mov_b32 s31, exec_lo
                                        ; implicit-def: $sgpr15
	s_delay_alu instid0(VALU_DEP_1)
	v_cmpx_lt_i16_e32 0x7f, v14
	s_xor_b32 s31, exec_lo, s31
	s_cbranch_execnz .LBB6_5252
; %bb.5082:                             ;   in Loop: Header=BB6_4901 Depth=3
	s_or_saveexec_b32 s31, s31
	v_mov_b32_e32 v49, s15
	s_xor_b32 exec_lo, exec_lo, s31
	s_cbranch_execnz .LBB6_5255
.LBB6_5083:                             ;   in Loop: Header=BB6_4901 Depth=3
	s_or_b32 exec_lo, exec_lo, s31
	s_and_saveexec_b32 s15, s14
	s_cbranch_execz .LBB6_5085
.LBB6_5084:                             ;   in Loop: Header=BB6_4901 Depth=3
	v_bfe_u32 v49, v10, 24, 3
	s_delay_alu instid0(VALU_DEP_1) | instskip(NEXT) | instid1(VALU_DEP_1)
	v_clz_i32_u32_e32 v50, v49
	v_min_u32_e32 v50, 32, v50
	s_delay_alu instid0(VALU_DEP_1) | instskip(SKIP_1) | instid1(VALU_DEP_2)
	v_subrev_nc_u32_e32 v51, 28, v50
	v_sub_nc_u32_e32 v50, 29, v50
	v_lshlrev_b32_e32 v14, v51, v14
	v_bfe_u32 v51, v10, 27, 4
	v_and_b32_e32 v10, 0x80000000, v10
	s_delay_alu instid0(VALU_DEP_3) | instskip(NEXT) | instid1(VALU_DEP_3)
	v_and_b32_e32 v14, 7, v14
	v_cmp_eq_u32_e32 vcc_lo, 0, v51
	v_cndmask_b32_e32 v50, v51, v50, vcc_lo
	s_delay_alu instid0(VALU_DEP_3) | instskip(NEXT) | instid1(VALU_DEP_2)
	v_cndmask_b32_e32 v14, v49, v14, vcc_lo
	v_lshl_add_u32 v49, v50, 23, 0x3b800000
	s_delay_alu instid0(VALU_DEP_2) | instskip(NEXT) | instid1(VALU_DEP_1)
	v_lshlrev_b32_e32 v14, 20, v14
	v_or3_b32 v49, v10, v49, v14
.LBB6_5085:                             ;   in Loop: Header=BB6_4901 Depth=3
	s_or_b32 exec_lo, exec_lo, s15
	s_delay_alu instid0(VALU_DEP_1) | instskip(NEXT) | instid1(VALU_DEP_1)
	v_add_f32_e32 v14, v48, v49
	v_and_b32_e32 v10, 0x7f800000, v14
	s_delay_alu instid0(VALU_DEP_1)
	v_cmp_ne_u32_e32 vcc_lo, 0x7f800000, v10
	v_mov_b32_e32 v10, 0x80
	s_and_saveexec_b32 s15, vcc_lo
	s_cbranch_execz .LBB6_5093
; %bb.5086:                             ;   in Loop: Header=BB6_4901 Depth=3
	v_mov_b32_e32 v10, 0
	s_mov_b32 s31, exec_lo
	v_cmpx_ne_u32_e32 0, v14
	s_cbranch_execz .LBB6_5092
; %bb.5087:                             ;   in Loop: Header=BB6_4901 Depth=3
	v_bfe_u32 v10, v14, 23, 8
	s_delay_alu instid0(VALU_DEP_1) | instskip(SKIP_1) | instid1(VALU_DEP_2)
	v_sub_nc_u32_e32 v49, 0x78, v10
	v_cmp_gt_u32_e32 vcc_lo, 0x79, v10
	v_dual_cndmask_b32 v49, 0, v49 :: v_dual_and_b32 v48, 0x7fffff, v14
	s_delay_alu instid0(VALU_DEP_1) | instskip(SKIP_2) | instid1(VALU_DEP_4)
	v_or_b32_e32 v50, 0x800000, v48
	v_cmp_eq_u32_e32 vcc_lo, 0, v10
	v_add_nc_u32_e32 v10, 0xffffff89, v10
	v_cndmask_b32_e64 v49, v49, 0x77, vcc_lo
	s_delay_alu instid0(VALU_DEP_2) | instskip(SKIP_1) | instid1(VALU_DEP_3)
	v_cndmask_b32_e64 v10, v10, 0xffffff8a, vcc_lo
	v_cndmask_b32_e32 v48, v50, v48, vcc_lo
	v_lshl_add_u32 v50, 0x100000, v49, -1
	v_lshlrev_b32_e64 v102, v49, 0x80000
	s_delay_alu instid0(VALU_DEP_3) | instskip(SKIP_1) | instid1(VALU_DEP_4)
	v_lshrrev_b32_e32 v51, v49, v48
	v_add_nc_u32_e32 v49, v49, v10
	v_and_b32_e32 v48, v50, v48
	s_delay_alu instid0(VALU_DEP_3) | instskip(NEXT) | instid1(VALU_DEP_2)
	v_bfe_u32 v101, v51, 20, 1
	v_cmp_eq_u32_e64 s14, v48, v102
	s_delay_alu instid0(VALU_DEP_2) | instskip(NEXT) | instid1(VALU_DEP_1)
	v_add_nc_u32_e32 v50, -1, v101
	v_cndmask_b32_e64 v48, 0, v50, s14
	v_lshrrev_b32_e32 v50, 23, v51
	s_mov_b32 s14, exec_lo
	s_delay_alu instid0(VALU_DEP_2) | instskip(NEXT) | instid1(VALU_DEP_2)
	v_add_nc_u32_e32 v48, v48, v51
	v_xor_b32_e32 v50, 1, v50
	s_delay_alu instid0(VALU_DEP_2) | instskip(NEXT) | instid1(VALU_DEP_1)
	v_and_b32_e32 v10, 0xfffff, v48
	v_add_nc_u32_e32 v48, v10, v51
                                        ; implicit-def: $vgpr10
	s_delay_alu instid0(VALU_DEP_3)
	v_cmpx_ne_u32_e64 v49, v50
	s_xor_b32 s14, exec_lo, s14
; %bb.5088:                             ;   in Loop: Header=BB6_4901 Depth=3
	s_delay_alu instid0(VALU_DEP_2) | instskip(SKIP_2) | instid1(VALU_DEP_2)
	v_cmp_lt_u32_e32 vcc_lo, 0xffffff, v48
	v_sub_nc_u32_e32 v10, v49, v50
	v_cndmask_b32_e64 v49, 0, 1, vcc_lo
	v_add_co_ci_u32_e32 v10, vcc_lo, 0, v10, vcc_lo
	s_delay_alu instid0(VALU_DEP_2)
	v_lshrrev_b32_e32 v48, v49, v48
; %bb.5089:                             ;   in Loop: Header=BB6_4901 Depth=3
	s_and_not1_saveexec_b32 s14, s14
; %bb.5090:                             ;   in Loop: Header=BB6_4901 Depth=3
	s_delay_alu instid0(VALU_DEP_1)
	v_bfe_u32 v10, v48, 23, 1
; %bb.5091:                             ;   in Loop: Header=BB6_4901 Depth=3
	s_or_b32 exec_lo, exec_lo, s14
	v_lshrrev_b32_e32 v48, 20, v48
	s_delay_alu instid0(VALU_DEP_2) | instskip(SKIP_2) | instid1(VALU_DEP_4)
	v_cmp_gt_i32_e32 vcc_lo, 16, v10
	v_lshrrev_b32_e32 v14, 24, v14
	v_min_i32_e32 v49, 15, v10
	v_cndmask_b32_e32 v48, 7, v48, vcc_lo
	s_delay_alu instid0(VALU_DEP_3) | instskip(NEXT) | instid1(VALU_DEP_3)
	v_and_b32_e32 v14, 0x80, v14
	v_lshlrev_b32_e32 v49, 3, v49
	s_delay_alu instid0(VALU_DEP_3) | instskip(SKIP_1) | instid1(VALU_DEP_2)
	v_and_b32_e32 v50, 7, v48
	v_or_b32_e32 v10, v10, v48
	v_or3_b32 v14, v49, v14, v50
	s_delay_alu instid0(VALU_DEP_2) | instskip(NEXT) | instid1(VALU_DEP_2)
	v_cmp_ne_u32_e32 vcc_lo, 0, v10
	v_cndmask_b32_e32 v10, 0, v14, vcc_lo
.LBB6_5092:                             ;   in Loop: Header=BB6_4901 Depth=3
	s_or_b32 exec_lo, exec_lo, s31
.LBB6_5093:                             ;   in Loop: Header=BB6_4901 Depth=3
	s_delay_alu instid0(SALU_CYCLE_1) | instskip(SKIP_3) | instid1(VALU_DEP_1)
	s_or_b32 exec_lo, exec_lo, s15
	v_and_b32_e32 v48, 0xff, v15
	s_mov_b32 s14, 0
	s_mov_b32 s31, exec_lo
                                        ; implicit-def: $sgpr15
	v_cmpx_lt_i16_e32 0x7f, v48
	s_xor_b32 s31, exec_lo, s31
	s_cbranch_execnz .LBB6_5256
; %bb.5094:                             ;   in Loop: Header=BB6_4901 Depth=3
	s_or_saveexec_b32 s31, s31
	v_mov_b32_e32 v14, s15
	s_xor_b32 exec_lo, exec_lo, s31
	s_cbranch_execnz .LBB6_5259
.LBB6_5095:                             ;   in Loop: Header=BB6_4901 Depth=3
	s_or_b32 exec_lo, exec_lo, s31
	s_and_saveexec_b32 s15, s14
	s_cbranch_execz .LBB6_5097
.LBB6_5096:                             ;   in Loop: Header=BB6_4901 Depth=3
	v_and_b32_e32 v14, 7, v15
	v_bfe_u32 v50, v15, 3, 4
	s_delay_alu instid0(VALU_DEP_2) | instskip(NEXT) | instid1(VALU_DEP_2)
	v_clz_i32_u32_e32 v48, v14
	v_cmp_eq_u32_e32 vcc_lo, 0, v50
	s_delay_alu instid0(VALU_DEP_2) | instskip(NEXT) | instid1(VALU_DEP_1)
	v_min_u32_e32 v48, 32, v48
	v_subrev_nc_u32_e32 v49, 28, v48
	v_sub_nc_u32_e32 v48, 29, v48
	s_delay_alu instid0(VALU_DEP_1) | instskip(NEXT) | instid1(VALU_DEP_1)
	v_dual_cndmask_b32 v48, v50, v48 :: v_dual_lshlrev_b32 v49, v49, v15
	v_and_b32_e32 v49, 7, v49
	v_lshlrev_b32_e32 v51, 24, v15
	s_delay_alu instid0(VALU_DEP_3) | instskip(NEXT) | instid1(VALU_DEP_2)
	v_lshl_add_u32 v48, v48, 23, 0x3b800000
	v_dual_cndmask_b32 v14, v14, v49 :: v_dual_and_b32 v49, 0x80000000, v51
	s_delay_alu instid0(VALU_DEP_1) | instskip(NEXT) | instid1(VALU_DEP_1)
	v_lshlrev_b32_e32 v14, 20, v14
	v_or3_b32 v14, v49, v48, v14
.LBB6_5097:                             ;   in Loop: Header=BB6_4901 Depth=3
	s_or_b32 exec_lo, exec_lo, s15
	v_and_b32_e32 v49, 0xff, v11
	s_mov_b32 s14, 0
	s_mov_b32 s31, exec_lo
                                        ; implicit-def: $sgpr15
	s_delay_alu instid0(VALU_DEP_1)
	v_cmpx_lt_i16_e32 0x7f, v49
	s_xor_b32 s31, exec_lo, s31
	s_cbranch_execnz .LBB6_5260
; %bb.5098:                             ;   in Loop: Header=BB6_4901 Depth=3
	s_or_saveexec_b32 s31, s31
	v_mov_b32_e32 v48, s15
	s_xor_b32 exec_lo, exec_lo, s31
	s_cbranch_execnz .LBB6_5263
.LBB6_5099:                             ;   in Loop: Header=BB6_4901 Depth=3
	s_or_b32 exec_lo, exec_lo, s31
	s_and_saveexec_b32 s15, s14
	s_cbranch_execz .LBB6_5101
.LBB6_5100:                             ;   in Loop: Header=BB6_4901 Depth=3
	v_bfe_u32 v51, v11, 3, 4
	s_delay_alu instid0(VALU_DEP_1) | instskip(SKIP_1) | instid1(VALU_DEP_1)
	v_cmp_eq_u32_e32 vcc_lo, 0, v51
	v_and_b32_e32 v48, 7, v11
	v_clz_i32_u32_e32 v49, v48
	s_delay_alu instid0(VALU_DEP_1) | instskip(NEXT) | instid1(VALU_DEP_1)
	v_min_u32_e32 v49, 32, v49
	v_subrev_nc_u32_e32 v50, 28, v49
	v_sub_nc_u32_e32 v49, 29, v49
	s_delay_alu instid0(VALU_DEP_1) | instskip(NEXT) | instid1(VALU_DEP_1)
	v_dual_cndmask_b32 v49, v51, v49 :: v_dual_lshlrev_b32 v50, v50, v11
	v_and_b32_e32 v50, 7, v50
	v_lshlrev_b32_e32 v101, 24, v11
	s_delay_alu instid0(VALU_DEP_3) | instskip(NEXT) | instid1(VALU_DEP_3)
	v_lshl_add_u32 v49, v49, 23, 0x3b800000
	v_cndmask_b32_e32 v48, v48, v50, vcc_lo
	s_delay_alu instid0(VALU_DEP_3) | instskip(NEXT) | instid1(VALU_DEP_2)
	v_and_b32_e32 v50, 0x80000000, v101
	v_lshlrev_b32_e32 v48, 20, v48
	s_delay_alu instid0(VALU_DEP_1)
	v_or3_b32 v48, v50, v49, v48
.LBB6_5101:                             ;   in Loop: Header=BB6_4901 Depth=3
	s_or_b32 exec_lo, exec_lo, s15
	s_delay_alu instid0(VALU_DEP_1) | instskip(NEXT) | instid1(VALU_DEP_1)
	v_add_f32_e32 v48, v14, v48
	v_and_b32_e32 v14, 0x7f800000, v48
	s_delay_alu instid0(VALU_DEP_1)
	v_cmp_ne_u32_e32 vcc_lo, 0x7f800000, v14
	v_mov_b32_e32 v14, 0x80
	s_and_saveexec_b32 s15, vcc_lo
	s_cbranch_execz .LBB6_5109
; %bb.5102:                             ;   in Loop: Header=BB6_4901 Depth=3
	v_mov_b32_e32 v14, 0
	s_mov_b32 s31, exec_lo
	v_cmpx_ne_u32_e32 0, v48
	s_cbranch_execz .LBB6_5108
; %bb.5103:                             ;   in Loop: Header=BB6_4901 Depth=3
	v_bfe_u32 v14, v48, 23, 8
	s_delay_alu instid0(VALU_DEP_1) | instskip(SKIP_1) | instid1(VALU_DEP_2)
	v_sub_nc_u32_e32 v50, 0x78, v14
	v_cmp_gt_u32_e32 vcc_lo, 0x79, v14
	v_dual_cndmask_b32 v50, 0, v50 :: v_dual_and_b32 v49, 0x7fffff, v48
	s_delay_alu instid0(VALU_DEP_1) | instskip(SKIP_2) | instid1(VALU_DEP_4)
	v_or_b32_e32 v51, 0x800000, v49
	v_cmp_eq_u32_e32 vcc_lo, 0, v14
	v_add_nc_u32_e32 v14, 0xffffff89, v14
	v_cndmask_b32_e64 v50, v50, 0x77, vcc_lo
	s_delay_alu instid0(VALU_DEP_4) | instskip(NEXT) | instid1(VALU_DEP_3)
	v_cndmask_b32_e32 v49, v51, v49, vcc_lo
	v_cndmask_b32_e64 v14, v14, 0xffffff8a, vcc_lo
	s_delay_alu instid0(VALU_DEP_3) | instskip(NEXT) | instid1(VALU_DEP_3)
	v_lshl_add_u32 v51, 0x100000, v50, -1
	v_lshrrev_b32_e32 v101, v50, v49
	v_lshlrev_b32_e64 v112, v50, 0x80000
	s_delay_alu instid0(VALU_DEP_4) | instskip(NEXT) | instid1(VALU_DEP_4)
	v_add_nc_u32_e32 v50, v50, v14
	v_and_b32_e32 v49, v51, v49
	s_delay_alu instid0(VALU_DEP_4) | instskip(NEXT) | instid1(VALU_DEP_2)
	v_bfe_u32 v102, v101, 20, 1
	v_cmp_eq_u32_e64 s14, v49, v112
	s_delay_alu instid0(VALU_DEP_2) | instskip(NEXT) | instid1(VALU_DEP_1)
	v_add_nc_u32_e32 v51, -1, v102
	v_cndmask_b32_e64 v49, 0, v51, s14
	v_lshrrev_b32_e32 v51, 23, v101
	s_mov_b32 s14, exec_lo
	s_delay_alu instid0(VALU_DEP_2) | instskip(NEXT) | instid1(VALU_DEP_2)
	v_add_nc_u32_e32 v49, v49, v101
	v_xor_b32_e32 v51, 1, v51
	s_delay_alu instid0(VALU_DEP_2) | instskip(NEXT) | instid1(VALU_DEP_1)
	v_and_b32_e32 v14, 0xfffff, v49
	v_add_nc_u32_e32 v49, v14, v101
                                        ; implicit-def: $vgpr14
	s_delay_alu instid0(VALU_DEP_3)
	v_cmpx_ne_u32_e64 v50, v51
	s_xor_b32 s14, exec_lo, s14
; %bb.5104:                             ;   in Loop: Header=BB6_4901 Depth=3
	s_delay_alu instid0(VALU_DEP_2) | instskip(SKIP_2) | instid1(VALU_DEP_2)
	v_cmp_lt_u32_e32 vcc_lo, 0xffffff, v49
	v_sub_nc_u32_e32 v14, v50, v51
	v_cndmask_b32_e64 v50, 0, 1, vcc_lo
	v_add_co_ci_u32_e32 v14, vcc_lo, 0, v14, vcc_lo
	s_delay_alu instid0(VALU_DEP_2)
	v_lshrrev_b32_e32 v49, v50, v49
; %bb.5105:                             ;   in Loop: Header=BB6_4901 Depth=3
	s_and_not1_saveexec_b32 s14, s14
; %bb.5106:                             ;   in Loop: Header=BB6_4901 Depth=3
	s_delay_alu instid0(VALU_DEP_1)
	v_bfe_u32 v14, v49, 23, 1
; %bb.5107:                             ;   in Loop: Header=BB6_4901 Depth=3
	s_or_b32 exec_lo, exec_lo, s14
	v_lshrrev_b32_e32 v49, 20, v49
	s_delay_alu instid0(VALU_DEP_2) | instskip(SKIP_2) | instid1(VALU_DEP_2)
	v_cmp_gt_i32_e32 vcc_lo, 16, v14
	v_lshrrev_b32_e32 v48, 24, v48
	v_min_i32_e32 v50, 15, v14
	v_dual_cndmask_b32 v49, 7, v49 :: v_dual_and_b32 v48, 0x80, v48
	s_delay_alu instid0(VALU_DEP_2) | instskip(NEXT) | instid1(VALU_DEP_2)
	v_lshlrev_b32_e32 v50, 3, v50
	v_or_b32_e32 v14, v14, v49
	s_delay_alu instid0(VALU_DEP_1) | instskip(SKIP_1) | instid1(VALU_DEP_1)
	v_cmp_ne_u32_e32 vcc_lo, 0, v14
	v_and_b32_e32 v51, 7, v49
	v_or3_b32 v48, v50, v48, v51
	s_delay_alu instid0(VALU_DEP_1)
	v_cndmask_b32_e32 v14, 0, v48, vcc_lo
.LBB6_5108:                             ;   in Loop: Header=BB6_4901 Depth=3
	s_or_b32 exec_lo, exec_lo, s31
.LBB6_5109:                             ;   in Loop: Header=BB6_4901 Depth=3
	s_delay_alu instid0(SALU_CYCLE_1) | instskip(SKIP_3) | instid1(VALU_DEP_1)
	s_or_b32 exec_lo, exec_lo, s15
	v_lshrrev_b16 v49, 8, v15
	s_mov_b32 s14, 0
	s_mov_b32 s31, exec_lo
                                        ; implicit-def: $sgpr15
	v_cmpx_lt_i16_e32 0x7f, v49
	s_xor_b32 s31, exec_lo, s31
	s_cbranch_execnz .LBB6_5264
; %bb.5110:                             ;   in Loop: Header=BB6_4901 Depth=3
	s_or_saveexec_b32 s31, s31
	v_mov_b32_e32 v48, s15
	s_xor_b32 exec_lo, exec_lo, s31
	s_cbranch_execnz .LBB6_5267
.LBB6_5111:                             ;   in Loop: Header=BB6_4901 Depth=3
	s_or_b32 exec_lo, exec_lo, s31
	s_and_saveexec_b32 s15, s14
	s_cbranch_execz .LBB6_5113
.LBB6_5112:                             ;   in Loop: Header=BB6_4901 Depth=3
	v_and_b32_e32 v48, 0xffff, v49
	v_lshlrev_b32_e32 v49, 24, v49
	s_delay_alu instid0(VALU_DEP_2) | instskip(NEXT) | instid1(VALU_DEP_2)
	v_and_b32_e32 v50, 7, v48
	v_and_b32_e32 v49, 0x80000000, v49
	s_delay_alu instid0(VALU_DEP_2) | instskip(NEXT) | instid1(VALU_DEP_1)
	v_clz_i32_u32_e32 v51, v50
	v_min_u32_e32 v51, 32, v51
	s_delay_alu instid0(VALU_DEP_1) | instskip(SKIP_1) | instid1(VALU_DEP_2)
	v_subrev_nc_u32_e32 v101, 28, v51
	v_sub_nc_u32_e32 v51, 29, v51
	v_lshlrev_b32_e32 v101, v101, v48
	v_bfe_u32 v48, v48, 3, 4
	s_delay_alu instid0(VALU_DEP_1) | instskip(NEXT) | instid1(VALU_DEP_3)
	v_cmp_eq_u32_e32 vcc_lo, 0, v48
	v_dual_cndmask_b32 v48, v48, v51 :: v_dual_and_b32 v101, 7, v101
	s_delay_alu instid0(VALU_DEP_1) | instskip(NEXT) | instid1(VALU_DEP_2)
	v_lshl_add_u32 v48, v48, 23, 0x3b800000
	v_cndmask_b32_e32 v50, v50, v101, vcc_lo
	s_delay_alu instid0(VALU_DEP_1) | instskip(NEXT) | instid1(VALU_DEP_1)
	v_lshlrev_b32_e32 v50, 20, v50
	v_or3_b32 v48, v49, v48, v50
.LBB6_5113:                             ;   in Loop: Header=BB6_4901 Depth=3
	s_or_b32 exec_lo, exec_lo, s15
	v_lshrrev_b16 v49, 8, v11
	s_mov_b32 s14, 0
	s_mov_b32 s31, exec_lo
                                        ; implicit-def: $sgpr15
	s_delay_alu instid0(VALU_DEP_1)
	v_cmpx_lt_i16_e32 0x7f, v49
	s_xor_b32 s31, exec_lo, s31
	s_cbranch_execnz .LBB6_5268
; %bb.5114:                             ;   in Loop: Header=BB6_4901 Depth=3
	s_or_saveexec_b32 s31, s31
	v_mov_b32_e32 v50, s15
	s_xor_b32 exec_lo, exec_lo, s31
	s_cbranch_execnz .LBB6_5271
.LBB6_5115:                             ;   in Loop: Header=BB6_4901 Depth=3
	s_or_b32 exec_lo, exec_lo, s31
	s_and_saveexec_b32 s15, s14
	s_cbranch_execz .LBB6_5117
.LBB6_5116:                             ;   in Loop: Header=BB6_4901 Depth=3
	v_and_b32_e32 v50, 0xffff, v49
	v_lshlrev_b32_e32 v49, 24, v49
	s_delay_alu instid0(VALU_DEP_2) | instskip(NEXT) | instid1(VALU_DEP_2)
	v_and_b32_e32 v51, 7, v50
	v_and_b32_e32 v49, 0x80000000, v49
	s_delay_alu instid0(VALU_DEP_2) | instskip(NEXT) | instid1(VALU_DEP_1)
	v_clz_i32_u32_e32 v101, v51
	v_min_u32_e32 v101, 32, v101
	s_delay_alu instid0(VALU_DEP_1) | instskip(SKIP_1) | instid1(VALU_DEP_2)
	v_subrev_nc_u32_e32 v102, 28, v101
	v_sub_nc_u32_e32 v101, 29, v101
	v_lshlrev_b32_e32 v102, v102, v50
	v_bfe_u32 v50, v50, 3, 4
	s_delay_alu instid0(VALU_DEP_2) | instskip(NEXT) | instid1(VALU_DEP_2)
	v_and_b32_e32 v102, 7, v102
	v_cmp_eq_u32_e32 vcc_lo, 0, v50
	s_delay_alu instid0(VALU_DEP_2) | instskip(NEXT) | instid1(VALU_DEP_1)
	v_dual_cndmask_b32 v50, v50, v101 :: v_dual_cndmask_b32 v51, v51, v102
	v_lshl_add_u32 v50, v50, 23, 0x3b800000
	s_delay_alu instid0(VALU_DEP_2) | instskip(NEXT) | instid1(VALU_DEP_1)
	v_lshlrev_b32_e32 v51, 20, v51
	v_or3_b32 v50, v49, v50, v51
.LBB6_5117:                             ;   in Loop: Header=BB6_4901 Depth=3
	s_or_b32 exec_lo, exec_lo, s15
	s_delay_alu instid0(VALU_DEP_1) | instskip(NEXT) | instid1(VALU_DEP_1)
	v_add_f32_e32 v49, v48, v50
	v_and_b32_e32 v48, 0x7f800000, v49
	s_delay_alu instid0(VALU_DEP_1)
	v_cmp_ne_u32_e32 vcc_lo, 0x7f800000, v48
	v_mov_b32_e32 v48, 0x8000
	s_and_saveexec_b32 s15, vcc_lo
	s_cbranch_execz .LBB6_5125
; %bb.5118:                             ;   in Loop: Header=BB6_4901 Depth=3
	v_mov_b32_e32 v48, 0
	s_mov_b32 s31, exec_lo
	v_cmpx_ne_u32_e32 0, v49
	s_cbranch_execz .LBB6_5124
; %bb.5119:                             ;   in Loop: Header=BB6_4901 Depth=3
	v_bfe_u32 v48, v49, 23, 8
	s_delay_alu instid0(VALU_DEP_1) | instskip(SKIP_1) | instid1(VALU_DEP_2)
	v_sub_nc_u32_e32 v51, 0x78, v48
	v_cmp_gt_u32_e32 vcc_lo, 0x79, v48
	v_dual_cndmask_b32 v51, 0, v51 :: v_dual_and_b32 v50, 0x7fffff, v49
	s_delay_alu instid0(VALU_DEP_1) | instskip(SKIP_2) | instid1(VALU_DEP_4)
	v_or_b32_e32 v101, 0x800000, v50
	v_cmp_eq_u32_e32 vcc_lo, 0, v48
	v_add_nc_u32_e32 v48, 0xffffff89, v48
	v_cndmask_b32_e64 v51, v51, 0x77, vcc_lo
	s_delay_alu instid0(VALU_DEP_4) | instskip(NEXT) | instid1(VALU_DEP_3)
	v_cndmask_b32_e32 v50, v101, v50, vcc_lo
	v_cndmask_b32_e64 v48, v48, 0xffffff8a, vcc_lo
	s_delay_alu instid0(VALU_DEP_3) | instskip(NEXT) | instid1(VALU_DEP_3)
	v_lshl_add_u32 v101, 0x100000, v51, -1
	v_lshrrev_b32_e32 v102, v51, v50
	v_lshlrev_b32_e64 v113, v51, 0x80000
	s_delay_alu instid0(VALU_DEP_4) | instskip(NEXT) | instid1(VALU_DEP_4)
	v_add_nc_u32_e32 v51, v51, v48
	v_and_b32_e32 v50, v101, v50
	s_delay_alu instid0(VALU_DEP_4) | instskip(NEXT) | instid1(VALU_DEP_2)
	v_bfe_u32 v112, v102, 20, 1
	v_cmp_eq_u32_e64 s14, v50, v113
	s_delay_alu instid0(VALU_DEP_2) | instskip(NEXT) | instid1(VALU_DEP_1)
	v_add_nc_u32_e32 v101, -1, v112
	v_cndmask_b32_e64 v50, 0, v101, s14
	v_lshrrev_b32_e32 v101, 23, v102
	s_mov_b32 s14, exec_lo
	s_delay_alu instid0(VALU_DEP_2) | instskip(NEXT) | instid1(VALU_DEP_2)
	v_add_nc_u32_e32 v50, v50, v102
	v_xor_b32_e32 v101, 1, v101
	s_delay_alu instid0(VALU_DEP_2) | instskip(NEXT) | instid1(VALU_DEP_1)
	v_and_b32_e32 v48, 0xfffff, v50
	v_add_nc_u32_e32 v50, v48, v102
                                        ; implicit-def: $vgpr48
	s_delay_alu instid0(VALU_DEP_3)
	v_cmpx_ne_u32_e64 v51, v101
	s_xor_b32 s14, exec_lo, s14
; %bb.5120:                             ;   in Loop: Header=BB6_4901 Depth=3
	s_delay_alu instid0(VALU_DEP_2) | instskip(SKIP_2) | instid1(VALU_DEP_2)
	v_cmp_lt_u32_e32 vcc_lo, 0xffffff, v50
	v_sub_nc_u32_e32 v48, v51, v101
	v_cndmask_b32_e64 v51, 0, 1, vcc_lo
	v_add_co_ci_u32_e32 v48, vcc_lo, 0, v48, vcc_lo
	s_delay_alu instid0(VALU_DEP_2)
	v_lshrrev_b32_e32 v50, v51, v50
; %bb.5121:                             ;   in Loop: Header=BB6_4901 Depth=3
	s_and_not1_saveexec_b32 s14, s14
; %bb.5122:                             ;   in Loop: Header=BB6_4901 Depth=3
	s_delay_alu instid0(VALU_DEP_1)
	v_bfe_u32 v48, v50, 23, 1
; %bb.5123:                             ;   in Loop: Header=BB6_4901 Depth=3
	s_or_b32 exec_lo, exec_lo, s14
	v_lshrrev_b32_e32 v50, 20, v50
	s_delay_alu instid0(VALU_DEP_2) | instskip(SKIP_2) | instid1(VALU_DEP_2)
	v_cmp_gt_i32_e32 vcc_lo, 16, v48
	v_min_i32_e32 v51, 15, v48
	v_lshrrev_b32_e32 v49, 24, v49
	v_dual_cndmask_b32 v50, 7, v50 :: v_dual_lshlrev_b32 v51, 3, v51
	s_delay_alu instid0(VALU_DEP_2) | instskip(NEXT) | instid1(VALU_DEP_2)
	v_and_b32_e32 v49, 0x80, v49
	v_or_b32_e32 v48, v48, v50
	s_delay_alu instid0(VALU_DEP_3) | instskip(NEXT) | instid1(VALU_DEP_2)
	v_and_b32_e32 v51, 0xf8, v51
	v_cmp_ne_u32_e32 vcc_lo, 0, v48
	v_and_b32_e32 v101, 7, v50
	s_delay_alu instid0(VALU_DEP_1) | instskip(NEXT) | instid1(VALU_DEP_1)
	v_or3_b32 v49, v49, v51, v101
	v_lshlrev_b32_e32 v49, 8, v49
	s_delay_alu instid0(VALU_DEP_1)
	v_cndmask_b32_e32 v48, 0, v49, vcc_lo
.LBB6_5124:                             ;   in Loop: Header=BB6_4901 Depth=3
	s_or_b32 exec_lo, exec_lo, s31
.LBB6_5125:                             ;   in Loop: Header=BB6_4901 Depth=3
	s_delay_alu instid0(SALU_CYCLE_1) | instskip(SKIP_3) | instid1(VALU_DEP_1)
	s_or_b32 exec_lo, exec_lo, s15
	v_lshrrev_b32_e32 v50, 16, v15
	s_mov_b32 s14, 0
	s_mov_b32 s31, exec_lo
                                        ; implicit-def: $sgpr15
	v_and_b32_e32 v51, 0xff, v50
	s_delay_alu instid0(VALU_DEP_1)
	v_cmpx_lt_i16_e32 0x7f, v51
	s_xor_b32 s31, exec_lo, s31
	s_cbranch_execnz .LBB6_5272
; %bb.5126:                             ;   in Loop: Header=BB6_4901 Depth=3
	s_or_saveexec_b32 s31, s31
	v_mov_b32_e32 v49, s15
	s_xor_b32 exec_lo, exec_lo, s31
	s_cbranch_execnz .LBB6_5275
.LBB6_5127:                             ;   in Loop: Header=BB6_4901 Depth=3
	s_or_b32 exec_lo, exec_lo, s31
	s_and_saveexec_b32 s15, s14
	s_cbranch_execz .LBB6_5129
.LBB6_5128:                             ;   in Loop: Header=BB6_4901 Depth=3
	v_bfe_u32 v49, v15, 16, 3
	s_delay_alu instid0(VALU_DEP_1) | instskip(NEXT) | instid1(VALU_DEP_1)
	v_clz_i32_u32_e32 v51, v49
	v_min_u32_e32 v51, 32, v51
	s_delay_alu instid0(VALU_DEP_1) | instskip(SKIP_1) | instid1(VALU_DEP_2)
	v_subrev_nc_u32_e32 v101, 28, v51
	v_sub_nc_u32_e32 v51, 29, v51
	v_lshlrev_b32_e32 v50, v101, v50
	v_bfe_u32 v101, v15, 19, 4
	s_delay_alu instid0(VALU_DEP_1) | instskip(NEXT) | instid1(VALU_DEP_3)
	v_cmp_eq_u32_e32 vcc_lo, 0, v101
	v_dual_cndmask_b32 v51, v101, v51 :: v_dual_and_b32 v50, 7, v50
	s_delay_alu instid0(VALU_DEP_1) | instskip(NEXT) | instid1(VALU_DEP_2)
	v_dual_cndmask_b32 v49, v49, v50 :: v_dual_lshlrev_b32 v102, 8, v15
	v_lshl_add_u32 v51, v51, 23, 0x3b800000
	s_delay_alu instid0(VALU_DEP_2) | instskip(NEXT) | instid1(VALU_DEP_3)
	v_and_b32_e32 v50, 0x80000000, v102
	v_lshlrev_b32_e32 v49, 20, v49
	s_delay_alu instid0(VALU_DEP_1)
	v_or3_b32 v49, v50, v51, v49
.LBB6_5129:                             ;   in Loop: Header=BB6_4901 Depth=3
	s_or_b32 exec_lo, exec_lo, s15
	v_lshrrev_b32_e32 v50, 16, v11
	s_mov_b32 s14, 0
	s_mov_b32 s31, exec_lo
                                        ; implicit-def: $sgpr15
	s_delay_alu instid0(VALU_DEP_1) | instskip(NEXT) | instid1(VALU_DEP_1)
	v_and_b32_e32 v101, 0xff, v50
	v_cmpx_lt_i16_e32 0x7f, v101
	s_xor_b32 s31, exec_lo, s31
	s_cbranch_execnz .LBB6_5276
; %bb.5130:                             ;   in Loop: Header=BB6_4901 Depth=3
	s_or_saveexec_b32 s31, s31
	v_mov_b32_e32 v51, s15
	s_xor_b32 exec_lo, exec_lo, s31
	s_cbranch_execnz .LBB6_5279
.LBB6_5131:                             ;   in Loop: Header=BB6_4901 Depth=3
	s_or_b32 exec_lo, exec_lo, s31
	s_and_saveexec_b32 s15, s14
	s_cbranch_execz .LBB6_5133
.LBB6_5132:                             ;   in Loop: Header=BB6_4901 Depth=3
	v_bfe_u32 v51, v11, 16, 3
	v_lshlrev_b32_e32 v112, 8, v11
	s_delay_alu instid0(VALU_DEP_2) | instskip(NEXT) | instid1(VALU_DEP_1)
	v_clz_i32_u32_e32 v101, v51
	v_min_u32_e32 v101, 32, v101
	s_delay_alu instid0(VALU_DEP_1) | instskip(SKIP_1) | instid1(VALU_DEP_2)
	v_subrev_nc_u32_e32 v102, 28, v101
	v_sub_nc_u32_e32 v101, 29, v101
	v_lshlrev_b32_e32 v50, v102, v50
	v_bfe_u32 v102, v11, 19, 4
	s_delay_alu instid0(VALU_DEP_1) | instskip(NEXT) | instid1(VALU_DEP_3)
	v_cmp_eq_u32_e32 vcc_lo, 0, v102
	v_dual_cndmask_b32 v101, v102, v101 :: v_dual_and_b32 v50, 7, v50
	s_delay_alu instid0(VALU_DEP_1) | instskip(NEXT) | instid1(VALU_DEP_2)
	v_dual_cndmask_b32 v50, v51, v50 :: v_dual_and_b32 v51, 0x80000000, v112
	v_lshl_add_u32 v101, v101, 23, 0x3b800000
	s_delay_alu instid0(VALU_DEP_2) | instskip(NEXT) | instid1(VALU_DEP_1)
	v_lshlrev_b32_e32 v50, 20, v50
	v_or3_b32 v51, v51, v101, v50
.LBB6_5133:                             ;   in Loop: Header=BB6_4901 Depth=3
	s_or_b32 exec_lo, exec_lo, s15
	s_delay_alu instid0(VALU_DEP_1) | instskip(NEXT) | instid1(VALU_DEP_1)
	v_add_f32_e32 v50, v49, v51
	v_and_b32_e32 v49, 0x7f800000, v50
	s_delay_alu instid0(VALU_DEP_1)
	v_cmp_ne_u32_e32 vcc_lo, 0x7f800000, v49
	v_mov_b32_e32 v49, 0x80
	s_and_saveexec_b32 s15, vcc_lo
	s_cbranch_execz .LBB6_5141
; %bb.5134:                             ;   in Loop: Header=BB6_4901 Depth=3
	v_mov_b32_e32 v49, 0
	s_mov_b32 s31, exec_lo
	v_cmpx_ne_u32_e32 0, v50
	s_cbranch_execz .LBB6_5140
; %bb.5135:                             ;   in Loop: Header=BB6_4901 Depth=3
	v_bfe_u32 v49, v50, 23, 8
	v_and_b32_e32 v51, 0x7fffff, v50
	s_delay_alu instid0(VALU_DEP_2) | instskip(SKIP_1) | instid1(VALU_DEP_3)
	v_sub_nc_u32_e32 v101, 0x78, v49
	v_cmp_gt_u32_e32 vcc_lo, 0x79, v49
	v_or_b32_e32 v102, 0x800000, v51
	s_delay_alu instid0(VALU_DEP_3) | instskip(SKIP_2) | instid1(VALU_DEP_3)
	v_cndmask_b32_e32 v101, 0, v101, vcc_lo
	v_cmp_eq_u32_e32 vcc_lo, 0, v49
	v_add_nc_u32_e32 v49, 0xffffff89, v49
	v_cndmask_b32_e64 v101, v101, 0x77, vcc_lo
	v_cndmask_b32_e32 v51, v102, v51, vcc_lo
	s_delay_alu instid0(VALU_DEP_3) | instskip(NEXT) | instid1(VALU_DEP_3)
	v_cndmask_b32_e64 v49, v49, 0xffffff8a, vcc_lo
	v_lshl_add_u32 v102, 0x100000, v101, -1
	s_delay_alu instid0(VALU_DEP_3) | instskip(SKIP_1) | instid1(VALU_DEP_4)
	v_lshrrev_b32_e32 v112, v101, v51
	v_lshlrev_b32_e64 v114, v101, 0x80000
	v_add_nc_u32_e32 v101, v101, v49
	s_delay_alu instid0(VALU_DEP_4) | instskip(NEXT) | instid1(VALU_DEP_4)
	v_and_b32_e32 v51, v102, v51
	v_bfe_u32 v113, v112, 20, 1
	s_delay_alu instid0(VALU_DEP_2) | instskip(NEXT) | instid1(VALU_DEP_2)
	v_cmp_eq_u32_e64 s14, v51, v114
	v_add_nc_u32_e32 v102, -1, v113
	s_delay_alu instid0(VALU_DEP_1) | instskip(SKIP_2) | instid1(VALU_DEP_2)
	v_cndmask_b32_e64 v51, 0, v102, s14
	v_lshrrev_b32_e32 v102, 23, v112
	s_mov_b32 s14, exec_lo
	v_add_nc_u32_e32 v51, v51, v112
	s_delay_alu instid0(VALU_DEP_2) | instskip(NEXT) | instid1(VALU_DEP_2)
	v_xor_b32_e32 v102, 1, v102
	v_and_b32_e32 v49, 0xfffff, v51
	s_delay_alu instid0(VALU_DEP_1) | instskip(NEXT) | instid1(VALU_DEP_3)
	v_add_nc_u32_e32 v51, v49, v112
                                        ; implicit-def: $vgpr49
	v_cmpx_ne_u32_e64 v101, v102
	s_xor_b32 s14, exec_lo, s14
; %bb.5136:                             ;   in Loop: Header=BB6_4901 Depth=3
	s_delay_alu instid0(VALU_DEP_2) | instskip(SKIP_2) | instid1(VALU_DEP_2)
	v_cmp_lt_u32_e32 vcc_lo, 0xffffff, v51
	v_sub_nc_u32_e32 v49, v101, v102
	v_cndmask_b32_e64 v101, 0, 1, vcc_lo
	v_add_co_ci_u32_e32 v49, vcc_lo, 0, v49, vcc_lo
	s_delay_alu instid0(VALU_DEP_2)
	v_lshrrev_b32_e32 v51, v101, v51
; %bb.5137:                             ;   in Loop: Header=BB6_4901 Depth=3
	s_and_not1_saveexec_b32 s14, s14
; %bb.5138:                             ;   in Loop: Header=BB6_4901 Depth=3
	s_delay_alu instid0(VALU_DEP_1)
	v_bfe_u32 v49, v51, 23, 1
; %bb.5139:                             ;   in Loop: Header=BB6_4901 Depth=3
	s_or_b32 exec_lo, exec_lo, s14
	v_lshrrev_b32_e32 v51, 20, v51
	s_delay_alu instid0(VALU_DEP_2) | instskip(SKIP_2) | instid1(VALU_DEP_4)
	v_cmp_gt_i32_e32 vcc_lo, 16, v49
	v_min_i32_e32 v101, 15, v49
	v_lshrrev_b32_e32 v50, 24, v50
	v_cndmask_b32_e32 v51, 7, v51, vcc_lo
	s_delay_alu instid0(VALU_DEP_3) | instskip(NEXT) | instid1(VALU_DEP_3)
	v_lshlrev_b32_e32 v101, 3, v101
	v_and_b32_e32 v50, 0x80, v50
	s_delay_alu instid0(VALU_DEP_3) | instskip(NEXT) | instid1(VALU_DEP_3)
	v_or_b32_e32 v49, v49, v51
	v_and_b32_e32 v101, 0xf8, v101
	s_delay_alu instid0(VALU_DEP_2) | instskip(SKIP_1) | instid1(VALU_DEP_1)
	v_cmp_ne_u32_e32 vcc_lo, 0, v49
	v_and_b32_e32 v102, 7, v51
	v_or3_b32 v50, v101, v50, v102
	s_delay_alu instid0(VALU_DEP_1)
	v_cndmask_b32_e32 v49, 0, v50, vcc_lo
.LBB6_5140:                             ;   in Loop: Header=BB6_4901 Depth=3
	s_or_b32 exec_lo, exec_lo, s31
.LBB6_5141:                             ;   in Loop: Header=BB6_4901 Depth=3
	s_delay_alu instid0(SALU_CYCLE_1) | instskip(SKIP_3) | instid1(VALU_DEP_1)
	s_or_b32 exec_lo, exec_lo, s15
	v_lshrrev_b32_e32 v51, 24, v15
	s_mov_b32 s14, 0
	s_mov_b32 s31, exec_lo
                                        ; implicit-def: $sgpr15
	v_cmpx_lt_i16_e32 0x7f, v51
	s_xor_b32 s31, exec_lo, s31
	s_cbranch_execnz .LBB6_5280
; %bb.5142:                             ;   in Loop: Header=BB6_4901 Depth=3
	s_or_saveexec_b32 s31, s31
	v_mov_b32_e32 v50, s15
	s_xor_b32 exec_lo, exec_lo, s31
	s_cbranch_execnz .LBB6_5283
.LBB6_5143:                             ;   in Loop: Header=BB6_4901 Depth=3
	s_or_b32 exec_lo, exec_lo, s31
	s_and_saveexec_b32 s15, s14
	s_cbranch_execz .LBB6_5145
.LBB6_5144:                             ;   in Loop: Header=BB6_4901 Depth=3
	v_bfe_u32 v50, v15, 24, 3
	s_delay_alu instid0(VALU_DEP_1) | instskip(NEXT) | instid1(VALU_DEP_1)
	v_clz_i32_u32_e32 v101, v50
	v_min_u32_e32 v101, 32, v101
	s_delay_alu instid0(VALU_DEP_1) | instskip(SKIP_1) | instid1(VALU_DEP_2)
	v_subrev_nc_u32_e32 v102, 28, v101
	v_sub_nc_u32_e32 v101, 29, v101
	v_lshlrev_b32_e32 v51, v102, v51
	v_bfe_u32 v102, v15, 27, 4
	v_and_b32_e32 v15, 0x80000000, v15
	s_delay_alu instid0(VALU_DEP_3) | instskip(NEXT) | instid1(VALU_DEP_3)
	v_and_b32_e32 v51, 7, v51
	v_cmp_eq_u32_e32 vcc_lo, 0, v102
	s_delay_alu instid0(VALU_DEP_2) | instskip(NEXT) | instid1(VALU_DEP_1)
	v_cndmask_b32_e32 v50, v50, v51, vcc_lo
	v_dual_cndmask_b32 v101, v102, v101 :: v_dual_lshlrev_b32 v50, 20, v50
	s_delay_alu instid0(VALU_DEP_1) | instskip(NEXT) | instid1(VALU_DEP_1)
	v_lshl_add_u32 v51, v101, 23, 0x3b800000
	v_or3_b32 v50, v15, v51, v50
.LBB6_5145:                             ;   in Loop: Header=BB6_4901 Depth=3
	s_or_b32 exec_lo, exec_lo, s15
	v_lshrrev_b32_e32 v15, 24, v11
	s_mov_b32 s14, 0
	s_mov_b32 s31, exec_lo
                                        ; implicit-def: $sgpr15
	s_delay_alu instid0(VALU_DEP_1)
	v_cmpx_lt_i16_e32 0x7f, v15
	s_xor_b32 s31, exec_lo, s31
	s_cbranch_execnz .LBB6_5284
; %bb.5146:                             ;   in Loop: Header=BB6_4901 Depth=3
	s_or_saveexec_b32 s31, s31
	v_mov_b32_e32 v51, s15
	s_xor_b32 exec_lo, exec_lo, s31
	s_cbranch_execnz .LBB6_5287
.LBB6_5147:                             ;   in Loop: Header=BB6_4901 Depth=3
	s_or_b32 exec_lo, exec_lo, s31
	s_and_saveexec_b32 s15, s14
	s_cbranch_execz .LBB6_5149
.LBB6_5148:                             ;   in Loop: Header=BB6_4901 Depth=3
	v_bfe_u32 v51, v11, 24, 3
	s_delay_alu instid0(VALU_DEP_1) | instskip(NEXT) | instid1(VALU_DEP_1)
	v_clz_i32_u32_e32 v101, v51
	v_min_u32_e32 v101, 32, v101
	s_delay_alu instid0(VALU_DEP_1) | instskip(SKIP_1) | instid1(VALU_DEP_2)
	v_subrev_nc_u32_e32 v102, 28, v101
	v_sub_nc_u32_e32 v101, 29, v101
	v_lshlrev_b32_e32 v15, v102, v15
	v_bfe_u32 v102, v11, 27, 4
	v_and_b32_e32 v11, 0x80000000, v11
	s_delay_alu instid0(VALU_DEP_3) | instskip(NEXT) | instid1(VALU_DEP_3)
	v_and_b32_e32 v15, 7, v15
	v_cmp_eq_u32_e32 vcc_lo, 0, v102
	v_cndmask_b32_e32 v101, v102, v101, vcc_lo
	s_delay_alu instid0(VALU_DEP_3) | instskip(NEXT) | instid1(VALU_DEP_2)
	v_cndmask_b32_e32 v15, v51, v15, vcc_lo
	v_lshl_add_u32 v51, v101, 23, 0x3b800000
	s_delay_alu instid0(VALU_DEP_2) | instskip(NEXT) | instid1(VALU_DEP_1)
	v_lshlrev_b32_e32 v15, 20, v15
	v_or3_b32 v51, v11, v51, v15
.LBB6_5149:                             ;   in Loop: Header=BB6_4901 Depth=3
	s_or_b32 exec_lo, exec_lo, s15
	s_delay_alu instid0(VALU_DEP_1) | instskip(NEXT) | instid1(VALU_DEP_1)
	v_add_f32_e32 v11, v50, v51
	v_and_b32_e32 v15, 0x7f800000, v11
	s_delay_alu instid0(VALU_DEP_1)
	v_cmp_ne_u32_e32 vcc_lo, 0x7f800000, v15
	v_mov_b32_e32 v15, 0x8000
	s_and_saveexec_b32 s15, vcc_lo
	s_cbranch_execz .LBB6_5157
; %bb.5150:                             ;   in Loop: Header=BB6_4901 Depth=3
	v_mov_b32_e32 v15, 0
	s_mov_b32 s31, exec_lo
	v_cmpx_ne_u32_e32 0, v11
	s_cbranch_execz .LBB6_5156
; %bb.5151:                             ;   in Loop: Header=BB6_4901 Depth=3
	v_bfe_u32 v15, v11, 23, 8
	v_and_b32_e32 v50, 0x7fffff, v11
	s_delay_alu instid0(VALU_DEP_2) | instskip(SKIP_1) | instid1(VALU_DEP_3)
	v_sub_nc_u32_e32 v51, 0x78, v15
	v_cmp_gt_u32_e32 vcc_lo, 0x79, v15
	v_or_b32_e32 v101, 0x800000, v50
	s_delay_alu instid0(VALU_DEP_3) | instskip(SKIP_1) | instid1(VALU_DEP_3)
	v_cndmask_b32_e32 v51, 0, v51, vcc_lo
	v_cmp_eq_u32_e32 vcc_lo, 0, v15
	v_dual_cndmask_b32 v50, v101, v50 :: v_dual_add_nc_u32 v15, 0xffffff89, v15
	s_delay_alu instid0(VALU_DEP_3) | instskip(NEXT) | instid1(VALU_DEP_2)
	v_cndmask_b32_e64 v51, v51, 0x77, vcc_lo
	v_cndmask_b32_e64 v15, v15, 0xffffff8a, vcc_lo
	s_delay_alu instid0(VALU_DEP_2) | instskip(SKIP_2) | instid1(VALU_DEP_4)
	v_lshrrev_b32_e32 v102, v51, v50
	v_lshl_add_u32 v101, 0x100000, v51, -1
	v_lshlrev_b32_e64 v113, v51, 0x80000
	v_add_nc_u32_e32 v51, v51, v15
	s_delay_alu instid0(VALU_DEP_4) | instskip(NEXT) | instid1(VALU_DEP_4)
	v_bfe_u32 v112, v102, 20, 1
	v_and_b32_e32 v50, v101, v50
	s_delay_alu instid0(VALU_DEP_2) | instskip(NEXT) | instid1(VALU_DEP_2)
	v_add_nc_u32_e32 v101, -1, v112
	v_cmp_eq_u32_e64 s14, v50, v113
	s_delay_alu instid0(VALU_DEP_1) | instskip(SKIP_2) | instid1(VALU_DEP_2)
	v_cndmask_b32_e64 v50, 0, v101, s14
	v_lshrrev_b32_e32 v101, 23, v102
	s_mov_b32 s14, exec_lo
	v_add_nc_u32_e32 v50, v50, v102
	s_delay_alu instid0(VALU_DEP_2) | instskip(NEXT) | instid1(VALU_DEP_2)
	v_xor_b32_e32 v101, 1, v101
	v_and_b32_e32 v15, 0xfffff, v50
	s_delay_alu instid0(VALU_DEP_1) | instskip(NEXT) | instid1(VALU_DEP_3)
	v_add_nc_u32_e32 v50, v15, v102
                                        ; implicit-def: $vgpr15
	v_cmpx_ne_u32_e64 v51, v101
	s_xor_b32 s14, exec_lo, s14
; %bb.5152:                             ;   in Loop: Header=BB6_4901 Depth=3
	s_delay_alu instid0(VALU_DEP_2) | instskip(SKIP_2) | instid1(VALU_DEP_2)
	v_cmp_lt_u32_e32 vcc_lo, 0xffffff, v50
	v_sub_nc_u32_e32 v15, v51, v101
	v_cndmask_b32_e64 v51, 0, 1, vcc_lo
	v_add_co_ci_u32_e32 v15, vcc_lo, 0, v15, vcc_lo
	s_delay_alu instid0(VALU_DEP_2)
	v_lshrrev_b32_e32 v50, v51, v50
; %bb.5153:                             ;   in Loop: Header=BB6_4901 Depth=3
	s_and_not1_saveexec_b32 s14, s14
; %bb.5154:                             ;   in Loop: Header=BB6_4901 Depth=3
	s_delay_alu instid0(VALU_DEP_1)
	v_bfe_u32 v15, v50, 23, 1
; %bb.5155:                             ;   in Loop: Header=BB6_4901 Depth=3
	s_or_b32 exec_lo, exec_lo, s14
	v_lshrrev_b32_e32 v50, 20, v50
	s_delay_alu instid0(VALU_DEP_2) | instskip(SKIP_2) | instid1(VALU_DEP_3)
	v_min_i32_e32 v51, 15, v15
	v_cmp_gt_i32_e32 vcc_lo, 16, v15
	v_lshrrev_b32_e32 v11, 24, v11
	v_dual_cndmask_b32 v50, 7, v50 :: v_dual_lshlrev_b32 v51, 3, v51
	s_delay_alu instid0(VALU_DEP_2) | instskip(NEXT) | instid1(VALU_DEP_2)
	v_and_b32_e32 v11, 0x80, v11
	v_and_b32_e32 v51, 0xf8, v51
	s_delay_alu instid0(VALU_DEP_3) | instskip(SKIP_1) | instid1(VALU_DEP_2)
	v_and_b32_e32 v101, 7, v50
	v_or_b32_e32 v15, v15, v50
	v_or3_b32 v11, v11, v51, v101
	s_delay_alu instid0(VALU_DEP_2) | instskip(NEXT) | instid1(VALU_DEP_2)
	v_cmp_ne_u32_e32 vcc_lo, 0, v15
	v_lshlrev_b32_e32 v11, 8, v11
	s_delay_alu instid0(VALU_DEP_1)
	v_cndmask_b32_e32 v15, 0, v11, vcc_lo
.LBB6_5156:                             ;   in Loop: Header=BB6_4901 Depth=3
	s_or_b32 exec_lo, exec_lo, s31
.LBB6_5157:                             ;   in Loop: Header=BB6_4901 Depth=3
	s_delay_alu instid0(SALU_CYCLE_1)
	s_or_b32 exec_lo, exec_lo, s15
	v_or_b32_e32 v9, v9, v37
	v_and_b32_e32 v11, 0xff, v35
	v_lshlrev_b32_e32 v34, 8, v34
	v_and_b32_e32 v35, 0xff, v39
	v_lshlrev_b32_e32 v37, 8, v38
	v_or_b32_e32 v15, v15, v49
	v_and_b32_e32 v12, 0xff, v12
	v_lshlrev_b32_e32 v8, 24, v8
	v_lshlrev_b32_e32 v9, 16, v9
	;; [unrolled: 1-line block ×3, first 2 shown]
	v_perm_b32 v33, v34, v33, 0xc0c0500
	v_lshlrev_b32_e32 v10, 24, v10
	v_lshlrev_b32_e32 v34, 16, v35
	v_perm_b32 v13, v37, v13, 0xc0c0500
	v_and_b32_e32 v14, 0xff, v14
	v_lshlrev_b32_e32 v15, 16, v15
	v_or3_b32 v9, v36, v12, v9
	v_or3_b32 v8, v8, v11, v33
	;; [unrolled: 1-line block ×3, first 2 shown]
	s_mov_b64 s[14:15], 0
	v_or3_b32 v11, v48, v14, v15
	s_mov_b32 s31, -1
.LBB6_5158:                             ;   Parent Loop BB6_51 Depth=1
                                        ;     Parent Loop BB6_3271 Depth=2
                                        ;       Parent Loop BB6_4901 Depth=3
                                        ; =>      This Inner Loop Header: Depth=4
	s_cmp_eq_u32 s14, 0
	v_cndmask_b32_e64 v14, 0, 1, s31
	s_cselect_b32 vcc_lo, -1, 0
	s_cmp_eq_u32 s14, 1
	s_mov_b32 s31, 0
	s_cselect_b32 s14, -1, 0
	s_delay_alu instid0(SALU_CYCLE_1) | instskip(SKIP_1) | instid1(VALU_DEP_2)
	v_cndmask_b32_e64 v12, v16, v18, s14
	v_cndmask_b32_e64 v13, v17, v19, s14
	v_add_co_u32 v15, s15, 0x200, v12
	s_delay_alu instid0(VALU_DEP_1) | instskip(SKIP_1) | instid1(VALU_DEP_3)
	v_add_co_ci_u32_e64 v33, s15, 0, v13, s15
	v_cmp_ne_u32_e64 s15, 1, v14
	v_cndmask_b32_e64 v18, v18, v15, s14
	v_cndmask_b32_e32 v16, v16, v15, vcc_lo
	s_delay_alu instid0(VALU_DEP_4)
	v_cndmask_b32_e64 v19, v19, v33, s14
	v_cndmask_b32_e32 v17, v17, v33, vcc_lo
	s_and_b32 vcc_lo, exec_lo, s15
	s_mov_b64 s[14:15], 1
	global_store_b128 v[12:13], v[8:11], off glc slc dlc
	s_cbranch_vccz .LBB6_5158
; %bb.5159:                             ;   in Loop: Header=BB6_4901 Depth=3
	v_add_co_u32 v20, vcc_lo, v20, v148
	v_add_co_ci_u32_e32 v21, vcc_lo, v21, v149, vcc_lo
	v_add_co_u32 v22, vcc_lo, v22, v148
	v_sub_nc_u32_e32 v32, v32, v132
	v_add_co_ci_u32_e32 v23, vcc_lo, v23, v149, vcc_lo
	v_add_co_u32 v16, vcc_lo, v16, v134
	v_add_co_ci_u32_e32 v17, vcc_lo, v17, v146, vcc_lo
	s_delay_alu instid0(VALU_DEP_4) | instskip(SKIP_1) | instid1(VALU_DEP_1)
	v_cmp_gt_i32_e32 vcc_lo, 16, v32
	v_add_co_u32 v18, s14, v18, v134
	v_add_co_ci_u32_e64 v19, s14, v19, v146, s14
	v_sub_nc_u32_e32 v27, v27, v129
	s_or_b32 s30, vcc_lo, s30
	s_delay_alu instid0(SALU_CYCLE_1)
	s_and_not1_b32 exec_lo, exec_lo, s30
	s_cbranch_execnz .LBB6_4901
	s_branch .LBB6_5288
.LBB6_5160:                             ;   in Loop: Header=BB6_4901 Depth=3
	s_mov_b32 s14, -1
	s_mov_b32 s34, exec_lo
                                        ; implicit-def: $sgpr15
	v_cmpx_eq_u16_e32 0x80, v34
; %bb.5161:                             ;   in Loop: Header=BB6_4901 Depth=3
	s_mov_b32 s15, 0x7f800001
	s_xor_b32 s14, exec_lo, -1
; %bb.5162:                             ;   in Loop: Header=BB6_4901 Depth=3
	s_or_b32 exec_lo, exec_lo, s34
	s_delay_alu instid0(SALU_CYCLE_1)
	s_and_b32 s14, s14, exec_lo
                                        ; implicit-def: $vgpr34
	s_or_saveexec_b32 s31, s31
	v_mov_b32_e32 v33, s15
	s_xor_b32 exec_lo, exec_lo, s31
	s_cbranch_execz .LBB6_4903
.LBB6_5163:                             ;   in Loop: Header=BB6_4901 Depth=3
	v_cmp_ne_u16_e32 vcc_lo, 0, v34
	v_mov_b32_e32 v33, 0
	s_and_not1_b32 s14, s14, exec_lo
	s_and_b32 s15, vcc_lo, exec_lo
	s_delay_alu instid0(SALU_CYCLE_1)
	s_or_b32 s14, s14, s15
	s_or_b32 exec_lo, exec_lo, s31
	s_and_saveexec_b32 s15, s14
	s_cbranch_execnz .LBB6_4904
	s_branch .LBB6_4905
.LBB6_5164:                             ;   in Loop: Header=BB6_4901 Depth=3
	s_mov_b32 s14, -1
	s_mov_b32 s34, exec_lo
                                        ; implicit-def: $sgpr15
	v_cmpx_eq_u16_e32 0x80, v35
; %bb.5165:                             ;   in Loop: Header=BB6_4901 Depth=3
	s_mov_b32 s15, 0x7f800001
	s_xor_b32 s14, exec_lo, -1
; %bb.5166:                             ;   in Loop: Header=BB6_4901 Depth=3
	s_or_b32 exec_lo, exec_lo, s34
	s_delay_alu instid0(SALU_CYCLE_1)
	s_and_b32 s14, s14, exec_lo
                                        ; implicit-def: $vgpr35
	s_or_saveexec_b32 s31, s31
	v_mov_b32_e32 v34, s15
	s_xor_b32 exec_lo, exec_lo, s31
	s_cbranch_execz .LBB6_4907
.LBB6_5167:                             ;   in Loop: Header=BB6_4901 Depth=3
	v_cmp_ne_u16_e32 vcc_lo, 0, v35
	v_mov_b32_e32 v34, 0
	s_and_not1_b32 s14, s14, exec_lo
	s_and_b32 s15, vcc_lo, exec_lo
	s_delay_alu instid0(SALU_CYCLE_1)
	s_or_b32 s14, s14, s15
	s_or_b32 exec_lo, exec_lo, s31
	s_and_saveexec_b32 s15, s14
	s_cbranch_execnz .LBB6_4908
	s_branch .LBB6_4909
.LBB6_5168:                             ;   in Loop: Header=BB6_4901 Depth=3
	s_mov_b32 s14, -1
	s_mov_b32 s34, exec_lo
                                        ; implicit-def: $sgpr15
	v_cmpx_eq_u16_e32 0x80, v35
; %bb.5169:                             ;   in Loop: Header=BB6_4901 Depth=3
	s_mov_b32 s15, 0x7f800001
	s_xor_b32 s14, exec_lo, -1
; %bb.5170:                             ;   in Loop: Header=BB6_4901 Depth=3
	s_or_b32 exec_lo, exec_lo, s34
	s_delay_alu instid0(SALU_CYCLE_1)
	s_and_b32 s14, s14, exec_lo
	s_or_saveexec_b32 s31, s31
	v_mov_b32_e32 v34, s15
	s_xor_b32 exec_lo, exec_lo, s31
	s_cbranch_execz .LBB6_4919
.LBB6_5171:                             ;   in Loop: Header=BB6_4901 Depth=3
	v_cmp_ne_u16_e32 vcc_lo, 0, v35
	v_mov_b32_e32 v34, 0
	s_and_not1_b32 s14, s14, exec_lo
	s_and_b32 s15, vcc_lo, exec_lo
	s_delay_alu instid0(SALU_CYCLE_1)
	s_or_b32 s14, s14, s15
	s_or_b32 exec_lo, exec_lo, s31
	s_and_saveexec_b32 s15, s14
	s_cbranch_execnz .LBB6_4920
	s_branch .LBB6_4921
.LBB6_5172:                             ;   in Loop: Header=BB6_4901 Depth=3
	s_mov_b32 s14, -1
	s_mov_b32 s34, exec_lo
                                        ; implicit-def: $sgpr15
	v_cmpx_eq_u16_e32 0x80, v35
; %bb.5173:                             ;   in Loop: Header=BB6_4901 Depth=3
	s_mov_b32 s15, 0x7f800001
	s_xor_b32 s14, exec_lo, -1
; %bb.5174:                             ;   in Loop: Header=BB6_4901 Depth=3
	s_or_b32 exec_lo, exec_lo, s34
	s_delay_alu instid0(SALU_CYCLE_1)
	s_and_b32 s14, s14, exec_lo
	s_or_saveexec_b32 s31, s31
	v_mov_b32_e32 v36, s15
	s_xor_b32 exec_lo, exec_lo, s31
	s_cbranch_execz .LBB6_4923
.LBB6_5175:                             ;   in Loop: Header=BB6_4901 Depth=3
	v_cmp_ne_u16_e32 vcc_lo, 0, v35
	v_mov_b32_e32 v36, 0
	s_and_not1_b32 s14, s14, exec_lo
	s_and_b32 s15, vcc_lo, exec_lo
	s_delay_alu instid0(SALU_CYCLE_1)
	s_or_b32 s14, s14, s15
	s_or_b32 exec_lo, exec_lo, s31
	s_and_saveexec_b32 s15, s14
	s_cbranch_execnz .LBB6_4924
	s_branch .LBB6_4925
.LBB6_5176:                             ;   in Loop: Header=BB6_4901 Depth=3
	s_mov_b32 s14, -1
	s_mov_b32 s34, exec_lo
                                        ; implicit-def: $sgpr15
	v_cmpx_eq_u16_e32 0x80, v37
; %bb.5177:                             ;   in Loop: Header=BB6_4901 Depth=3
	s_mov_b32 s15, 0x7f800001
	s_xor_b32 s14, exec_lo, -1
; %bb.5178:                             ;   in Loop: Header=BB6_4901 Depth=3
	s_or_b32 exec_lo, exec_lo, s34
	s_delay_alu instid0(SALU_CYCLE_1)
	s_and_b32 s14, s14, exec_lo
                                        ; implicit-def: $vgpr37
	s_or_saveexec_b32 s31, s31
	v_mov_b32_e32 v35, s15
	s_xor_b32 exec_lo, exec_lo, s31
	s_cbranch_execz .LBB6_4935
.LBB6_5179:                             ;   in Loop: Header=BB6_4901 Depth=3
	v_cmp_ne_u16_e32 vcc_lo, 0, v37
	v_mov_b32_e32 v35, 0
	s_and_not1_b32 s14, s14, exec_lo
	s_and_b32 s15, vcc_lo, exec_lo
	s_delay_alu instid0(SALU_CYCLE_1)
	s_or_b32 s14, s14, s15
	s_or_b32 exec_lo, exec_lo, s31
	s_and_saveexec_b32 s15, s14
	s_cbranch_execnz .LBB6_4936
	s_branch .LBB6_4937
.LBB6_5180:                             ;   in Loop: Header=BB6_4901 Depth=3
	s_mov_b32 s14, -1
	s_mov_b32 s34, exec_lo
                                        ; implicit-def: $sgpr15
	v_cmpx_eq_u16_e32 0x80, v38
; %bb.5181:                             ;   in Loop: Header=BB6_4901 Depth=3
	s_mov_b32 s15, 0x7f800001
	s_xor_b32 s14, exec_lo, -1
; %bb.5182:                             ;   in Loop: Header=BB6_4901 Depth=3
	s_or_b32 exec_lo, exec_lo, s34
	s_delay_alu instid0(SALU_CYCLE_1)
	s_and_b32 s14, s14, exec_lo
                                        ; implicit-def: $vgpr38
	s_or_saveexec_b32 s31, s31
	v_mov_b32_e32 v37, s15
	s_xor_b32 exec_lo, exec_lo, s31
	s_cbranch_execz .LBB6_4939
.LBB6_5183:                             ;   in Loop: Header=BB6_4901 Depth=3
	v_cmp_ne_u16_e32 vcc_lo, 0, v38
	v_mov_b32_e32 v37, 0
	s_and_not1_b32 s14, s14, exec_lo
	s_and_b32 s15, vcc_lo, exec_lo
	s_delay_alu instid0(SALU_CYCLE_1)
	s_or_b32 s14, s14, s15
	s_or_b32 exec_lo, exec_lo, s31
	s_and_saveexec_b32 s15, s14
	s_cbranch_execnz .LBB6_4940
	s_branch .LBB6_4941
.LBB6_5184:                             ;   in Loop: Header=BB6_4901 Depth=3
	s_mov_b32 s14, -1
	s_mov_b32 s34, exec_lo
                                        ; implicit-def: $sgpr15
	v_cmpx_eq_u16_e32 0x80, v37
; %bb.5185:                             ;   in Loop: Header=BB6_4901 Depth=3
	s_mov_b32 s15, 0x7f800001
	s_xor_b32 s14, exec_lo, -1
; %bb.5186:                             ;   in Loop: Header=BB6_4901 Depth=3
	s_or_b32 exec_lo, exec_lo, s34
	s_delay_alu instid0(SALU_CYCLE_1)
	s_and_b32 s14, s14, exec_lo
	s_or_saveexec_b32 s31, s31
	v_mov_b32_e32 v36, s15
	s_xor_b32 exec_lo, exec_lo, s31
	s_cbranch_execz .LBB6_4951
.LBB6_5187:                             ;   in Loop: Header=BB6_4901 Depth=3
	v_cmp_ne_u16_e32 vcc_lo, 0, v37
	v_mov_b32_e32 v36, 0
	s_and_not1_b32 s14, s14, exec_lo
	s_and_b32 s15, vcc_lo, exec_lo
	s_delay_alu instid0(SALU_CYCLE_1)
	s_or_b32 s14, s14, s15
	s_or_b32 exec_lo, exec_lo, s31
	s_and_saveexec_b32 s15, s14
	s_cbranch_execnz .LBB6_4952
	s_branch .LBB6_4953
.LBB6_5188:                             ;   in Loop: Header=BB6_4901 Depth=3
	s_mov_b32 s14, -1
	s_mov_b32 s34, exec_lo
                                        ; implicit-def: $sgpr15
	v_cmpx_eq_u16_e32 0x80, v12
; %bb.5189:                             ;   in Loop: Header=BB6_4901 Depth=3
	s_mov_b32 s15, 0x7f800001
	s_xor_b32 s14, exec_lo, -1
; %bb.5190:                             ;   in Loop: Header=BB6_4901 Depth=3
	s_or_b32 exec_lo, exec_lo, s34
	s_delay_alu instid0(SALU_CYCLE_1)
	s_and_b32 s14, s14, exec_lo
	s_or_saveexec_b32 s31, s31
	v_mov_b32_e32 v37, s15
	s_xor_b32 exec_lo, exec_lo, s31
	s_cbranch_execz .LBB6_4955
.LBB6_5191:                             ;   in Loop: Header=BB6_4901 Depth=3
	v_cmp_ne_u16_e32 vcc_lo, 0, v12
	v_mov_b32_e32 v37, 0
	s_and_not1_b32 s14, s14, exec_lo
	s_and_b32 s15, vcc_lo, exec_lo
	s_delay_alu instid0(SALU_CYCLE_1)
	s_or_b32 s14, s14, s15
	s_or_b32 exec_lo, exec_lo, s31
	s_and_saveexec_b32 s15, s14
	s_cbranch_execnz .LBB6_4956
	s_branch .LBB6_4957
.LBB6_5192:                             ;   in Loop: Header=BB6_4901 Depth=3
	s_mov_b32 s14, -1
	s_mov_b32 s34, exec_lo
                                        ; implicit-def: $sgpr15
	v_cmpx_eq_u16_e32 0x80, v36
; %bb.5193:                             ;   in Loop: Header=BB6_4901 Depth=3
	s_mov_b32 s15, 0x7f800001
	s_xor_b32 s14, exec_lo, -1
; %bb.5194:                             ;   in Loop: Header=BB6_4901 Depth=3
	s_or_b32 exec_lo, exec_lo, s34
	s_delay_alu instid0(SALU_CYCLE_1)
	s_and_b32 s14, s14, exec_lo
                                        ; implicit-def: $vgpr36
	s_or_saveexec_b32 s31, s31
	v_mov_b32_e32 v12, s15
	s_xor_b32 exec_lo, exec_lo, s31
	s_cbranch_execz .LBB6_4967
.LBB6_5195:                             ;   in Loop: Header=BB6_4901 Depth=3
	v_cmp_ne_u16_e32 vcc_lo, 0, v36
	v_mov_b32_e32 v12, 0
	s_and_not1_b32 s14, s14, exec_lo
	s_and_b32 s15, vcc_lo, exec_lo
	s_delay_alu instid0(SALU_CYCLE_1)
	s_or_b32 s14, s14, s15
	s_or_b32 exec_lo, exec_lo, s31
	s_and_saveexec_b32 s15, s14
	s_cbranch_execnz .LBB6_4968
	s_branch .LBB6_4969
.LBB6_5196:                             ;   in Loop: Header=BB6_4901 Depth=3
	s_mov_b32 s14, -1
	s_mov_b32 s34, exec_lo
                                        ; implicit-def: $sgpr15
	v_cmpx_eq_u16_e32 0x80, v37
; %bb.5197:                             ;   in Loop: Header=BB6_4901 Depth=3
	s_mov_b32 s15, 0x7f800001
	s_xor_b32 s14, exec_lo, -1
; %bb.5198:                             ;   in Loop: Header=BB6_4901 Depth=3
	s_or_b32 exec_lo, exec_lo, s34
	s_delay_alu instid0(SALU_CYCLE_1)
	s_and_b32 s14, s14, exec_lo
                                        ; implicit-def: $vgpr37
	s_or_saveexec_b32 s31, s31
	v_mov_b32_e32 v36, s15
	s_xor_b32 exec_lo, exec_lo, s31
	s_cbranch_execz .LBB6_4971
.LBB6_5199:                             ;   in Loop: Header=BB6_4901 Depth=3
	v_cmp_ne_u16_e32 vcc_lo, 0, v37
	v_mov_b32_e32 v36, 0
	s_and_not1_b32 s14, s14, exec_lo
	s_and_b32 s15, vcc_lo, exec_lo
	s_delay_alu instid0(SALU_CYCLE_1)
	s_or_b32 s14, s14, s15
	s_or_b32 exec_lo, exec_lo, s31
	s_and_saveexec_b32 s15, s14
	s_cbranch_execnz .LBB6_4972
	s_branch .LBB6_4973
.LBB6_5200:                             ;   in Loop: Header=BB6_4901 Depth=3
	s_mov_b32 s14, -1
	s_mov_b32 s34, exec_lo
                                        ; implicit-def: $sgpr15
	v_cmpx_eq_u16_e32 0x80, v37
; %bb.5201:                             ;   in Loop: Header=BB6_4901 Depth=3
	s_mov_b32 s15, 0x7f800001
	s_xor_b32 s14, exec_lo, -1
; %bb.5202:                             ;   in Loop: Header=BB6_4901 Depth=3
	s_or_b32 exec_lo, exec_lo, s34
	s_delay_alu instid0(SALU_CYCLE_1)
	s_and_b32 s14, s14, exec_lo
	s_or_saveexec_b32 s31, s31
	v_mov_b32_e32 v36, s15
	s_xor_b32 exec_lo, exec_lo, s31
	s_cbranch_execz .LBB6_4983
.LBB6_5203:                             ;   in Loop: Header=BB6_4901 Depth=3
	v_cmp_ne_u16_e32 vcc_lo, 0, v37
	v_mov_b32_e32 v36, 0
	s_and_not1_b32 s14, s14, exec_lo
	s_and_b32 s15, vcc_lo, exec_lo
	s_delay_alu instid0(SALU_CYCLE_1)
	s_or_b32 s14, s14, s15
	s_or_b32 exec_lo, exec_lo, s31
	s_and_saveexec_b32 s15, s14
	s_cbranch_execnz .LBB6_4984
	s_branch .LBB6_4985
.LBB6_5204:                             ;   in Loop: Header=BB6_4901 Depth=3
	s_mov_b32 s14, -1
	s_mov_b32 s34, exec_lo
                                        ; implicit-def: $sgpr15
	v_cmpx_eq_u16_e32 0x80, v37
; %bb.5205:                             ;   in Loop: Header=BB6_4901 Depth=3
	s_mov_b32 s15, 0x7f800001
	s_xor_b32 s14, exec_lo, -1
; %bb.5206:                             ;   in Loop: Header=BB6_4901 Depth=3
	s_or_b32 exec_lo, exec_lo, s34
	s_delay_alu instid0(SALU_CYCLE_1)
	s_and_b32 s14, s14, exec_lo
	s_or_saveexec_b32 s31, s31
	v_mov_b32_e32 v38, s15
	s_xor_b32 exec_lo, exec_lo, s31
	s_cbranch_execz .LBB6_4987
.LBB6_5207:                             ;   in Loop: Header=BB6_4901 Depth=3
	v_cmp_ne_u16_e32 vcc_lo, 0, v37
	v_mov_b32_e32 v38, 0
	s_and_not1_b32 s14, s14, exec_lo
	s_and_b32 s15, vcc_lo, exec_lo
	s_delay_alu instid0(SALU_CYCLE_1)
	s_or_b32 s14, s14, s15
	s_or_b32 exec_lo, exec_lo, s31
	s_and_saveexec_b32 s15, s14
	s_cbranch_execnz .LBB6_4988
	s_branch .LBB6_4989
.LBB6_5208:                             ;   in Loop: Header=BB6_4901 Depth=3
	s_mov_b32 s14, -1
	s_mov_b32 s34, exec_lo
                                        ; implicit-def: $sgpr15
	v_cmpx_eq_u16_e32 0x80, v39
; %bb.5209:                             ;   in Loop: Header=BB6_4901 Depth=3
	s_mov_b32 s15, 0x7f800001
	s_xor_b32 s14, exec_lo, -1
; %bb.5210:                             ;   in Loop: Header=BB6_4901 Depth=3
	s_or_b32 exec_lo, exec_lo, s34
	s_delay_alu instid0(SALU_CYCLE_1)
	s_and_b32 s14, s14, exec_lo
                                        ; implicit-def: $vgpr39
	s_or_saveexec_b32 s31, s31
	v_mov_b32_e32 v37, s15
	s_xor_b32 exec_lo, exec_lo, s31
	s_cbranch_execz .LBB6_4999
.LBB6_5211:                             ;   in Loop: Header=BB6_4901 Depth=3
	v_cmp_ne_u16_e32 vcc_lo, 0, v39
	v_mov_b32_e32 v37, 0
	s_and_not1_b32 s14, s14, exec_lo
	s_and_b32 s15, vcc_lo, exec_lo
	s_delay_alu instid0(SALU_CYCLE_1)
	s_or_b32 s14, s14, s15
	s_or_b32 exec_lo, exec_lo, s31
	s_and_saveexec_b32 s15, s14
	s_cbranch_execnz .LBB6_5000
	s_branch .LBB6_5001
.LBB6_5212:                             ;   in Loop: Header=BB6_4901 Depth=3
	s_mov_b32 s14, -1
	s_mov_b32 s34, exec_lo
                                        ; implicit-def: $sgpr15
	v_cmpx_eq_u16_e32 0x80, v48
; %bb.5213:                             ;   in Loop: Header=BB6_4901 Depth=3
	s_mov_b32 s15, 0x7f800001
	s_xor_b32 s14, exec_lo, -1
; %bb.5214:                             ;   in Loop: Header=BB6_4901 Depth=3
	s_or_b32 exec_lo, exec_lo, s34
	s_delay_alu instid0(SALU_CYCLE_1)
	s_and_b32 s14, s14, exec_lo
                                        ; implicit-def: $vgpr48
	s_or_saveexec_b32 s31, s31
	v_mov_b32_e32 v39, s15
	s_xor_b32 exec_lo, exec_lo, s31
	s_cbranch_execz .LBB6_5003
.LBB6_5215:                             ;   in Loop: Header=BB6_4901 Depth=3
	v_cmp_ne_u16_e32 vcc_lo, 0, v48
	v_mov_b32_e32 v39, 0
	s_and_not1_b32 s14, s14, exec_lo
	s_and_b32 s15, vcc_lo, exec_lo
	s_delay_alu instid0(SALU_CYCLE_1)
	s_or_b32 s14, s14, s15
	s_or_b32 exec_lo, exec_lo, s31
	s_and_saveexec_b32 s15, s14
	s_cbranch_execnz .LBB6_5004
	s_branch .LBB6_5005
.LBB6_5216:                             ;   in Loop: Header=BB6_4901 Depth=3
	s_mov_b32 s14, -1
	s_mov_b32 s34, exec_lo
                                        ; implicit-def: $sgpr15
	v_cmpx_eq_u16_e32 0x80, v39
; %bb.5217:                             ;   in Loop: Header=BB6_4901 Depth=3
	s_mov_b32 s15, 0x7f800001
	s_xor_b32 s14, exec_lo, -1
; %bb.5218:                             ;   in Loop: Header=BB6_4901 Depth=3
	s_or_b32 exec_lo, exec_lo, s34
	s_delay_alu instid0(SALU_CYCLE_1)
	s_and_b32 s14, s14, exec_lo
	s_or_saveexec_b32 s31, s31
	v_mov_b32_e32 v38, s15
	s_xor_b32 exec_lo, exec_lo, s31
	s_cbranch_execz .LBB6_5015
.LBB6_5219:                             ;   in Loop: Header=BB6_4901 Depth=3
	v_cmp_ne_u16_e32 vcc_lo, 0, v39
	v_mov_b32_e32 v38, 0
	s_and_not1_b32 s14, s14, exec_lo
	s_and_b32 s15, vcc_lo, exec_lo
	s_delay_alu instid0(SALU_CYCLE_1)
	s_or_b32 s14, s14, s15
	s_or_b32 exec_lo, exec_lo, s31
	s_and_saveexec_b32 s15, s14
	s_cbranch_execnz .LBB6_5016
	s_branch .LBB6_5017
.LBB6_5220:                             ;   in Loop: Header=BB6_4901 Depth=3
	s_mov_b32 s14, -1
	s_mov_b32 s34, exec_lo
                                        ; implicit-def: $sgpr15
	v_cmpx_eq_u16_e32 0x80, v13
; %bb.5221:                             ;   in Loop: Header=BB6_4901 Depth=3
	s_mov_b32 s15, 0x7f800001
	s_xor_b32 s14, exec_lo, -1
; %bb.5222:                             ;   in Loop: Header=BB6_4901 Depth=3
	s_or_b32 exec_lo, exec_lo, s34
	s_delay_alu instid0(SALU_CYCLE_1)
	s_and_b32 s14, s14, exec_lo
	s_or_saveexec_b32 s31, s31
	v_mov_b32_e32 v39, s15
	s_xor_b32 exec_lo, exec_lo, s31
	s_cbranch_execz .LBB6_5019
.LBB6_5223:                             ;   in Loop: Header=BB6_4901 Depth=3
	v_cmp_ne_u16_e32 vcc_lo, 0, v13
	v_mov_b32_e32 v39, 0
	s_and_not1_b32 s14, s14, exec_lo
	s_and_b32 s15, vcc_lo, exec_lo
	s_delay_alu instid0(SALU_CYCLE_1)
	s_or_b32 s14, s14, s15
	s_or_b32 exec_lo, exec_lo, s31
	s_and_saveexec_b32 s15, s14
	s_cbranch_execnz .LBB6_5020
	s_branch .LBB6_5021
.LBB6_5224:                             ;   in Loop: Header=BB6_4901 Depth=3
	s_mov_b32 s14, -1
	s_mov_b32 s34, exec_lo
                                        ; implicit-def: $sgpr15
	v_cmpx_eq_u16_e32 0x80, v38
; %bb.5225:                             ;   in Loop: Header=BB6_4901 Depth=3
	s_mov_b32 s15, 0x7f800001
	s_xor_b32 s14, exec_lo, -1
; %bb.5226:                             ;   in Loop: Header=BB6_4901 Depth=3
	s_or_b32 exec_lo, exec_lo, s34
	s_delay_alu instid0(SALU_CYCLE_1)
	s_and_b32 s14, s14, exec_lo
                                        ; implicit-def: $vgpr38
	s_or_saveexec_b32 s31, s31
	v_mov_b32_e32 v13, s15
	s_xor_b32 exec_lo, exec_lo, s31
	s_cbranch_execz .LBB6_5031
.LBB6_5227:                             ;   in Loop: Header=BB6_4901 Depth=3
	v_cmp_ne_u16_e32 vcc_lo, 0, v38
	v_mov_b32_e32 v13, 0
	s_and_not1_b32 s14, s14, exec_lo
	s_and_b32 s15, vcc_lo, exec_lo
	s_delay_alu instid0(SALU_CYCLE_1)
	s_or_b32 s14, s14, s15
	s_or_b32 exec_lo, exec_lo, s31
	s_and_saveexec_b32 s15, s14
	s_cbranch_execnz .LBB6_5032
	s_branch .LBB6_5033
.LBB6_5228:                             ;   in Loop: Header=BB6_4901 Depth=3
	s_mov_b32 s14, -1
	s_mov_b32 s34, exec_lo
                                        ; implicit-def: $sgpr15
	v_cmpx_eq_u16_e32 0x80, v39
; %bb.5229:                             ;   in Loop: Header=BB6_4901 Depth=3
	s_mov_b32 s15, 0x7f800001
	s_xor_b32 s14, exec_lo, -1
; %bb.5230:                             ;   in Loop: Header=BB6_4901 Depth=3
	s_or_b32 exec_lo, exec_lo, s34
	s_delay_alu instid0(SALU_CYCLE_1)
	s_and_b32 s14, s14, exec_lo
                                        ; implicit-def: $vgpr39
	s_or_saveexec_b32 s31, s31
	v_mov_b32_e32 v38, s15
	s_xor_b32 exec_lo, exec_lo, s31
	s_cbranch_execz .LBB6_5035
.LBB6_5231:                             ;   in Loop: Header=BB6_4901 Depth=3
	v_cmp_ne_u16_e32 vcc_lo, 0, v39
	v_mov_b32_e32 v38, 0
	s_and_not1_b32 s14, s14, exec_lo
	s_and_b32 s15, vcc_lo, exec_lo
	s_delay_alu instid0(SALU_CYCLE_1)
	s_or_b32 s14, s14, s15
	s_or_b32 exec_lo, exec_lo, s31
	s_and_saveexec_b32 s15, s14
	s_cbranch_execnz .LBB6_5036
	s_branch .LBB6_5037
.LBB6_5232:                             ;   in Loop: Header=BB6_4901 Depth=3
	s_mov_b32 s14, -1
	s_mov_b32 s34, exec_lo
                                        ; implicit-def: $sgpr15
	v_cmpx_eq_u16_e32 0x80, v39
; %bb.5233:                             ;   in Loop: Header=BB6_4901 Depth=3
	s_mov_b32 s15, 0x7f800001
	s_xor_b32 s14, exec_lo, -1
; %bb.5234:                             ;   in Loop: Header=BB6_4901 Depth=3
	s_or_b32 exec_lo, exec_lo, s34
	s_delay_alu instid0(SALU_CYCLE_1)
	s_and_b32 s14, s14, exec_lo
	s_or_saveexec_b32 s31, s31
	v_mov_b32_e32 v38, s15
	s_xor_b32 exec_lo, exec_lo, s31
	s_cbranch_execz .LBB6_5047
.LBB6_5235:                             ;   in Loop: Header=BB6_4901 Depth=3
	v_cmp_ne_u16_e32 vcc_lo, 0, v39
	v_mov_b32_e32 v38, 0
	s_and_not1_b32 s14, s14, exec_lo
	s_and_b32 s15, vcc_lo, exec_lo
	s_delay_alu instid0(SALU_CYCLE_1)
	s_or_b32 s14, s14, s15
	s_or_b32 exec_lo, exec_lo, s31
	s_and_saveexec_b32 s15, s14
	s_cbranch_execnz .LBB6_5048
	s_branch .LBB6_5049
.LBB6_5236:                             ;   in Loop: Header=BB6_4901 Depth=3
	s_mov_b32 s14, -1
	s_mov_b32 s34, exec_lo
                                        ; implicit-def: $sgpr15
	v_cmpx_eq_u16_e32 0x80, v39
; %bb.5237:                             ;   in Loop: Header=BB6_4901 Depth=3
	s_mov_b32 s15, 0x7f800001
	s_xor_b32 s14, exec_lo, -1
; %bb.5238:                             ;   in Loop: Header=BB6_4901 Depth=3
	s_or_b32 exec_lo, exec_lo, s34
	s_delay_alu instid0(SALU_CYCLE_1)
	s_and_b32 s14, s14, exec_lo
	s_or_saveexec_b32 s31, s31
	v_mov_b32_e32 v48, s15
	s_xor_b32 exec_lo, exec_lo, s31
	s_cbranch_execz .LBB6_5051
.LBB6_5239:                             ;   in Loop: Header=BB6_4901 Depth=3
	v_cmp_ne_u16_e32 vcc_lo, 0, v39
	v_mov_b32_e32 v48, 0
	s_and_not1_b32 s14, s14, exec_lo
	s_and_b32 s15, vcc_lo, exec_lo
	s_delay_alu instid0(SALU_CYCLE_1)
	s_or_b32 s14, s14, s15
	s_or_b32 exec_lo, exec_lo, s31
	s_and_saveexec_b32 s15, s14
	s_cbranch_execnz .LBB6_5052
	s_branch .LBB6_5053
.LBB6_5240:                             ;   in Loop: Header=BB6_4901 Depth=3
	s_mov_b32 s14, -1
	s_mov_b32 s34, exec_lo
                                        ; implicit-def: $sgpr15
	v_cmpx_eq_u16_e32 0x80, v49
; %bb.5241:                             ;   in Loop: Header=BB6_4901 Depth=3
	s_mov_b32 s15, 0x7f800001
	s_xor_b32 s14, exec_lo, -1
; %bb.5242:                             ;   in Loop: Header=BB6_4901 Depth=3
	s_or_b32 exec_lo, exec_lo, s34
	s_delay_alu instid0(SALU_CYCLE_1)
	s_and_b32 s14, s14, exec_lo
                                        ; implicit-def: $vgpr49
	s_or_saveexec_b32 s31, s31
	v_mov_b32_e32 v39, s15
	s_xor_b32 exec_lo, exec_lo, s31
	s_cbranch_execz .LBB6_5063
.LBB6_5243:                             ;   in Loop: Header=BB6_4901 Depth=3
	v_cmp_ne_u16_e32 vcc_lo, 0, v49
	v_mov_b32_e32 v39, 0
	s_and_not1_b32 s14, s14, exec_lo
	s_and_b32 s15, vcc_lo, exec_lo
	s_delay_alu instid0(SALU_CYCLE_1)
	s_or_b32 s14, s14, s15
	s_or_b32 exec_lo, exec_lo, s31
	s_and_saveexec_b32 s15, s14
	s_cbranch_execnz .LBB6_5064
	s_branch .LBB6_5065
.LBB6_5244:                             ;   in Loop: Header=BB6_4901 Depth=3
	s_mov_b32 s14, -1
	s_mov_b32 s34, exec_lo
                                        ; implicit-def: $sgpr15
	v_cmpx_eq_u16_e32 0x80, v50
; %bb.5245:                             ;   in Loop: Header=BB6_4901 Depth=3
	s_mov_b32 s15, 0x7f800001
	s_xor_b32 s14, exec_lo, -1
; %bb.5246:                             ;   in Loop: Header=BB6_4901 Depth=3
	s_or_b32 exec_lo, exec_lo, s34
	s_delay_alu instid0(SALU_CYCLE_1)
	s_and_b32 s14, s14, exec_lo
                                        ; implicit-def: $vgpr50
	s_or_saveexec_b32 s31, s31
	v_mov_b32_e32 v49, s15
	s_xor_b32 exec_lo, exec_lo, s31
	s_cbranch_execz .LBB6_5067
.LBB6_5247:                             ;   in Loop: Header=BB6_4901 Depth=3
	v_cmp_ne_u16_e32 vcc_lo, 0, v50
	v_mov_b32_e32 v49, 0
	s_and_not1_b32 s14, s14, exec_lo
	s_and_b32 s15, vcc_lo, exec_lo
	s_delay_alu instid0(SALU_CYCLE_1)
	s_or_b32 s14, s14, s15
	s_or_b32 exec_lo, exec_lo, s31
	s_and_saveexec_b32 s15, s14
	s_cbranch_execnz .LBB6_5068
	s_branch .LBB6_5069
.LBB6_5248:                             ;   in Loop: Header=BB6_4901 Depth=3
	s_mov_b32 s14, -1
	s_mov_b32 s34, exec_lo
                                        ; implicit-def: $sgpr15
	v_cmpx_eq_u16_e32 0x80, v49
; %bb.5249:                             ;   in Loop: Header=BB6_4901 Depth=3
	s_mov_b32 s15, 0x7f800001
	s_xor_b32 s14, exec_lo, -1
; %bb.5250:                             ;   in Loop: Header=BB6_4901 Depth=3
	s_or_b32 exec_lo, exec_lo, s34
	s_delay_alu instid0(SALU_CYCLE_1)
	s_and_b32 s14, s14, exec_lo
	s_or_saveexec_b32 s31, s31
	v_mov_b32_e32 v48, s15
	s_xor_b32 exec_lo, exec_lo, s31
	s_cbranch_execz .LBB6_5079
.LBB6_5251:                             ;   in Loop: Header=BB6_4901 Depth=3
	v_cmp_ne_u16_e32 vcc_lo, 0, v49
	v_mov_b32_e32 v48, 0
	s_and_not1_b32 s14, s14, exec_lo
	s_and_b32 s15, vcc_lo, exec_lo
	s_delay_alu instid0(SALU_CYCLE_1)
	s_or_b32 s14, s14, s15
	s_or_b32 exec_lo, exec_lo, s31
	s_and_saveexec_b32 s15, s14
	s_cbranch_execnz .LBB6_5080
	s_branch .LBB6_5081
.LBB6_5252:                             ;   in Loop: Header=BB6_4901 Depth=3
	s_mov_b32 s14, -1
	s_mov_b32 s34, exec_lo
                                        ; implicit-def: $sgpr15
	v_cmpx_eq_u16_e32 0x80, v14
; %bb.5253:                             ;   in Loop: Header=BB6_4901 Depth=3
	s_mov_b32 s15, 0x7f800001
	s_xor_b32 s14, exec_lo, -1
; %bb.5254:                             ;   in Loop: Header=BB6_4901 Depth=3
	s_or_b32 exec_lo, exec_lo, s34
	s_delay_alu instid0(SALU_CYCLE_1)
	s_and_b32 s14, s14, exec_lo
	s_or_saveexec_b32 s31, s31
	v_mov_b32_e32 v49, s15
	s_xor_b32 exec_lo, exec_lo, s31
	s_cbranch_execz .LBB6_5083
.LBB6_5255:                             ;   in Loop: Header=BB6_4901 Depth=3
	v_cmp_ne_u16_e32 vcc_lo, 0, v14
	v_mov_b32_e32 v49, 0
	s_and_not1_b32 s14, s14, exec_lo
	s_and_b32 s15, vcc_lo, exec_lo
	s_delay_alu instid0(SALU_CYCLE_1)
	s_or_b32 s14, s14, s15
	s_or_b32 exec_lo, exec_lo, s31
	s_and_saveexec_b32 s15, s14
	s_cbranch_execnz .LBB6_5084
	s_branch .LBB6_5085
.LBB6_5256:                             ;   in Loop: Header=BB6_4901 Depth=3
	s_mov_b32 s14, -1
	s_mov_b32 s34, exec_lo
                                        ; implicit-def: $sgpr15
	v_cmpx_eq_u16_e32 0x80, v48
; %bb.5257:                             ;   in Loop: Header=BB6_4901 Depth=3
	s_mov_b32 s15, 0x7f800001
	s_xor_b32 s14, exec_lo, -1
; %bb.5258:                             ;   in Loop: Header=BB6_4901 Depth=3
	s_or_b32 exec_lo, exec_lo, s34
	s_delay_alu instid0(SALU_CYCLE_1)
	s_and_b32 s14, s14, exec_lo
                                        ; implicit-def: $vgpr48
	s_or_saveexec_b32 s31, s31
	v_mov_b32_e32 v14, s15
	s_xor_b32 exec_lo, exec_lo, s31
	s_cbranch_execz .LBB6_5095
.LBB6_5259:                             ;   in Loop: Header=BB6_4901 Depth=3
	v_cmp_ne_u16_e32 vcc_lo, 0, v48
	v_mov_b32_e32 v14, 0
	s_and_not1_b32 s14, s14, exec_lo
	s_and_b32 s15, vcc_lo, exec_lo
	s_delay_alu instid0(SALU_CYCLE_1)
	s_or_b32 s14, s14, s15
	s_or_b32 exec_lo, exec_lo, s31
	s_and_saveexec_b32 s15, s14
	s_cbranch_execnz .LBB6_5096
	s_branch .LBB6_5097
.LBB6_5260:                             ;   in Loop: Header=BB6_4901 Depth=3
	s_mov_b32 s14, -1
	s_mov_b32 s34, exec_lo
                                        ; implicit-def: $sgpr15
	v_cmpx_eq_u16_e32 0x80, v49
; %bb.5261:                             ;   in Loop: Header=BB6_4901 Depth=3
	s_mov_b32 s15, 0x7f800001
	s_xor_b32 s14, exec_lo, -1
; %bb.5262:                             ;   in Loop: Header=BB6_4901 Depth=3
	s_or_b32 exec_lo, exec_lo, s34
	s_delay_alu instid0(SALU_CYCLE_1)
	s_and_b32 s14, s14, exec_lo
                                        ; implicit-def: $vgpr49
	s_or_saveexec_b32 s31, s31
	v_mov_b32_e32 v48, s15
	s_xor_b32 exec_lo, exec_lo, s31
	s_cbranch_execz .LBB6_5099
.LBB6_5263:                             ;   in Loop: Header=BB6_4901 Depth=3
	v_cmp_ne_u16_e32 vcc_lo, 0, v49
	v_mov_b32_e32 v48, 0
	s_and_not1_b32 s14, s14, exec_lo
	s_and_b32 s15, vcc_lo, exec_lo
	s_delay_alu instid0(SALU_CYCLE_1)
	s_or_b32 s14, s14, s15
	s_or_b32 exec_lo, exec_lo, s31
	s_and_saveexec_b32 s15, s14
	s_cbranch_execnz .LBB6_5100
	s_branch .LBB6_5101
.LBB6_5264:                             ;   in Loop: Header=BB6_4901 Depth=3
	s_mov_b32 s14, -1
	s_mov_b32 s34, exec_lo
                                        ; implicit-def: $sgpr15
	v_cmpx_eq_u16_e32 0x80, v49
; %bb.5265:                             ;   in Loop: Header=BB6_4901 Depth=3
	s_mov_b32 s15, 0x7f800001
	s_xor_b32 s14, exec_lo, -1
; %bb.5266:                             ;   in Loop: Header=BB6_4901 Depth=3
	s_or_b32 exec_lo, exec_lo, s34
	s_delay_alu instid0(SALU_CYCLE_1)
	s_and_b32 s14, s14, exec_lo
	s_or_saveexec_b32 s31, s31
	v_mov_b32_e32 v48, s15
	s_xor_b32 exec_lo, exec_lo, s31
	s_cbranch_execz .LBB6_5111
.LBB6_5267:                             ;   in Loop: Header=BB6_4901 Depth=3
	v_cmp_ne_u16_e32 vcc_lo, 0, v49
	v_mov_b32_e32 v48, 0
	s_and_not1_b32 s14, s14, exec_lo
	s_and_b32 s15, vcc_lo, exec_lo
	s_delay_alu instid0(SALU_CYCLE_1)
	s_or_b32 s14, s14, s15
	s_or_b32 exec_lo, exec_lo, s31
	s_and_saveexec_b32 s15, s14
	s_cbranch_execnz .LBB6_5112
	s_branch .LBB6_5113
.LBB6_5268:                             ;   in Loop: Header=BB6_4901 Depth=3
	s_mov_b32 s14, -1
	s_mov_b32 s34, exec_lo
                                        ; implicit-def: $sgpr15
	v_cmpx_eq_u16_e32 0x80, v49
; %bb.5269:                             ;   in Loop: Header=BB6_4901 Depth=3
	s_mov_b32 s15, 0x7f800001
	s_xor_b32 s14, exec_lo, -1
; %bb.5270:                             ;   in Loop: Header=BB6_4901 Depth=3
	s_or_b32 exec_lo, exec_lo, s34
	s_delay_alu instid0(SALU_CYCLE_1)
	s_and_b32 s14, s14, exec_lo
	s_or_saveexec_b32 s31, s31
	v_mov_b32_e32 v50, s15
	s_xor_b32 exec_lo, exec_lo, s31
	s_cbranch_execz .LBB6_5115
.LBB6_5271:                             ;   in Loop: Header=BB6_4901 Depth=3
	v_cmp_ne_u16_e32 vcc_lo, 0, v49
	v_mov_b32_e32 v50, 0
	s_and_not1_b32 s14, s14, exec_lo
	s_and_b32 s15, vcc_lo, exec_lo
	s_delay_alu instid0(SALU_CYCLE_1)
	s_or_b32 s14, s14, s15
	s_or_b32 exec_lo, exec_lo, s31
	s_and_saveexec_b32 s15, s14
	s_cbranch_execnz .LBB6_5116
	s_branch .LBB6_5117
.LBB6_5272:                             ;   in Loop: Header=BB6_4901 Depth=3
	s_mov_b32 s14, -1
	s_mov_b32 s34, exec_lo
                                        ; implicit-def: $sgpr15
	v_cmpx_eq_u16_e32 0x80, v51
; %bb.5273:                             ;   in Loop: Header=BB6_4901 Depth=3
	s_mov_b32 s15, 0x7f800001
	s_xor_b32 s14, exec_lo, -1
; %bb.5274:                             ;   in Loop: Header=BB6_4901 Depth=3
	s_or_b32 exec_lo, exec_lo, s34
	s_delay_alu instid0(SALU_CYCLE_1)
	s_and_b32 s14, s14, exec_lo
                                        ; implicit-def: $vgpr51
	s_or_saveexec_b32 s31, s31
	v_mov_b32_e32 v49, s15
	s_xor_b32 exec_lo, exec_lo, s31
	s_cbranch_execz .LBB6_5127
.LBB6_5275:                             ;   in Loop: Header=BB6_4901 Depth=3
	v_cmp_ne_u16_e32 vcc_lo, 0, v51
	v_mov_b32_e32 v49, 0
	s_and_not1_b32 s14, s14, exec_lo
	s_and_b32 s15, vcc_lo, exec_lo
	s_delay_alu instid0(SALU_CYCLE_1)
	s_or_b32 s14, s14, s15
	s_or_b32 exec_lo, exec_lo, s31
	s_and_saveexec_b32 s15, s14
	s_cbranch_execnz .LBB6_5128
	s_branch .LBB6_5129
.LBB6_5276:                             ;   in Loop: Header=BB6_4901 Depth=3
	s_mov_b32 s14, -1
	s_mov_b32 s34, exec_lo
                                        ; implicit-def: $sgpr15
	v_cmpx_eq_u16_e32 0x80, v101
; %bb.5277:                             ;   in Loop: Header=BB6_4901 Depth=3
	s_mov_b32 s15, 0x7f800001
	s_xor_b32 s14, exec_lo, -1
; %bb.5278:                             ;   in Loop: Header=BB6_4901 Depth=3
	s_or_b32 exec_lo, exec_lo, s34
	s_delay_alu instid0(SALU_CYCLE_1)
	s_and_b32 s14, s14, exec_lo
                                        ; implicit-def: $vgpr101
	s_or_saveexec_b32 s31, s31
	v_mov_b32_e32 v51, s15
	s_xor_b32 exec_lo, exec_lo, s31
	s_cbranch_execz .LBB6_5131
.LBB6_5279:                             ;   in Loop: Header=BB6_4901 Depth=3
	v_cmp_ne_u16_e32 vcc_lo, 0, v101
	v_mov_b32_e32 v51, 0
	s_and_not1_b32 s14, s14, exec_lo
	s_and_b32 s15, vcc_lo, exec_lo
	s_delay_alu instid0(SALU_CYCLE_1)
	s_or_b32 s14, s14, s15
	s_or_b32 exec_lo, exec_lo, s31
	s_and_saveexec_b32 s15, s14
	s_cbranch_execnz .LBB6_5132
	s_branch .LBB6_5133
.LBB6_5280:                             ;   in Loop: Header=BB6_4901 Depth=3
	s_mov_b32 s14, -1
	s_mov_b32 s34, exec_lo
                                        ; implicit-def: $sgpr15
	v_cmpx_eq_u16_e32 0x80, v51
; %bb.5281:                             ;   in Loop: Header=BB6_4901 Depth=3
	s_mov_b32 s15, 0x7f800001
	s_xor_b32 s14, exec_lo, -1
; %bb.5282:                             ;   in Loop: Header=BB6_4901 Depth=3
	s_or_b32 exec_lo, exec_lo, s34
	s_delay_alu instid0(SALU_CYCLE_1)
	s_and_b32 s14, s14, exec_lo
	s_or_saveexec_b32 s31, s31
	v_mov_b32_e32 v50, s15
	s_xor_b32 exec_lo, exec_lo, s31
	s_cbranch_execz .LBB6_5143
.LBB6_5283:                             ;   in Loop: Header=BB6_4901 Depth=3
	v_cmp_ne_u16_e32 vcc_lo, 0, v51
	v_mov_b32_e32 v50, 0
	s_and_not1_b32 s14, s14, exec_lo
	s_and_b32 s15, vcc_lo, exec_lo
	s_delay_alu instid0(SALU_CYCLE_1)
	s_or_b32 s14, s14, s15
	s_or_b32 exec_lo, exec_lo, s31
	s_and_saveexec_b32 s15, s14
	s_cbranch_execnz .LBB6_5144
	s_branch .LBB6_5145
.LBB6_5284:                             ;   in Loop: Header=BB6_4901 Depth=3
	s_mov_b32 s14, -1
	s_mov_b32 s34, exec_lo
                                        ; implicit-def: $sgpr15
	v_cmpx_eq_u16_e32 0x80, v15
; %bb.5285:                             ;   in Loop: Header=BB6_4901 Depth=3
	s_mov_b32 s15, 0x7f800001
	s_xor_b32 s14, exec_lo, -1
; %bb.5286:                             ;   in Loop: Header=BB6_4901 Depth=3
	s_or_b32 exec_lo, exec_lo, s34
	s_delay_alu instid0(SALU_CYCLE_1)
	s_and_b32 s14, s14, exec_lo
	s_or_saveexec_b32 s31, s31
	v_mov_b32_e32 v51, s15
	s_xor_b32 exec_lo, exec_lo, s31
	s_cbranch_execz .LBB6_5147
.LBB6_5287:                             ;   in Loop: Header=BB6_4901 Depth=3
	v_cmp_ne_u16_e32 vcc_lo, 0, v15
	v_mov_b32_e32 v51, 0
	s_and_not1_b32 s14, s14, exec_lo
	s_and_b32 s15, vcc_lo, exec_lo
	s_delay_alu instid0(SALU_CYCLE_1)
	s_or_b32 s14, s14, s15
	s_or_b32 exec_lo, exec_lo, s31
	s_and_saveexec_b32 s15, s14
	s_cbranch_execnz .LBB6_5148
	s_branch .LBB6_5149
.LBB6_5288:                             ;   in Loop: Header=BB6_3271 Depth=2
	s_or_b32 exec_lo, exec_lo, s30
.LBB6_5289:                             ;   in Loop: Header=BB6_3271 Depth=2
	s_delay_alu instid0(SALU_CYCLE_1) | instskip(SKIP_3) | instid1(VALU_DEP_1)
	s_or_b32 exec_lo, exec_lo, s17
	v_dual_mov_b32 v16, 0 :: v_dual_and_b32 v9, 15, v182
	s_mov_b32 s14, 0
	s_mov_b32 s15, exec_lo
                                        ; implicit-def: $vgpr18
                                        ; implicit-def: $vgpr8
	v_cndmask_b32_e64 v17, v26, v9, s13
	s_delay_alu instid0(VALU_DEP_1)
	v_cmpx_ne_u32_e32 0, v17
	s_cbranch_execz .LBB6_5291
; %bb.5290:                             ;   in Loop: Header=BB6_3271 Depth=2
	v_cmp_lt_i32_e32 vcc_lo, 0, v27
	v_sub_nc_u32_e32 v9, v26, v9
	s_mov_b32 s14, exec_lo
	v_cndmask_b32_e32 v8, 0, v129, vcc_lo
	s_delay_alu instid0(VALU_DEP_2) | instskip(NEXT) | instid1(VALU_DEP_2)
	v_cndmask_b32_e64 v9, 0, v9, s13
	v_sub_nc_u32_e32 v8, v8, v27
	s_delay_alu instid0(VALU_DEP_2) | instskip(NEXT) | instid1(VALU_DEP_2)
	v_add3_u32 v16, v2, v24, v9
	v_lshl_add_u32 v18, v8, 5, v25
	s_delay_alu instid0(VALU_DEP_1) | instskip(NEXT) | instid1(VALU_DEP_1)
	v_ashrrev_i32_e32 v8, 31, v18
	v_lshrrev_b32_e32 v8, 27, v8
	s_delay_alu instid0(VALU_DEP_1) | instskip(NEXT) | instid1(VALU_DEP_1)
	v_add_nc_u32_e32 v8, v18, v8
	v_ashrrev_i32_e32 v8, 5, v8
.LBB6_5291:                             ;   in Loop: Header=BB6_3271 Depth=2
	s_or_b32 exec_lo, exec_lo, s15
	s_delay_alu instid0(SALU_CYCLE_1)
	s_and_b32 s13, s14, exec_lo
.LBB6_5292:                             ;   in Loop: Header=BB6_3271 Depth=2
	s_or_b32 exec_lo, exec_lo, s16
.LBB6_5293:                             ;   in Loop: Header=BB6_3271 Depth=2
	s_and_saveexec_b32 s15, s13
	s_cbranch_execz .LBB6_6099
; %bb.5294:                             ;   in Loop: Header=BB6_3271 Depth=2
	v_ashrrev_i32_e32 v2, 31, v17
	s_mov_b32 s14, exec_lo
	s_delay_alu instid0(VALU_DEP_1) | instskip(NEXT) | instid1(VALU_DEP_1)
	v_lshrrev_b32_e32 v2, 22, v2
	v_add_nc_u32_e32 v2, v17, v2
	s_delay_alu instid0(VALU_DEP_1) | instskip(NEXT) | instid1(VALU_DEP_1)
	v_ashrrev_i32_e32 v19, 10, v2
	v_sub_nc_u32_e32 v2, v19, v8
	s_delay_alu instid0(VALU_DEP_1)
	v_cmpx_lt_i32_e32 0, v2
	s_cbranch_execz .LBB6_6067
; %bb.5295:                             ;   in Loop: Header=BB6_3271 Depth=2
	s_cbranch_execz .LBB6_5296
; %bb.10321:
	s_getpc_b64 s[48:49]
.Lpost_getpc336:
	s_add_u32 s48, s48, (.LBB6_9887-.Lpost_getpc336)&4294967295
	s_addc_u32 s49, s49, (.LBB6_9887-.Lpost_getpc336)>>32
	s_setpc_b64 s[48:49]
.LBB6_5296:                             ;   in Loop: Header=BB6_3271 Depth=2
	v_ashrrev_i32_e32 v9, 31, v18
	v_lshlrev_b32_e32 v8, 10, v8
	s_mov_b32 s16, 0
	s_delay_alu instid0(VALU_DEP_2) | instskip(NEXT) | instid1(VALU_DEP_1)
	v_lshrrev_b32_e32 v9, 27, v9
	v_add_nc_u32_e32 v13, v18, v9
	ds_load_b128 v[9:12], v0
	v_and_b32_e32 v13, 0xffffffe0, v13
	s_delay_alu instid0(VALU_DEP_1) | instskip(NEXT) | instid1(VALU_DEP_1)
	v_sub_nc_u32_e32 v13, v18, v13
	v_add3_u32 v13, v16, v13, v8
	s_delay_alu instid0(VALU_DEP_1) | instskip(SKIP_2) | instid1(VALU_DEP_2)
	v_ashrrev_i32_e32 v14, 31, v13
	s_waitcnt lgkmcnt(0)
	v_add_co_u32 v8, vcc_lo, v9, v13
	v_add_co_ci_u32_e32 v9, vcc_lo, v10, v14, vcc_lo
	v_add_co_u32 v10, vcc_lo, v11, v13
	v_add_co_ci_u32_e32 v11, vcc_lo, v12, v14, vcc_lo
	s_delay_alu instid0(VALU_DEP_3) | instskip(NEXT) | instid1(VALU_DEP_2)
	v_dual_mov_b32 v13, v9 :: v_dual_mov_b32 v12, v8
	v_dual_mov_b32 v15, v11 :: v_dual_mov_b32 v14, v10
	s_branch .LBB6_5300
.LBB6_5297:                             ;   in Loop: Header=BB6_5300 Depth=3
	s_or_b32 exec_lo, exec_lo, s13
	s_delay_alu instid0(VALU_DEP_1) | instskip(NEXT) | instid1(VALU_DEP_2)
	v_lshrrev_b32_e32 v24, 20, v24
	v_cmp_gt_i32_e32 vcc_lo, 16, v21
	v_lshrrev_b32_e32 v20, 24, v20
	v_min_i32_e32 v27, 15, v21
	s_delay_alu instid0(VALU_DEP_4) | instskip(NEXT) | instid1(VALU_DEP_3)
	v_cndmask_b32_e32 v24, 7, v24, vcc_lo
	v_and_b32_e32 v20, 0x80, v20
	s_delay_alu instid0(VALU_DEP_3) | instskip(NEXT) | instid1(VALU_DEP_3)
	v_lshlrev_b32_e32 v27, 3, v27
	v_and_b32_e32 v34, 7, v24
	v_or_b32_e32 v21, v21, v24
	s_delay_alu instid0(VALU_DEP_2) | instskip(NEXT) | instid1(VALU_DEP_2)
	v_or3_b32 v20, v27, v20, v34
	v_cmp_ne_u32_e32 vcc_lo, 0, v21
	s_delay_alu instid0(VALU_DEP_2)
	v_cndmask_b32_e32 v21, 0, v20, vcc_lo
.LBB6_5298:                             ;   in Loop: Header=BB6_5300 Depth=3
	s_or_b32 exec_lo, exec_lo, s30
.LBB6_5299:                             ;   in Loop: Header=BB6_5300 Depth=3
	s_delay_alu instid0(SALU_CYCLE_1)
	s_or_b32 exec_lo, exec_lo, s17
	v_add_co_u32 v8, vcc_lo, v8, v151
	v_add_co_ci_u32_e32 v9, vcc_lo, v9, v160, vcc_lo
	v_add_co_u32 v10, vcc_lo, v10, v151
	v_sub_nc_u32_e32 v2, v2, v129
	v_add_co_ci_u32_e32 v11, vcc_lo, v11, v160, vcc_lo
	s_clause 0x1f
	flat_store_b8 v[12:13], v22 glc slc dlc
	flat_store_b8 v[12:13], v25 offset:32 glc slc dlc
	flat_store_b8 v[12:13], v32 offset:64 glc slc dlc
	;; [unrolled: 1-line block ×31, first 2 shown]
	s_clause 0x1f
	flat_store_b8 v[14:15], v22 glc slc dlc
	flat_store_b8 v[14:15], v25 offset:32 glc slc dlc
	flat_store_b8 v[14:15], v32 offset:64 glc slc dlc
	;; [unrolled: 1-line block ×31, first 2 shown]
	v_add_co_u32 v12, vcc_lo, v12, v151
	v_add_co_ci_u32_e32 v13, vcc_lo, v13, v160, vcc_lo
	v_cmp_gt_i32_e32 vcc_lo, 1, v2
	v_add_co_u32 v14, s13, v14, v151
	s_delay_alu instid0(VALU_DEP_1) | instskip(SKIP_1) | instid1(SALU_CYCLE_1)
	v_add_co_ci_u32_e64 v15, s13, v15, v160, s13
	s_or_b32 s16, vcc_lo, s16
	s_and_not1_b32 exec_lo, exec_lo, s16
	s_cbranch_execz .LBB6_6066
.LBB6_5300:                             ;   Parent Loop BB6_51 Depth=1
                                        ;     Parent Loop BB6_3271 Depth=2
                                        ; =>    This Inner Loop Header: Depth=3
	s_clause 0x1f
	flat_load_u8 v106, v[8:9] slc dlc
	flat_load_u8 v105, v[8:9] offset:32 slc dlc
	flat_load_u8 v104, v[8:9] offset:64 slc dlc
	;; [unrolled: 1-line block ×31, first 2 shown]
	s_clause 0x1f
	flat_load_u8 v22, v[10:11] slc dlc
	flat_load_u8 v25, v[10:11] offset:32 slc dlc
	flat_load_u8 v32, v[10:11] offset:64 slc dlc
	;; [unrolled: 1-line block ×31, first 2 shown]
	s_mov_b32 s13, 0
	s_mov_b32 s30, exec_lo
                                        ; implicit-def: $sgpr17
	s_waitcnt vmcnt(62) lgkmcnt(62)
	v_cmpx_lt_i16_e32 0x7f, v106
	s_xor_b32 s30, exec_lo, s30
	s_cbranch_execnz .LBB6_5810
; %bb.5301:                             ;   in Loop: Header=BB6_5300 Depth=3
	s_or_saveexec_b32 s30, s30
	v_mov_b32_e32 v107, s17
	s_xor_b32 exec_lo, exec_lo, s30
	s_cbranch_execnz .LBB6_5813
.LBB6_5302:                             ;   in Loop: Header=BB6_5300 Depth=3
	s_or_b32 exec_lo, exec_lo, s30
	s_and_saveexec_b32 s17, s13
	s_cbranch_execz .LBB6_5304
.LBB6_5303:                             ;   in Loop: Header=BB6_5300 Depth=3
	v_and_b32_e32 v107, 0xffff, v106
	v_lshlrev_b32_e32 v106, 24, v106
	s_delay_alu instid0(VALU_DEP_2) | instskip(NEXT) | instid1(VALU_DEP_2)
	v_and_b32_e32 v108, 7, v107
	v_and_b32_e32 v106, 0x80000000, v106
	s_delay_alu instid0(VALU_DEP_2) | instskip(NEXT) | instid1(VALU_DEP_1)
	v_clz_i32_u32_e32 v109, v108
	v_min_u32_e32 v109, 32, v109
	s_delay_alu instid0(VALU_DEP_1) | instskip(SKIP_1) | instid1(VALU_DEP_2)
	v_subrev_nc_u32_e32 v110, 28, v109
	v_sub_nc_u32_e32 v109, 29, v109
	v_lshlrev_b32_e32 v110, v110, v107
	v_bfe_u32 v107, v107, 3, 4
	s_delay_alu instid0(VALU_DEP_2) | instskip(NEXT) | instid1(VALU_DEP_2)
	v_and_b32_e32 v110, 7, v110
	v_cmp_eq_u32_e32 vcc_lo, 0, v107
	s_delay_alu instid0(VALU_DEP_2) | instskip(NEXT) | instid1(VALU_DEP_1)
	v_dual_cndmask_b32 v107, v107, v109 :: v_dual_cndmask_b32 v108, v108, v110
	v_lshl_add_u32 v107, v107, 23, 0x3b800000
	s_delay_alu instid0(VALU_DEP_2) | instskip(NEXT) | instid1(VALU_DEP_1)
	v_lshlrev_b32_e32 v108, 20, v108
	v_or3_b32 v107, v106, v107, v108
.LBB6_5304:                             ;   in Loop: Header=BB6_5300 Depth=3
	s_or_b32 exec_lo, exec_lo, s17
	s_waitcnt vmcnt(31) lgkmcnt(31)
	v_and_b32_e32 v108, 0xff, v22
	s_mov_b32 s13, 0
	s_mov_b32 s30, exec_lo
                                        ; implicit-def: $sgpr17
	s_delay_alu instid0(VALU_DEP_1)
	v_cmpx_lt_i16_e32 0x7f, v108
	s_xor_b32 s30, exec_lo, s30
	s_cbranch_execnz .LBB6_5814
; %bb.5305:                             ;   in Loop: Header=BB6_5300 Depth=3
	s_or_saveexec_b32 s30, s30
	v_mov_b32_e32 v106, s17
	s_xor_b32 exec_lo, exec_lo, s30
	s_cbranch_execnz .LBB6_5817
.LBB6_5306:                             ;   in Loop: Header=BB6_5300 Depth=3
	s_or_b32 exec_lo, exec_lo, s30
	s_and_saveexec_b32 s17, s13
	s_cbranch_execz .LBB6_5308
.LBB6_5307:                             ;   in Loop: Header=BB6_5300 Depth=3
	v_and_b32_e32 v106, 7, v22
	v_lshrrev_b16 v110, 3, v22
	s_delay_alu instid0(VALU_DEP_2) | instskip(NEXT) | instid1(VALU_DEP_2)
	v_clz_i32_u32_e32 v108, v106
	v_and_b32_e32 v110, 15, v110
	s_delay_alu instid0(VALU_DEP_2) | instskip(NEXT) | instid1(VALU_DEP_2)
	v_min_u32_e32 v108, 32, v108
	v_cmp_eq_u32_e32 vcc_lo, 0, v110
	s_delay_alu instid0(VALU_DEP_2) | instskip(SKIP_1) | instid1(VALU_DEP_1)
	v_subrev_nc_u32_e32 v109, 28, v108
	v_sub_nc_u32_e32 v108, 29, v108
	v_dual_cndmask_b32 v108, v110, v108 :: v_dual_lshlrev_b32 v109, v109, v22
	v_lshlrev_b32_e32 v22, 24, v22
	s_delay_alu instid0(VALU_DEP_2) | instskip(NEXT) | instid1(VALU_DEP_3)
	v_and_b32_e32 v109, 7, v109
	v_lshl_add_u32 v108, v108, 23, 0x3b800000
	s_delay_alu instid0(VALU_DEP_3) | instskip(NEXT) | instid1(VALU_DEP_3)
	v_and_b32_e32 v22, 0x80000000, v22
	v_cndmask_b32_e32 v106, v106, v109, vcc_lo
	s_delay_alu instid0(VALU_DEP_1) | instskip(NEXT) | instid1(VALU_DEP_1)
	v_lshlrev_b32_e32 v106, 20, v106
	v_or3_b32 v106, v22, v108, v106
.LBB6_5308:                             ;   in Loop: Header=BB6_5300 Depth=3
	s_or_b32 exec_lo, exec_lo, s17
	s_delay_alu instid0(VALU_DEP_1) | instskip(NEXT) | instid1(VALU_DEP_1)
	v_add_f32_e32 v106, v107, v106
	v_and_b32_e32 v22, 0x7f800000, v106
	s_delay_alu instid0(VALU_DEP_1)
	v_cmp_ne_u32_e32 vcc_lo, 0x7f800000, v22
	v_mov_b32_e32 v22, 0x80
	s_and_saveexec_b32 s17, vcc_lo
	s_cbranch_execz .LBB6_5316
; %bb.5309:                             ;   in Loop: Header=BB6_5300 Depth=3
	v_mov_b32_e32 v22, 0
	s_mov_b32 s30, exec_lo
	v_cmpx_ne_u32_e32 0, v106
	s_cbranch_execz .LBB6_5315
; %bb.5310:                             ;   in Loop: Header=BB6_5300 Depth=3
	v_bfe_u32 v22, v106, 23, 8
	s_delay_alu instid0(VALU_DEP_1) | instskip(SKIP_1) | instid1(VALU_DEP_2)
	v_sub_nc_u32_e32 v108, 0x78, v22
	v_cmp_gt_u32_e32 vcc_lo, 0x79, v22
	v_dual_cndmask_b32 v108, 0, v108 :: v_dual_and_b32 v107, 0x7fffff, v106
	s_delay_alu instid0(VALU_DEP_1) | instskip(SKIP_2) | instid1(VALU_DEP_4)
	v_or_b32_e32 v109, 0x800000, v107
	v_cmp_eq_u32_e32 vcc_lo, 0, v22
	v_add_nc_u32_e32 v22, 0xffffff89, v22
	v_cndmask_b32_e64 v108, v108, 0x77, vcc_lo
	s_delay_alu instid0(VALU_DEP_4) | instskip(NEXT) | instid1(VALU_DEP_3)
	v_cndmask_b32_e32 v107, v109, v107, vcc_lo
	v_cndmask_b32_e64 v22, v22, 0xffffff8a, vcc_lo
	s_delay_alu instid0(VALU_DEP_3) | instskip(NEXT) | instid1(VALU_DEP_3)
	v_lshl_add_u32 v109, 0x100000, v108, -1
	v_lshrrev_b32_e32 v110, v108, v107
	v_lshlrev_b32_e64 v120, v108, 0x80000
	s_delay_alu instid0(VALU_DEP_4) | instskip(NEXT) | instid1(VALU_DEP_4)
	v_add_nc_u32_e32 v108, v108, v22
	v_and_b32_e32 v107, v109, v107
	s_delay_alu instid0(VALU_DEP_4) | instskip(NEXT) | instid1(VALU_DEP_2)
	v_bfe_u32 v111, v110, 20, 1
	v_cmp_eq_u32_e64 s13, v107, v120
	s_delay_alu instid0(VALU_DEP_2) | instskip(NEXT) | instid1(VALU_DEP_1)
	v_add_nc_u32_e32 v109, -1, v111
	v_cndmask_b32_e64 v107, 0, v109, s13
	v_lshrrev_b32_e32 v109, 23, v110
	s_mov_b32 s13, exec_lo
	s_delay_alu instid0(VALU_DEP_2) | instskip(NEXT) | instid1(VALU_DEP_2)
	v_add_nc_u32_e32 v107, v107, v110
	v_xor_b32_e32 v109, 1, v109
	s_delay_alu instid0(VALU_DEP_2) | instskip(NEXT) | instid1(VALU_DEP_1)
	v_and_b32_e32 v22, 0xfffff, v107
	v_add_nc_u32_e32 v107, v22, v110
                                        ; implicit-def: $vgpr22
	s_delay_alu instid0(VALU_DEP_3)
	v_cmpx_ne_u32_e64 v108, v109
	s_xor_b32 s13, exec_lo, s13
; %bb.5311:                             ;   in Loop: Header=BB6_5300 Depth=3
	s_delay_alu instid0(VALU_DEP_2) | instskip(SKIP_2) | instid1(VALU_DEP_2)
	v_cmp_lt_u32_e32 vcc_lo, 0xffffff, v107
	v_sub_nc_u32_e32 v22, v108, v109
	v_cndmask_b32_e64 v108, 0, 1, vcc_lo
	v_add_co_ci_u32_e32 v22, vcc_lo, 0, v22, vcc_lo
	s_delay_alu instid0(VALU_DEP_2)
	v_lshrrev_b32_e32 v107, v108, v107
; %bb.5312:                             ;   in Loop: Header=BB6_5300 Depth=3
	s_and_not1_saveexec_b32 s13, s13
; %bb.5313:                             ;   in Loop: Header=BB6_5300 Depth=3
	s_delay_alu instid0(VALU_DEP_1)
	v_bfe_u32 v22, v107, 23, 1
; %bb.5314:                             ;   in Loop: Header=BB6_5300 Depth=3
	s_or_b32 exec_lo, exec_lo, s13
	v_lshrrev_b32_e32 v107, 20, v107
	s_delay_alu instid0(VALU_DEP_2) | instskip(SKIP_2) | instid1(VALU_DEP_2)
	v_cmp_gt_i32_e32 vcc_lo, 16, v22
	v_lshrrev_b32_e32 v106, 24, v106
	v_min_i32_e32 v108, 15, v22
	v_dual_cndmask_b32 v107, 7, v107 :: v_dual_and_b32 v106, 0x80, v106
	s_delay_alu instid0(VALU_DEP_2) | instskip(NEXT) | instid1(VALU_DEP_2)
	v_lshlrev_b32_e32 v108, 3, v108
	v_or_b32_e32 v22, v22, v107
	s_delay_alu instid0(VALU_DEP_1) | instskip(SKIP_1) | instid1(VALU_DEP_1)
	v_cmp_ne_u32_e32 vcc_lo, 0, v22
	v_and_b32_e32 v109, 7, v107
	v_or3_b32 v106, v108, v106, v109
	s_delay_alu instid0(VALU_DEP_1)
	v_cndmask_b32_e32 v22, 0, v106, vcc_lo
.LBB6_5315:                             ;   in Loop: Header=BB6_5300 Depth=3
	s_or_b32 exec_lo, exec_lo, s30
.LBB6_5316:                             ;   in Loop: Header=BB6_5300 Depth=3
	s_delay_alu instid0(SALU_CYCLE_1) | instskip(SKIP_3) | instid1(VALU_DEP_1)
	s_or_b32 exec_lo, exec_lo, s17
	v_and_b32_e32 v107, 0xff, v105
	s_mov_b32 s13, 0
	s_mov_b32 s30, exec_lo
                                        ; implicit-def: $sgpr17
	v_cmpx_lt_i16_e32 0x7f, v107
	s_xor_b32 s30, exec_lo, s30
	s_cbranch_execnz .LBB6_5818
; %bb.5317:                             ;   in Loop: Header=BB6_5300 Depth=3
	s_or_saveexec_b32 s30, s30
	v_mov_b32_e32 v106, s17
	s_xor_b32 exec_lo, exec_lo, s30
	s_cbranch_execnz .LBB6_5821
.LBB6_5318:                             ;   in Loop: Header=BB6_5300 Depth=3
	s_or_b32 exec_lo, exec_lo, s30
	s_and_saveexec_b32 s17, s13
	s_cbranch_execz .LBB6_5320
.LBB6_5319:                             ;   in Loop: Header=BB6_5300 Depth=3
	v_lshrrev_b16 v109, 3, v105
	s_delay_alu instid0(VALU_DEP_1) | instskip(NEXT) | instid1(VALU_DEP_1)
	v_and_b32_e32 v109, 15, v109
	v_cmp_eq_u32_e32 vcc_lo, 0, v109
	v_and_b32_e32 v106, 7, v105
	s_delay_alu instid0(VALU_DEP_1) | instskip(NEXT) | instid1(VALU_DEP_1)
	v_clz_i32_u32_e32 v107, v106
	v_min_u32_e32 v107, 32, v107
	s_delay_alu instid0(VALU_DEP_1) | instskip(SKIP_1) | instid1(VALU_DEP_1)
	v_subrev_nc_u32_e32 v108, 28, v107
	v_sub_nc_u32_e32 v107, 29, v107
	v_dual_cndmask_b32 v107, v109, v107 :: v_dual_lshlrev_b32 v108, v108, v105
	v_lshlrev_b32_e32 v105, 24, v105
	s_delay_alu instid0(VALU_DEP_2) | instskip(NEXT) | instid1(VALU_DEP_3)
	v_and_b32_e32 v108, 7, v108
	v_lshl_add_u32 v107, v107, 23, 0x3b800000
	s_delay_alu instid0(VALU_DEP_2) | instskip(NEXT) | instid1(VALU_DEP_1)
	v_dual_cndmask_b32 v106, v106, v108 :: v_dual_and_b32 v105, 0x80000000, v105
	v_lshlrev_b32_e32 v106, 20, v106
	s_delay_alu instid0(VALU_DEP_1)
	v_or3_b32 v106, v105, v107, v106
.LBB6_5320:                             ;   in Loop: Header=BB6_5300 Depth=3
	s_or_b32 exec_lo, exec_lo, s17
	s_waitcnt vmcnt(30) lgkmcnt(30)
	v_and_b32_e32 v107, 0xff, v25
	s_mov_b32 s13, 0
	s_mov_b32 s30, exec_lo
                                        ; implicit-def: $sgpr17
	s_delay_alu instid0(VALU_DEP_1)
	v_cmpx_lt_i16_e32 0x7f, v107
	s_xor_b32 s30, exec_lo, s30
	s_cbranch_execnz .LBB6_5822
; %bb.5321:                             ;   in Loop: Header=BB6_5300 Depth=3
	s_or_saveexec_b32 s30, s30
	v_mov_b32_e32 v105, s17
	s_xor_b32 exec_lo, exec_lo, s30
	s_cbranch_execnz .LBB6_5825
.LBB6_5322:                             ;   in Loop: Header=BB6_5300 Depth=3
	s_or_b32 exec_lo, exec_lo, s30
	s_and_saveexec_b32 s17, s13
	s_cbranch_execz .LBB6_5324
.LBB6_5323:                             ;   in Loop: Header=BB6_5300 Depth=3
	v_and_b32_e32 v105, 7, v25
	v_lshrrev_b16 v109, 3, v25
	s_delay_alu instid0(VALU_DEP_2) | instskip(NEXT) | instid1(VALU_DEP_2)
	v_clz_i32_u32_e32 v107, v105
	v_and_b32_e32 v109, 15, v109
	s_delay_alu instid0(VALU_DEP_2) | instskip(NEXT) | instid1(VALU_DEP_2)
	v_min_u32_e32 v107, 32, v107
	v_cmp_eq_u32_e32 vcc_lo, 0, v109
	s_delay_alu instid0(VALU_DEP_2) | instskip(SKIP_1) | instid1(VALU_DEP_1)
	v_subrev_nc_u32_e32 v108, 28, v107
	v_sub_nc_u32_e32 v107, 29, v107
	v_dual_cndmask_b32 v107, v109, v107 :: v_dual_lshlrev_b32 v108, v108, v25
	v_lshlrev_b32_e32 v25, 24, v25
	s_delay_alu instid0(VALU_DEP_2) | instskip(NEXT) | instid1(VALU_DEP_3)
	v_and_b32_e32 v108, 7, v108
	v_lshl_add_u32 v107, v107, 23, 0x3b800000
	s_delay_alu instid0(VALU_DEP_3) | instskip(NEXT) | instid1(VALU_DEP_3)
	v_and_b32_e32 v25, 0x80000000, v25
	v_cndmask_b32_e32 v105, v105, v108, vcc_lo
	s_delay_alu instid0(VALU_DEP_1) | instskip(NEXT) | instid1(VALU_DEP_1)
	v_lshlrev_b32_e32 v105, 20, v105
	v_or3_b32 v105, v25, v107, v105
.LBB6_5324:                             ;   in Loop: Header=BB6_5300 Depth=3
	s_or_b32 exec_lo, exec_lo, s17
	s_delay_alu instid0(VALU_DEP_1) | instskip(NEXT) | instid1(VALU_DEP_1)
	v_add_f32_e32 v105, v106, v105
	v_and_b32_e32 v25, 0x7f800000, v105
	s_delay_alu instid0(VALU_DEP_1)
	v_cmp_ne_u32_e32 vcc_lo, 0x7f800000, v25
	v_mov_b32_e32 v25, 0x80
	s_and_saveexec_b32 s17, vcc_lo
	s_cbranch_execz .LBB6_5332
; %bb.5325:                             ;   in Loop: Header=BB6_5300 Depth=3
	v_mov_b32_e32 v25, 0
	s_mov_b32 s30, exec_lo
	v_cmpx_ne_u32_e32 0, v105
	s_cbranch_execz .LBB6_5331
; %bb.5326:                             ;   in Loop: Header=BB6_5300 Depth=3
	v_bfe_u32 v25, v105, 23, 8
	s_delay_alu instid0(VALU_DEP_1) | instskip(SKIP_1) | instid1(VALU_DEP_2)
	v_sub_nc_u32_e32 v107, 0x78, v25
	v_cmp_gt_u32_e32 vcc_lo, 0x79, v25
	v_dual_cndmask_b32 v107, 0, v107 :: v_dual_and_b32 v106, 0x7fffff, v105
	s_delay_alu instid0(VALU_DEP_1) | instskip(SKIP_2) | instid1(VALU_DEP_4)
	v_or_b32_e32 v108, 0x800000, v106
	v_cmp_eq_u32_e32 vcc_lo, 0, v25
	v_add_nc_u32_e32 v25, 0xffffff89, v25
	v_cndmask_b32_e64 v107, v107, 0x77, vcc_lo
	s_delay_alu instid0(VALU_DEP_4) | instskip(NEXT) | instid1(VALU_DEP_3)
	v_cndmask_b32_e32 v106, v108, v106, vcc_lo
	v_cndmask_b32_e64 v25, v25, 0xffffff8a, vcc_lo
	s_delay_alu instid0(VALU_DEP_3) | instskip(NEXT) | instid1(VALU_DEP_3)
	v_lshl_add_u32 v108, 0x100000, v107, -1
	v_lshrrev_b32_e32 v109, v107, v106
	v_lshlrev_b32_e64 v111, v107, 0x80000
	s_delay_alu instid0(VALU_DEP_4) | instskip(NEXT) | instid1(VALU_DEP_4)
	v_add_nc_u32_e32 v107, v107, v25
	v_and_b32_e32 v106, v108, v106
	s_delay_alu instid0(VALU_DEP_4) | instskip(NEXT) | instid1(VALU_DEP_2)
	v_bfe_u32 v110, v109, 20, 1
	v_cmp_eq_u32_e64 s13, v106, v111
	s_delay_alu instid0(VALU_DEP_2) | instskip(NEXT) | instid1(VALU_DEP_1)
	v_add_nc_u32_e32 v108, -1, v110
	v_cndmask_b32_e64 v106, 0, v108, s13
	v_lshrrev_b32_e32 v108, 23, v109
	s_mov_b32 s13, exec_lo
	s_delay_alu instid0(VALU_DEP_2) | instskip(NEXT) | instid1(VALU_DEP_2)
	v_add_nc_u32_e32 v106, v106, v109
	v_xor_b32_e32 v108, 1, v108
	s_delay_alu instid0(VALU_DEP_2) | instskip(NEXT) | instid1(VALU_DEP_1)
	v_and_b32_e32 v25, 0xfffff, v106
	v_add_nc_u32_e32 v106, v25, v109
                                        ; implicit-def: $vgpr25
	s_delay_alu instid0(VALU_DEP_3)
	v_cmpx_ne_u32_e64 v107, v108
	s_xor_b32 s13, exec_lo, s13
; %bb.5327:                             ;   in Loop: Header=BB6_5300 Depth=3
	s_delay_alu instid0(VALU_DEP_2) | instskip(SKIP_2) | instid1(VALU_DEP_2)
	v_cmp_lt_u32_e32 vcc_lo, 0xffffff, v106
	v_sub_nc_u32_e32 v25, v107, v108
	v_cndmask_b32_e64 v107, 0, 1, vcc_lo
	v_add_co_ci_u32_e32 v25, vcc_lo, 0, v25, vcc_lo
	s_delay_alu instid0(VALU_DEP_2)
	v_lshrrev_b32_e32 v106, v107, v106
; %bb.5328:                             ;   in Loop: Header=BB6_5300 Depth=3
	s_and_not1_saveexec_b32 s13, s13
; %bb.5329:                             ;   in Loop: Header=BB6_5300 Depth=3
	s_delay_alu instid0(VALU_DEP_1)
	v_bfe_u32 v25, v106, 23, 1
; %bb.5330:                             ;   in Loop: Header=BB6_5300 Depth=3
	s_or_b32 exec_lo, exec_lo, s13
	v_lshrrev_b32_e32 v106, 20, v106
	s_delay_alu instid0(VALU_DEP_2) | instskip(SKIP_2) | instid1(VALU_DEP_2)
	v_cmp_gt_i32_e32 vcc_lo, 16, v25
	v_lshrrev_b32_e32 v105, 24, v105
	v_min_i32_e32 v107, 15, v25
	v_dual_cndmask_b32 v106, 7, v106 :: v_dual_and_b32 v105, 0x80, v105
	s_delay_alu instid0(VALU_DEP_2) | instskip(NEXT) | instid1(VALU_DEP_2)
	v_lshlrev_b32_e32 v107, 3, v107
	v_or_b32_e32 v25, v25, v106
	s_delay_alu instid0(VALU_DEP_1) | instskip(SKIP_1) | instid1(VALU_DEP_1)
	v_cmp_ne_u32_e32 vcc_lo, 0, v25
	v_and_b32_e32 v108, 7, v106
	v_or3_b32 v105, v107, v105, v108
	s_delay_alu instid0(VALU_DEP_1)
	v_cndmask_b32_e32 v25, 0, v105, vcc_lo
.LBB6_5331:                             ;   in Loop: Header=BB6_5300 Depth=3
	s_or_b32 exec_lo, exec_lo, s30
.LBB6_5332:                             ;   in Loop: Header=BB6_5300 Depth=3
	s_delay_alu instid0(SALU_CYCLE_1) | instskip(SKIP_3) | instid1(VALU_DEP_1)
	s_or_b32 exec_lo, exec_lo, s17
	v_and_b32_e32 v106, 0xff, v104
	s_mov_b32 s13, 0
	s_mov_b32 s30, exec_lo
                                        ; implicit-def: $sgpr17
	v_cmpx_lt_i16_e32 0x7f, v106
	s_xor_b32 s30, exec_lo, s30
	s_cbranch_execnz .LBB6_5826
; %bb.5333:                             ;   in Loop: Header=BB6_5300 Depth=3
	s_or_saveexec_b32 s30, s30
	v_mov_b32_e32 v105, s17
	s_xor_b32 exec_lo, exec_lo, s30
	s_cbranch_execnz .LBB6_5829
.LBB6_5334:                             ;   in Loop: Header=BB6_5300 Depth=3
	s_or_b32 exec_lo, exec_lo, s30
	s_and_saveexec_b32 s17, s13
	s_cbranch_execz .LBB6_5336
.LBB6_5335:                             ;   in Loop: Header=BB6_5300 Depth=3
	v_lshrrev_b16 v108, 3, v104
	s_delay_alu instid0(VALU_DEP_1) | instskip(NEXT) | instid1(VALU_DEP_1)
	v_and_b32_e32 v108, 15, v108
	v_cmp_eq_u32_e32 vcc_lo, 0, v108
	v_and_b32_e32 v105, 7, v104
	s_delay_alu instid0(VALU_DEP_1) | instskip(NEXT) | instid1(VALU_DEP_1)
	v_clz_i32_u32_e32 v106, v105
	v_min_u32_e32 v106, 32, v106
	s_delay_alu instid0(VALU_DEP_1) | instskip(SKIP_1) | instid1(VALU_DEP_1)
	v_subrev_nc_u32_e32 v107, 28, v106
	v_sub_nc_u32_e32 v106, 29, v106
	v_dual_cndmask_b32 v106, v108, v106 :: v_dual_lshlrev_b32 v107, v107, v104
	v_lshlrev_b32_e32 v104, 24, v104
	s_delay_alu instid0(VALU_DEP_2) | instskip(NEXT) | instid1(VALU_DEP_3)
	v_and_b32_e32 v107, 7, v107
	v_lshl_add_u32 v106, v106, 23, 0x3b800000
	s_delay_alu instid0(VALU_DEP_2) | instskip(NEXT) | instid1(VALU_DEP_1)
	v_dual_cndmask_b32 v105, v105, v107 :: v_dual_and_b32 v104, 0x80000000, v104
	v_lshlrev_b32_e32 v105, 20, v105
	s_delay_alu instid0(VALU_DEP_1)
	v_or3_b32 v105, v104, v106, v105
.LBB6_5336:                             ;   in Loop: Header=BB6_5300 Depth=3
	s_or_b32 exec_lo, exec_lo, s17
	s_waitcnt vmcnt(29) lgkmcnt(29)
	v_and_b32_e32 v106, 0xff, v32
	s_mov_b32 s13, 0
	s_mov_b32 s30, exec_lo
                                        ; implicit-def: $sgpr17
	s_delay_alu instid0(VALU_DEP_1)
	v_cmpx_lt_i16_e32 0x7f, v106
	s_xor_b32 s30, exec_lo, s30
	s_cbranch_execnz .LBB6_5830
; %bb.5337:                             ;   in Loop: Header=BB6_5300 Depth=3
	s_or_saveexec_b32 s30, s30
	v_mov_b32_e32 v104, s17
	s_xor_b32 exec_lo, exec_lo, s30
	s_cbranch_execnz .LBB6_5833
.LBB6_5338:                             ;   in Loop: Header=BB6_5300 Depth=3
	s_or_b32 exec_lo, exec_lo, s30
	s_and_saveexec_b32 s17, s13
	s_cbranch_execz .LBB6_5340
.LBB6_5339:                             ;   in Loop: Header=BB6_5300 Depth=3
	v_and_b32_e32 v104, 7, v32
	v_lshrrev_b16 v108, 3, v32
	s_delay_alu instid0(VALU_DEP_2) | instskip(NEXT) | instid1(VALU_DEP_2)
	v_clz_i32_u32_e32 v106, v104
	v_and_b32_e32 v108, 15, v108
	s_delay_alu instid0(VALU_DEP_2) | instskip(NEXT) | instid1(VALU_DEP_2)
	v_min_u32_e32 v106, 32, v106
	v_cmp_eq_u32_e32 vcc_lo, 0, v108
	s_delay_alu instid0(VALU_DEP_2) | instskip(SKIP_1) | instid1(VALU_DEP_1)
	v_subrev_nc_u32_e32 v107, 28, v106
	v_sub_nc_u32_e32 v106, 29, v106
	v_dual_cndmask_b32 v106, v108, v106 :: v_dual_lshlrev_b32 v107, v107, v32
	v_lshlrev_b32_e32 v32, 24, v32
	s_delay_alu instid0(VALU_DEP_2) | instskip(NEXT) | instid1(VALU_DEP_3)
	v_and_b32_e32 v107, 7, v107
	v_lshl_add_u32 v106, v106, 23, 0x3b800000
	s_delay_alu instid0(VALU_DEP_3) | instskip(NEXT) | instid1(VALU_DEP_3)
	v_and_b32_e32 v32, 0x80000000, v32
	v_cndmask_b32_e32 v104, v104, v107, vcc_lo
	s_delay_alu instid0(VALU_DEP_1) | instskip(NEXT) | instid1(VALU_DEP_1)
	v_lshlrev_b32_e32 v104, 20, v104
	v_or3_b32 v104, v32, v106, v104
.LBB6_5340:                             ;   in Loop: Header=BB6_5300 Depth=3
	s_or_b32 exec_lo, exec_lo, s17
	s_delay_alu instid0(VALU_DEP_1) | instskip(NEXT) | instid1(VALU_DEP_1)
	v_add_f32_e32 v104, v105, v104
	v_and_b32_e32 v32, 0x7f800000, v104
	s_delay_alu instid0(VALU_DEP_1)
	v_cmp_ne_u32_e32 vcc_lo, 0x7f800000, v32
	v_mov_b32_e32 v32, 0x80
	s_and_saveexec_b32 s17, vcc_lo
	s_cbranch_execz .LBB6_5348
; %bb.5341:                             ;   in Loop: Header=BB6_5300 Depth=3
	v_mov_b32_e32 v32, 0
	s_mov_b32 s30, exec_lo
	v_cmpx_ne_u32_e32 0, v104
	s_cbranch_execz .LBB6_5347
; %bb.5342:                             ;   in Loop: Header=BB6_5300 Depth=3
	v_bfe_u32 v32, v104, 23, 8
	s_delay_alu instid0(VALU_DEP_1) | instskip(SKIP_1) | instid1(VALU_DEP_2)
	v_sub_nc_u32_e32 v106, 0x78, v32
	v_cmp_gt_u32_e32 vcc_lo, 0x79, v32
	v_dual_cndmask_b32 v106, 0, v106 :: v_dual_and_b32 v105, 0x7fffff, v104
	s_delay_alu instid0(VALU_DEP_1) | instskip(SKIP_2) | instid1(VALU_DEP_4)
	v_or_b32_e32 v107, 0x800000, v105
	v_cmp_eq_u32_e32 vcc_lo, 0, v32
	v_add_nc_u32_e32 v32, 0xffffff89, v32
	v_cndmask_b32_e64 v106, v106, 0x77, vcc_lo
	s_delay_alu instid0(VALU_DEP_4) | instskip(NEXT) | instid1(VALU_DEP_3)
	v_cndmask_b32_e32 v105, v107, v105, vcc_lo
	v_cndmask_b32_e64 v32, v32, 0xffffff8a, vcc_lo
	s_delay_alu instid0(VALU_DEP_3) | instskip(NEXT) | instid1(VALU_DEP_3)
	v_lshl_add_u32 v107, 0x100000, v106, -1
	v_lshrrev_b32_e32 v108, v106, v105
	v_lshlrev_b32_e64 v110, v106, 0x80000
	s_delay_alu instid0(VALU_DEP_4) | instskip(NEXT) | instid1(VALU_DEP_4)
	v_add_nc_u32_e32 v106, v106, v32
	v_and_b32_e32 v105, v107, v105
	s_delay_alu instid0(VALU_DEP_4) | instskip(NEXT) | instid1(VALU_DEP_2)
	v_bfe_u32 v109, v108, 20, 1
	v_cmp_eq_u32_e64 s13, v105, v110
	s_delay_alu instid0(VALU_DEP_2) | instskip(NEXT) | instid1(VALU_DEP_1)
	v_add_nc_u32_e32 v107, -1, v109
	v_cndmask_b32_e64 v105, 0, v107, s13
	v_lshrrev_b32_e32 v107, 23, v108
	s_mov_b32 s13, exec_lo
	s_delay_alu instid0(VALU_DEP_2) | instskip(NEXT) | instid1(VALU_DEP_2)
	v_add_nc_u32_e32 v105, v105, v108
	v_xor_b32_e32 v107, 1, v107
	s_delay_alu instid0(VALU_DEP_2) | instskip(NEXT) | instid1(VALU_DEP_1)
	v_and_b32_e32 v32, 0xfffff, v105
	v_add_nc_u32_e32 v105, v32, v108
                                        ; implicit-def: $vgpr32
	s_delay_alu instid0(VALU_DEP_3)
	v_cmpx_ne_u32_e64 v106, v107
	s_xor_b32 s13, exec_lo, s13
; %bb.5343:                             ;   in Loop: Header=BB6_5300 Depth=3
	s_delay_alu instid0(VALU_DEP_2) | instskip(SKIP_2) | instid1(VALU_DEP_2)
	v_cmp_lt_u32_e32 vcc_lo, 0xffffff, v105
	v_sub_nc_u32_e32 v32, v106, v107
	v_cndmask_b32_e64 v106, 0, 1, vcc_lo
	v_add_co_ci_u32_e32 v32, vcc_lo, 0, v32, vcc_lo
	s_delay_alu instid0(VALU_DEP_2)
	v_lshrrev_b32_e32 v105, v106, v105
; %bb.5344:                             ;   in Loop: Header=BB6_5300 Depth=3
	s_and_not1_saveexec_b32 s13, s13
; %bb.5345:                             ;   in Loop: Header=BB6_5300 Depth=3
	s_delay_alu instid0(VALU_DEP_1)
	v_bfe_u32 v32, v105, 23, 1
; %bb.5346:                             ;   in Loop: Header=BB6_5300 Depth=3
	s_or_b32 exec_lo, exec_lo, s13
	v_lshrrev_b32_e32 v105, 20, v105
	s_delay_alu instid0(VALU_DEP_2) | instskip(SKIP_2) | instid1(VALU_DEP_2)
	v_cmp_gt_i32_e32 vcc_lo, 16, v32
	v_lshrrev_b32_e32 v104, 24, v104
	v_min_i32_e32 v106, 15, v32
	v_dual_cndmask_b32 v105, 7, v105 :: v_dual_and_b32 v104, 0x80, v104
	s_delay_alu instid0(VALU_DEP_2) | instskip(NEXT) | instid1(VALU_DEP_2)
	v_lshlrev_b32_e32 v106, 3, v106
	v_or_b32_e32 v32, v32, v105
	s_delay_alu instid0(VALU_DEP_1) | instskip(SKIP_1) | instid1(VALU_DEP_1)
	v_cmp_ne_u32_e32 vcc_lo, 0, v32
	v_and_b32_e32 v107, 7, v105
	v_or3_b32 v104, v106, v104, v107
	s_delay_alu instid0(VALU_DEP_1)
	v_cndmask_b32_e32 v32, 0, v104, vcc_lo
.LBB6_5347:                             ;   in Loop: Header=BB6_5300 Depth=3
	s_or_b32 exec_lo, exec_lo, s30
.LBB6_5348:                             ;   in Loop: Header=BB6_5300 Depth=3
	s_delay_alu instid0(SALU_CYCLE_1) | instskip(SKIP_3) | instid1(VALU_DEP_1)
	s_or_b32 exec_lo, exec_lo, s17
	v_and_b32_e32 v105, 0xff, v95
	s_mov_b32 s13, 0
	s_mov_b32 s30, exec_lo
                                        ; implicit-def: $sgpr17
	v_cmpx_lt_i16_e32 0x7f, v105
	s_xor_b32 s30, exec_lo, s30
	s_cbranch_execnz .LBB6_5834
; %bb.5349:                             ;   in Loop: Header=BB6_5300 Depth=3
	s_or_saveexec_b32 s30, s30
	v_mov_b32_e32 v104, s17
	s_xor_b32 exec_lo, exec_lo, s30
	s_cbranch_execnz .LBB6_5837
.LBB6_5350:                             ;   in Loop: Header=BB6_5300 Depth=3
	s_or_b32 exec_lo, exec_lo, s30
	s_and_saveexec_b32 s17, s13
	s_cbranch_execz .LBB6_5352
.LBB6_5351:                             ;   in Loop: Header=BB6_5300 Depth=3
	v_lshrrev_b16 v107, 3, v95
	s_delay_alu instid0(VALU_DEP_1) | instskip(NEXT) | instid1(VALU_DEP_1)
	v_and_b32_e32 v107, 15, v107
	v_cmp_eq_u32_e32 vcc_lo, 0, v107
	v_and_b32_e32 v104, 7, v95
	s_delay_alu instid0(VALU_DEP_1) | instskip(NEXT) | instid1(VALU_DEP_1)
	v_clz_i32_u32_e32 v105, v104
	v_min_u32_e32 v105, 32, v105
	s_delay_alu instid0(VALU_DEP_1) | instskip(SKIP_1) | instid1(VALU_DEP_1)
	v_subrev_nc_u32_e32 v106, 28, v105
	v_sub_nc_u32_e32 v105, 29, v105
	v_dual_cndmask_b32 v105, v107, v105 :: v_dual_lshlrev_b32 v106, v106, v95
	v_lshlrev_b32_e32 v95, 24, v95
	s_delay_alu instid0(VALU_DEP_2) | instskip(NEXT) | instid1(VALU_DEP_3)
	v_and_b32_e32 v106, 7, v106
	v_lshl_add_u32 v105, v105, 23, 0x3b800000
	s_delay_alu instid0(VALU_DEP_2) | instskip(NEXT) | instid1(VALU_DEP_1)
	v_dual_cndmask_b32 v104, v104, v106 :: v_dual_and_b32 v95, 0x80000000, v95
	v_lshlrev_b32_e32 v104, 20, v104
	s_delay_alu instid0(VALU_DEP_1)
	v_or3_b32 v104, v95, v105, v104
.LBB6_5352:                             ;   in Loop: Header=BB6_5300 Depth=3
	s_or_b32 exec_lo, exec_lo, s17
	s_waitcnt vmcnt(28) lgkmcnt(28)
	v_and_b32_e32 v105, 0xff, v35
	s_mov_b32 s13, 0
	s_mov_b32 s30, exec_lo
                                        ; implicit-def: $sgpr17
	s_delay_alu instid0(VALU_DEP_1)
	v_cmpx_lt_i16_e32 0x7f, v105
	s_xor_b32 s30, exec_lo, s30
	s_cbranch_execnz .LBB6_5838
; %bb.5353:                             ;   in Loop: Header=BB6_5300 Depth=3
	s_or_saveexec_b32 s30, s30
	v_mov_b32_e32 v95, s17
	s_xor_b32 exec_lo, exec_lo, s30
	s_cbranch_execnz .LBB6_5841
.LBB6_5354:                             ;   in Loop: Header=BB6_5300 Depth=3
	s_or_b32 exec_lo, exec_lo, s30
	s_and_saveexec_b32 s17, s13
	s_cbranch_execz .LBB6_5356
.LBB6_5355:                             ;   in Loop: Header=BB6_5300 Depth=3
	v_and_b32_e32 v95, 7, v35
	v_lshrrev_b16 v107, 3, v35
	s_delay_alu instid0(VALU_DEP_2) | instskip(NEXT) | instid1(VALU_DEP_2)
	v_clz_i32_u32_e32 v105, v95
	v_and_b32_e32 v107, 15, v107
	s_delay_alu instid0(VALU_DEP_2) | instskip(NEXT) | instid1(VALU_DEP_2)
	v_min_u32_e32 v105, 32, v105
	v_cmp_eq_u32_e32 vcc_lo, 0, v107
	s_delay_alu instid0(VALU_DEP_2) | instskip(SKIP_1) | instid1(VALU_DEP_1)
	v_subrev_nc_u32_e32 v106, 28, v105
	v_sub_nc_u32_e32 v105, 29, v105
	v_dual_cndmask_b32 v105, v107, v105 :: v_dual_lshlrev_b32 v106, v106, v35
	v_lshlrev_b32_e32 v35, 24, v35
	s_delay_alu instid0(VALU_DEP_2) | instskip(NEXT) | instid1(VALU_DEP_3)
	v_and_b32_e32 v106, 7, v106
	v_lshl_add_u32 v105, v105, 23, 0x3b800000
	s_delay_alu instid0(VALU_DEP_3) | instskip(NEXT) | instid1(VALU_DEP_3)
	v_and_b32_e32 v35, 0x80000000, v35
	v_cndmask_b32_e32 v95, v95, v106, vcc_lo
	s_delay_alu instid0(VALU_DEP_1) | instskip(NEXT) | instid1(VALU_DEP_1)
	v_lshlrev_b32_e32 v95, 20, v95
	v_or3_b32 v95, v35, v105, v95
.LBB6_5356:                             ;   in Loop: Header=BB6_5300 Depth=3
	s_or_b32 exec_lo, exec_lo, s17
	s_delay_alu instid0(VALU_DEP_1) | instskip(NEXT) | instid1(VALU_DEP_1)
	v_add_f32_e32 v95, v104, v95
	v_and_b32_e32 v35, 0x7f800000, v95
	s_delay_alu instid0(VALU_DEP_1)
	v_cmp_ne_u32_e32 vcc_lo, 0x7f800000, v35
	v_mov_b32_e32 v35, 0x80
	s_and_saveexec_b32 s17, vcc_lo
	s_cbranch_execz .LBB6_5364
; %bb.5357:                             ;   in Loop: Header=BB6_5300 Depth=3
	v_mov_b32_e32 v35, 0
	s_mov_b32 s30, exec_lo
	v_cmpx_ne_u32_e32 0, v95
	s_cbranch_execz .LBB6_5363
; %bb.5358:                             ;   in Loop: Header=BB6_5300 Depth=3
	v_bfe_u32 v35, v95, 23, 8
	s_delay_alu instid0(VALU_DEP_1) | instskip(SKIP_1) | instid1(VALU_DEP_2)
	v_sub_nc_u32_e32 v105, 0x78, v35
	v_cmp_gt_u32_e32 vcc_lo, 0x79, v35
	v_dual_cndmask_b32 v105, 0, v105 :: v_dual_and_b32 v104, 0x7fffff, v95
	s_delay_alu instid0(VALU_DEP_1) | instskip(SKIP_2) | instid1(VALU_DEP_4)
	v_or_b32_e32 v106, 0x800000, v104
	v_cmp_eq_u32_e32 vcc_lo, 0, v35
	v_add_nc_u32_e32 v35, 0xffffff89, v35
	v_cndmask_b32_e64 v105, v105, 0x77, vcc_lo
	s_delay_alu instid0(VALU_DEP_4) | instskip(NEXT) | instid1(VALU_DEP_3)
	v_cndmask_b32_e32 v104, v106, v104, vcc_lo
	v_cndmask_b32_e64 v35, v35, 0xffffff8a, vcc_lo
	s_delay_alu instid0(VALU_DEP_3) | instskip(NEXT) | instid1(VALU_DEP_3)
	v_lshl_add_u32 v106, 0x100000, v105, -1
	v_lshrrev_b32_e32 v107, v105, v104
	v_lshlrev_b32_e64 v109, v105, 0x80000
	s_delay_alu instid0(VALU_DEP_4) | instskip(NEXT) | instid1(VALU_DEP_4)
	v_add_nc_u32_e32 v105, v105, v35
	v_and_b32_e32 v104, v106, v104
	s_delay_alu instid0(VALU_DEP_4) | instskip(NEXT) | instid1(VALU_DEP_2)
	v_bfe_u32 v108, v107, 20, 1
	v_cmp_eq_u32_e64 s13, v104, v109
	s_delay_alu instid0(VALU_DEP_2) | instskip(NEXT) | instid1(VALU_DEP_1)
	v_add_nc_u32_e32 v106, -1, v108
	v_cndmask_b32_e64 v104, 0, v106, s13
	v_lshrrev_b32_e32 v106, 23, v107
	s_mov_b32 s13, exec_lo
	s_delay_alu instid0(VALU_DEP_2) | instskip(NEXT) | instid1(VALU_DEP_2)
	v_add_nc_u32_e32 v104, v104, v107
	v_xor_b32_e32 v106, 1, v106
	s_delay_alu instid0(VALU_DEP_2) | instskip(NEXT) | instid1(VALU_DEP_1)
	v_and_b32_e32 v35, 0xfffff, v104
	v_add_nc_u32_e32 v104, v35, v107
                                        ; implicit-def: $vgpr35
	s_delay_alu instid0(VALU_DEP_3)
	v_cmpx_ne_u32_e64 v105, v106
	s_xor_b32 s13, exec_lo, s13
; %bb.5359:                             ;   in Loop: Header=BB6_5300 Depth=3
	s_delay_alu instid0(VALU_DEP_2) | instskip(SKIP_2) | instid1(VALU_DEP_2)
	v_cmp_lt_u32_e32 vcc_lo, 0xffffff, v104
	v_sub_nc_u32_e32 v35, v105, v106
	v_cndmask_b32_e64 v105, 0, 1, vcc_lo
	v_add_co_ci_u32_e32 v35, vcc_lo, 0, v35, vcc_lo
	s_delay_alu instid0(VALU_DEP_2)
	v_lshrrev_b32_e32 v104, v105, v104
; %bb.5360:                             ;   in Loop: Header=BB6_5300 Depth=3
	s_and_not1_saveexec_b32 s13, s13
; %bb.5361:                             ;   in Loop: Header=BB6_5300 Depth=3
	s_delay_alu instid0(VALU_DEP_1)
	v_bfe_u32 v35, v104, 23, 1
; %bb.5362:                             ;   in Loop: Header=BB6_5300 Depth=3
	s_or_b32 exec_lo, exec_lo, s13
	v_lshrrev_b32_e32 v104, 20, v104
	s_delay_alu instid0(VALU_DEP_2) | instskip(SKIP_2) | instid1(VALU_DEP_2)
	v_cmp_gt_i32_e32 vcc_lo, 16, v35
	v_lshrrev_b32_e32 v95, 24, v95
	v_min_i32_e32 v105, 15, v35
	v_dual_cndmask_b32 v104, 7, v104 :: v_dual_and_b32 v95, 0x80, v95
	s_delay_alu instid0(VALU_DEP_2) | instskip(NEXT) | instid1(VALU_DEP_2)
	v_lshlrev_b32_e32 v105, 3, v105
	v_or_b32_e32 v35, v35, v104
	s_delay_alu instid0(VALU_DEP_1) | instskip(SKIP_1) | instid1(VALU_DEP_1)
	v_cmp_ne_u32_e32 vcc_lo, 0, v35
	v_and_b32_e32 v106, 7, v104
	v_or3_b32 v95, v105, v95, v106
	s_delay_alu instid0(VALU_DEP_1)
	v_cndmask_b32_e32 v35, 0, v95, vcc_lo
.LBB6_5363:                             ;   in Loop: Header=BB6_5300 Depth=3
	s_or_b32 exec_lo, exec_lo, s30
.LBB6_5364:                             ;   in Loop: Header=BB6_5300 Depth=3
	s_delay_alu instid0(SALU_CYCLE_1) | instskip(SKIP_3) | instid1(VALU_DEP_1)
	s_or_b32 exec_lo, exec_lo, s17
	v_and_b32_e32 v104, 0xff, v94
	s_mov_b32 s13, 0
	s_mov_b32 s30, exec_lo
                                        ; implicit-def: $sgpr17
	v_cmpx_lt_i16_e32 0x7f, v104
	s_xor_b32 s30, exec_lo, s30
	s_cbranch_execnz .LBB6_5842
; %bb.5365:                             ;   in Loop: Header=BB6_5300 Depth=3
	s_or_saveexec_b32 s30, s30
	v_mov_b32_e32 v95, s17
	s_xor_b32 exec_lo, exec_lo, s30
	s_cbranch_execnz .LBB6_5845
.LBB6_5366:                             ;   in Loop: Header=BB6_5300 Depth=3
	s_or_b32 exec_lo, exec_lo, s30
	s_and_saveexec_b32 s17, s13
	s_cbranch_execz .LBB6_5368
.LBB6_5367:                             ;   in Loop: Header=BB6_5300 Depth=3
	v_lshrrev_b16 v106, 3, v94
	s_delay_alu instid0(VALU_DEP_1) | instskip(NEXT) | instid1(VALU_DEP_1)
	v_and_b32_e32 v106, 15, v106
	v_cmp_eq_u32_e32 vcc_lo, 0, v106
	v_and_b32_e32 v95, 7, v94
	s_delay_alu instid0(VALU_DEP_1) | instskip(NEXT) | instid1(VALU_DEP_1)
	v_clz_i32_u32_e32 v104, v95
	v_min_u32_e32 v104, 32, v104
	s_delay_alu instid0(VALU_DEP_1) | instskip(SKIP_1) | instid1(VALU_DEP_1)
	v_subrev_nc_u32_e32 v105, 28, v104
	v_sub_nc_u32_e32 v104, 29, v104
	v_dual_cndmask_b32 v104, v106, v104 :: v_dual_lshlrev_b32 v105, v105, v94
	v_lshlrev_b32_e32 v94, 24, v94
	s_delay_alu instid0(VALU_DEP_2) | instskip(NEXT) | instid1(VALU_DEP_3)
	v_and_b32_e32 v105, 7, v105
	v_lshl_add_u32 v104, v104, 23, 0x3b800000
	s_delay_alu instid0(VALU_DEP_2) | instskip(NEXT) | instid1(VALU_DEP_1)
	v_dual_cndmask_b32 v95, v95, v105 :: v_dual_and_b32 v94, 0x80000000, v94
	v_lshlrev_b32_e32 v95, 20, v95
	s_delay_alu instid0(VALU_DEP_1)
	v_or3_b32 v95, v94, v104, v95
.LBB6_5368:                             ;   in Loop: Header=BB6_5300 Depth=3
	s_or_b32 exec_lo, exec_lo, s17
	s_waitcnt vmcnt(27) lgkmcnt(27)
	v_and_b32_e32 v104, 0xff, v38
	s_mov_b32 s13, 0
	s_mov_b32 s30, exec_lo
                                        ; implicit-def: $sgpr17
	s_delay_alu instid0(VALU_DEP_1)
	v_cmpx_lt_i16_e32 0x7f, v104
	s_xor_b32 s30, exec_lo, s30
	s_cbranch_execnz .LBB6_5846
; %bb.5369:                             ;   in Loop: Header=BB6_5300 Depth=3
	s_or_saveexec_b32 s30, s30
	v_mov_b32_e32 v94, s17
	s_xor_b32 exec_lo, exec_lo, s30
	s_cbranch_execnz .LBB6_5849
.LBB6_5370:                             ;   in Loop: Header=BB6_5300 Depth=3
	s_or_b32 exec_lo, exec_lo, s30
	s_and_saveexec_b32 s17, s13
	s_cbranch_execz .LBB6_5372
.LBB6_5371:                             ;   in Loop: Header=BB6_5300 Depth=3
	v_and_b32_e32 v94, 7, v38
	v_lshrrev_b16 v106, 3, v38
	s_delay_alu instid0(VALU_DEP_2) | instskip(NEXT) | instid1(VALU_DEP_2)
	v_clz_i32_u32_e32 v104, v94
	v_and_b32_e32 v106, 15, v106
	s_delay_alu instid0(VALU_DEP_2) | instskip(NEXT) | instid1(VALU_DEP_2)
	v_min_u32_e32 v104, 32, v104
	v_cmp_eq_u32_e32 vcc_lo, 0, v106
	s_delay_alu instid0(VALU_DEP_2) | instskip(SKIP_1) | instid1(VALU_DEP_1)
	v_subrev_nc_u32_e32 v105, 28, v104
	v_sub_nc_u32_e32 v104, 29, v104
	v_dual_cndmask_b32 v104, v106, v104 :: v_dual_lshlrev_b32 v105, v105, v38
	v_lshlrev_b32_e32 v38, 24, v38
	s_delay_alu instid0(VALU_DEP_2) | instskip(NEXT) | instid1(VALU_DEP_3)
	v_and_b32_e32 v105, 7, v105
	v_lshl_add_u32 v104, v104, 23, 0x3b800000
	s_delay_alu instid0(VALU_DEP_3) | instskip(NEXT) | instid1(VALU_DEP_3)
	v_and_b32_e32 v38, 0x80000000, v38
	v_cndmask_b32_e32 v94, v94, v105, vcc_lo
	s_delay_alu instid0(VALU_DEP_1) | instskip(NEXT) | instid1(VALU_DEP_1)
	v_lshlrev_b32_e32 v94, 20, v94
	v_or3_b32 v94, v38, v104, v94
.LBB6_5372:                             ;   in Loop: Header=BB6_5300 Depth=3
	s_or_b32 exec_lo, exec_lo, s17
	s_delay_alu instid0(VALU_DEP_1) | instskip(NEXT) | instid1(VALU_DEP_1)
	v_add_f32_e32 v94, v95, v94
	v_and_b32_e32 v38, 0x7f800000, v94
	s_delay_alu instid0(VALU_DEP_1)
	v_cmp_ne_u32_e32 vcc_lo, 0x7f800000, v38
	v_mov_b32_e32 v38, 0x80
	s_and_saveexec_b32 s17, vcc_lo
	s_cbranch_execz .LBB6_5380
; %bb.5373:                             ;   in Loop: Header=BB6_5300 Depth=3
	v_mov_b32_e32 v38, 0
	s_mov_b32 s30, exec_lo
	v_cmpx_ne_u32_e32 0, v94
	s_cbranch_execz .LBB6_5379
; %bb.5374:                             ;   in Loop: Header=BB6_5300 Depth=3
	v_bfe_u32 v38, v94, 23, 8
	s_delay_alu instid0(VALU_DEP_1) | instskip(SKIP_1) | instid1(VALU_DEP_2)
	v_sub_nc_u32_e32 v104, 0x78, v38
	v_cmp_gt_u32_e32 vcc_lo, 0x79, v38
	v_dual_cndmask_b32 v104, 0, v104 :: v_dual_and_b32 v95, 0x7fffff, v94
	s_delay_alu instid0(VALU_DEP_1) | instskip(SKIP_2) | instid1(VALU_DEP_4)
	v_or_b32_e32 v105, 0x800000, v95
	v_cmp_eq_u32_e32 vcc_lo, 0, v38
	v_add_nc_u32_e32 v38, 0xffffff89, v38
	v_cndmask_b32_e64 v104, v104, 0x77, vcc_lo
	s_delay_alu instid0(VALU_DEP_4) | instskip(NEXT) | instid1(VALU_DEP_3)
	v_cndmask_b32_e32 v95, v105, v95, vcc_lo
	v_cndmask_b32_e64 v38, v38, 0xffffff8a, vcc_lo
	s_delay_alu instid0(VALU_DEP_3) | instskip(NEXT) | instid1(VALU_DEP_3)
	v_lshl_add_u32 v105, 0x100000, v104, -1
	v_lshrrev_b32_e32 v106, v104, v95
	v_lshlrev_b32_e64 v108, v104, 0x80000
	s_delay_alu instid0(VALU_DEP_4) | instskip(NEXT) | instid1(VALU_DEP_4)
	v_add_nc_u32_e32 v104, v104, v38
	v_and_b32_e32 v95, v105, v95
	s_delay_alu instid0(VALU_DEP_4) | instskip(NEXT) | instid1(VALU_DEP_2)
	v_bfe_u32 v107, v106, 20, 1
	v_cmp_eq_u32_e64 s13, v95, v108
	s_delay_alu instid0(VALU_DEP_2) | instskip(NEXT) | instid1(VALU_DEP_1)
	v_add_nc_u32_e32 v105, -1, v107
	v_cndmask_b32_e64 v95, 0, v105, s13
	v_lshrrev_b32_e32 v105, 23, v106
	s_mov_b32 s13, exec_lo
	s_delay_alu instid0(VALU_DEP_2) | instskip(NEXT) | instid1(VALU_DEP_2)
	v_add_nc_u32_e32 v95, v95, v106
	v_xor_b32_e32 v105, 1, v105
	s_delay_alu instid0(VALU_DEP_2) | instskip(NEXT) | instid1(VALU_DEP_1)
	v_and_b32_e32 v38, 0xfffff, v95
	v_add_nc_u32_e32 v95, v38, v106
                                        ; implicit-def: $vgpr38
	s_delay_alu instid0(VALU_DEP_3)
	v_cmpx_ne_u32_e64 v104, v105
	s_xor_b32 s13, exec_lo, s13
; %bb.5375:                             ;   in Loop: Header=BB6_5300 Depth=3
	s_delay_alu instid0(VALU_DEP_2) | instskip(SKIP_2) | instid1(VALU_DEP_2)
	v_cmp_lt_u32_e32 vcc_lo, 0xffffff, v95
	v_sub_nc_u32_e32 v38, v104, v105
	v_cndmask_b32_e64 v104, 0, 1, vcc_lo
	v_add_co_ci_u32_e32 v38, vcc_lo, 0, v38, vcc_lo
	s_delay_alu instid0(VALU_DEP_2)
	v_lshrrev_b32_e32 v95, v104, v95
; %bb.5376:                             ;   in Loop: Header=BB6_5300 Depth=3
	s_and_not1_saveexec_b32 s13, s13
; %bb.5377:                             ;   in Loop: Header=BB6_5300 Depth=3
	s_delay_alu instid0(VALU_DEP_1)
	v_bfe_u32 v38, v95, 23, 1
; %bb.5378:                             ;   in Loop: Header=BB6_5300 Depth=3
	s_or_b32 exec_lo, exec_lo, s13
	v_lshrrev_b32_e32 v95, 20, v95
	s_delay_alu instid0(VALU_DEP_2) | instskip(SKIP_2) | instid1(VALU_DEP_2)
	v_cmp_gt_i32_e32 vcc_lo, 16, v38
	v_lshrrev_b32_e32 v94, 24, v94
	v_min_i32_e32 v104, 15, v38
	v_dual_cndmask_b32 v95, 7, v95 :: v_dual_and_b32 v94, 0x80, v94
	s_delay_alu instid0(VALU_DEP_2) | instskip(NEXT) | instid1(VALU_DEP_2)
	v_lshlrev_b32_e32 v104, 3, v104
	v_or_b32_e32 v38, v38, v95
	s_delay_alu instid0(VALU_DEP_1) | instskip(SKIP_1) | instid1(VALU_DEP_1)
	v_cmp_ne_u32_e32 vcc_lo, 0, v38
	v_and_b32_e32 v105, 7, v95
	v_or3_b32 v94, v104, v94, v105
	s_delay_alu instid0(VALU_DEP_1)
	v_cndmask_b32_e32 v38, 0, v94, vcc_lo
.LBB6_5379:                             ;   in Loop: Header=BB6_5300 Depth=3
	s_or_b32 exec_lo, exec_lo, s30
.LBB6_5380:                             ;   in Loop: Header=BB6_5300 Depth=3
	s_delay_alu instid0(SALU_CYCLE_1) | instskip(SKIP_3) | instid1(VALU_DEP_1)
	s_or_b32 exec_lo, exec_lo, s17
	v_and_b32_e32 v95, 0xff, v93
	s_mov_b32 s13, 0
	s_mov_b32 s30, exec_lo
                                        ; implicit-def: $sgpr17
	v_cmpx_lt_i16_e32 0x7f, v95
	s_xor_b32 s30, exec_lo, s30
	s_cbranch_execnz .LBB6_5850
; %bb.5381:                             ;   in Loop: Header=BB6_5300 Depth=3
	s_or_saveexec_b32 s30, s30
	v_mov_b32_e32 v94, s17
	s_xor_b32 exec_lo, exec_lo, s30
	s_cbranch_execnz .LBB6_5853
.LBB6_5382:                             ;   in Loop: Header=BB6_5300 Depth=3
	s_or_b32 exec_lo, exec_lo, s30
	s_and_saveexec_b32 s17, s13
	s_cbranch_execz .LBB6_5384
.LBB6_5383:                             ;   in Loop: Header=BB6_5300 Depth=3
	v_lshrrev_b16 v105, 3, v93
	s_delay_alu instid0(VALU_DEP_1) | instskip(NEXT) | instid1(VALU_DEP_1)
	v_and_b32_e32 v105, 15, v105
	v_cmp_eq_u32_e32 vcc_lo, 0, v105
	v_and_b32_e32 v94, 7, v93
	s_delay_alu instid0(VALU_DEP_1) | instskip(NEXT) | instid1(VALU_DEP_1)
	v_clz_i32_u32_e32 v95, v94
	v_min_u32_e32 v95, 32, v95
	s_delay_alu instid0(VALU_DEP_1) | instskip(SKIP_1) | instid1(VALU_DEP_1)
	v_subrev_nc_u32_e32 v104, 28, v95
	v_sub_nc_u32_e32 v95, 29, v95
	v_dual_cndmask_b32 v95, v105, v95 :: v_dual_lshlrev_b32 v104, v104, v93
	v_lshlrev_b32_e32 v93, 24, v93
	s_delay_alu instid0(VALU_DEP_2) | instskip(NEXT) | instid1(VALU_DEP_3)
	v_and_b32_e32 v104, 7, v104
	v_lshl_add_u32 v95, v95, 23, 0x3b800000
	s_delay_alu instid0(VALU_DEP_2) | instskip(NEXT) | instid1(VALU_DEP_1)
	v_dual_cndmask_b32 v94, v94, v104 :: v_dual_and_b32 v93, 0x80000000, v93
	v_lshlrev_b32_e32 v94, 20, v94
	s_delay_alu instid0(VALU_DEP_1)
	v_or3_b32 v94, v93, v95, v94
.LBB6_5384:                             ;   in Loop: Header=BB6_5300 Depth=3
	s_or_b32 exec_lo, exec_lo, s17
	s_waitcnt vmcnt(26) lgkmcnt(26)
	v_and_b32_e32 v95, 0xff, v49
	s_mov_b32 s13, 0
	s_mov_b32 s30, exec_lo
                                        ; implicit-def: $sgpr17
	s_delay_alu instid0(VALU_DEP_1)
	v_cmpx_lt_i16_e32 0x7f, v95
	s_xor_b32 s30, exec_lo, s30
	s_cbranch_execnz .LBB6_5854
; %bb.5385:                             ;   in Loop: Header=BB6_5300 Depth=3
	s_or_saveexec_b32 s30, s30
	v_mov_b32_e32 v93, s17
	s_xor_b32 exec_lo, exec_lo, s30
	s_cbranch_execnz .LBB6_5857
.LBB6_5386:                             ;   in Loop: Header=BB6_5300 Depth=3
	s_or_b32 exec_lo, exec_lo, s30
	s_and_saveexec_b32 s17, s13
	s_cbranch_execz .LBB6_5388
.LBB6_5387:                             ;   in Loop: Header=BB6_5300 Depth=3
	v_and_b32_e32 v93, 7, v49
	v_lshrrev_b16 v105, 3, v49
	s_delay_alu instid0(VALU_DEP_2) | instskip(NEXT) | instid1(VALU_DEP_2)
	v_clz_i32_u32_e32 v95, v93
	v_and_b32_e32 v105, 15, v105
	s_delay_alu instid0(VALU_DEP_2) | instskip(NEXT) | instid1(VALU_DEP_2)
	v_min_u32_e32 v95, 32, v95
	v_cmp_eq_u32_e32 vcc_lo, 0, v105
	s_delay_alu instid0(VALU_DEP_2) | instskip(SKIP_1) | instid1(VALU_DEP_1)
	v_subrev_nc_u32_e32 v104, 28, v95
	v_sub_nc_u32_e32 v95, 29, v95
	v_dual_cndmask_b32 v95, v105, v95 :: v_dual_lshlrev_b32 v104, v104, v49
	v_lshlrev_b32_e32 v49, 24, v49
	s_delay_alu instid0(VALU_DEP_2) | instskip(NEXT) | instid1(VALU_DEP_3)
	v_and_b32_e32 v104, 7, v104
	v_lshl_add_u32 v95, v95, 23, 0x3b800000
	s_delay_alu instid0(VALU_DEP_3) | instskip(NEXT) | instid1(VALU_DEP_3)
	v_and_b32_e32 v49, 0x80000000, v49
	v_cndmask_b32_e32 v93, v93, v104, vcc_lo
	s_delay_alu instid0(VALU_DEP_1) | instskip(NEXT) | instid1(VALU_DEP_1)
	v_lshlrev_b32_e32 v93, 20, v93
	v_or3_b32 v93, v49, v95, v93
.LBB6_5388:                             ;   in Loop: Header=BB6_5300 Depth=3
	s_or_b32 exec_lo, exec_lo, s17
	s_delay_alu instid0(VALU_DEP_1) | instskip(NEXT) | instid1(VALU_DEP_1)
	v_add_f32_e32 v93, v94, v93
	v_and_b32_e32 v49, 0x7f800000, v93
	s_delay_alu instid0(VALU_DEP_1)
	v_cmp_ne_u32_e32 vcc_lo, 0x7f800000, v49
	v_mov_b32_e32 v49, 0x80
	s_and_saveexec_b32 s17, vcc_lo
	s_cbranch_execz .LBB6_5396
; %bb.5389:                             ;   in Loop: Header=BB6_5300 Depth=3
	v_mov_b32_e32 v49, 0
	s_mov_b32 s30, exec_lo
	v_cmpx_ne_u32_e32 0, v93
	s_cbranch_execz .LBB6_5395
; %bb.5390:                             ;   in Loop: Header=BB6_5300 Depth=3
	v_bfe_u32 v49, v93, 23, 8
	s_delay_alu instid0(VALU_DEP_1) | instskip(SKIP_1) | instid1(VALU_DEP_2)
	v_sub_nc_u32_e32 v95, 0x78, v49
	v_cmp_gt_u32_e32 vcc_lo, 0x79, v49
	v_dual_cndmask_b32 v95, 0, v95 :: v_dual_and_b32 v94, 0x7fffff, v93
	s_delay_alu instid0(VALU_DEP_1) | instskip(SKIP_2) | instid1(VALU_DEP_4)
	v_or_b32_e32 v104, 0x800000, v94
	v_cmp_eq_u32_e32 vcc_lo, 0, v49
	v_add_nc_u32_e32 v49, 0xffffff89, v49
	v_cndmask_b32_e64 v95, v95, 0x77, vcc_lo
	s_delay_alu instid0(VALU_DEP_4) | instskip(NEXT) | instid1(VALU_DEP_3)
	v_cndmask_b32_e32 v94, v104, v94, vcc_lo
	v_cndmask_b32_e64 v49, v49, 0xffffff8a, vcc_lo
	s_delay_alu instid0(VALU_DEP_3) | instskip(NEXT) | instid1(VALU_DEP_3)
	v_lshl_add_u32 v104, 0x100000, v95, -1
	v_lshrrev_b32_e32 v105, v95, v94
	v_lshlrev_b32_e64 v107, v95, 0x80000
	s_delay_alu instid0(VALU_DEP_4) | instskip(NEXT) | instid1(VALU_DEP_4)
	v_add_nc_u32_e32 v95, v95, v49
	v_and_b32_e32 v94, v104, v94
	s_delay_alu instid0(VALU_DEP_4) | instskip(NEXT) | instid1(VALU_DEP_2)
	v_bfe_u32 v106, v105, 20, 1
	v_cmp_eq_u32_e64 s13, v94, v107
	s_delay_alu instid0(VALU_DEP_2) | instskip(NEXT) | instid1(VALU_DEP_1)
	v_add_nc_u32_e32 v104, -1, v106
	v_cndmask_b32_e64 v94, 0, v104, s13
	v_lshrrev_b32_e32 v104, 23, v105
	s_mov_b32 s13, exec_lo
	s_delay_alu instid0(VALU_DEP_2) | instskip(NEXT) | instid1(VALU_DEP_2)
	v_add_nc_u32_e32 v94, v94, v105
	v_xor_b32_e32 v104, 1, v104
	s_delay_alu instid0(VALU_DEP_2) | instskip(NEXT) | instid1(VALU_DEP_1)
	v_and_b32_e32 v49, 0xfffff, v94
	v_add_nc_u32_e32 v94, v49, v105
                                        ; implicit-def: $vgpr49
	s_delay_alu instid0(VALU_DEP_3)
	v_cmpx_ne_u32_e64 v95, v104
	s_xor_b32 s13, exec_lo, s13
; %bb.5391:                             ;   in Loop: Header=BB6_5300 Depth=3
	s_delay_alu instid0(VALU_DEP_2) | instskip(SKIP_2) | instid1(VALU_DEP_2)
	v_cmp_lt_u32_e32 vcc_lo, 0xffffff, v94
	v_sub_nc_u32_e32 v49, v95, v104
	v_cndmask_b32_e64 v95, 0, 1, vcc_lo
	v_add_co_ci_u32_e32 v49, vcc_lo, 0, v49, vcc_lo
	s_delay_alu instid0(VALU_DEP_2)
	v_lshrrev_b32_e32 v94, v95, v94
; %bb.5392:                             ;   in Loop: Header=BB6_5300 Depth=3
	s_and_not1_saveexec_b32 s13, s13
; %bb.5393:                             ;   in Loop: Header=BB6_5300 Depth=3
	s_delay_alu instid0(VALU_DEP_1)
	v_bfe_u32 v49, v94, 23, 1
; %bb.5394:                             ;   in Loop: Header=BB6_5300 Depth=3
	s_or_b32 exec_lo, exec_lo, s13
	v_lshrrev_b32_e32 v94, 20, v94
	s_delay_alu instid0(VALU_DEP_2) | instskip(SKIP_2) | instid1(VALU_DEP_2)
	v_cmp_gt_i32_e32 vcc_lo, 16, v49
	v_lshrrev_b32_e32 v93, 24, v93
	v_min_i32_e32 v95, 15, v49
	v_dual_cndmask_b32 v94, 7, v94 :: v_dual_and_b32 v93, 0x80, v93
	s_delay_alu instid0(VALU_DEP_2) | instskip(NEXT) | instid1(VALU_DEP_2)
	v_lshlrev_b32_e32 v95, 3, v95
	v_or_b32_e32 v49, v49, v94
	s_delay_alu instid0(VALU_DEP_1) | instskip(SKIP_1) | instid1(VALU_DEP_1)
	v_cmp_ne_u32_e32 vcc_lo, 0, v49
	v_and_b32_e32 v104, 7, v94
	v_or3_b32 v93, v95, v93, v104
	s_delay_alu instid0(VALU_DEP_1)
	v_cndmask_b32_e32 v49, 0, v93, vcc_lo
.LBB6_5395:                             ;   in Loop: Header=BB6_5300 Depth=3
	s_or_b32 exec_lo, exec_lo, s30
.LBB6_5396:                             ;   in Loop: Header=BB6_5300 Depth=3
	s_delay_alu instid0(SALU_CYCLE_1) | instskip(SKIP_3) | instid1(VALU_DEP_1)
	s_or_b32 exec_lo, exec_lo, s17
	v_and_b32_e32 v94, 0xff, v92
	s_mov_b32 s13, 0
	s_mov_b32 s30, exec_lo
                                        ; implicit-def: $sgpr17
	v_cmpx_lt_i16_e32 0x7f, v94
	s_xor_b32 s30, exec_lo, s30
	s_cbranch_execnz .LBB6_5858
; %bb.5397:                             ;   in Loop: Header=BB6_5300 Depth=3
	s_or_saveexec_b32 s30, s30
	v_mov_b32_e32 v93, s17
	s_xor_b32 exec_lo, exec_lo, s30
	s_cbranch_execnz .LBB6_5861
.LBB6_5398:                             ;   in Loop: Header=BB6_5300 Depth=3
	s_or_b32 exec_lo, exec_lo, s30
	s_and_saveexec_b32 s17, s13
	s_cbranch_execz .LBB6_5400
.LBB6_5399:                             ;   in Loop: Header=BB6_5300 Depth=3
	v_lshrrev_b16 v104, 3, v92
	s_delay_alu instid0(VALU_DEP_1) | instskip(NEXT) | instid1(VALU_DEP_1)
	v_and_b32_e32 v104, 15, v104
	v_cmp_eq_u32_e32 vcc_lo, 0, v104
	v_and_b32_e32 v93, 7, v92
	s_delay_alu instid0(VALU_DEP_1) | instskip(NEXT) | instid1(VALU_DEP_1)
	v_clz_i32_u32_e32 v94, v93
	v_min_u32_e32 v94, 32, v94
	s_delay_alu instid0(VALU_DEP_1) | instskip(SKIP_1) | instid1(VALU_DEP_1)
	v_subrev_nc_u32_e32 v95, 28, v94
	v_sub_nc_u32_e32 v94, 29, v94
	v_dual_cndmask_b32 v94, v104, v94 :: v_dual_lshlrev_b32 v95, v95, v92
	v_lshlrev_b32_e32 v92, 24, v92
	s_delay_alu instid0(VALU_DEP_2) | instskip(NEXT) | instid1(VALU_DEP_3)
	v_and_b32_e32 v95, 7, v95
	v_lshl_add_u32 v94, v94, 23, 0x3b800000
	s_delay_alu instid0(VALU_DEP_2) | instskip(NEXT) | instid1(VALU_DEP_1)
	v_dual_cndmask_b32 v93, v93, v95 :: v_dual_and_b32 v92, 0x80000000, v92
	v_lshlrev_b32_e32 v93, 20, v93
	s_delay_alu instid0(VALU_DEP_1)
	v_or3_b32 v93, v92, v94, v93
.LBB6_5400:                             ;   in Loop: Header=BB6_5300 Depth=3
	s_or_b32 exec_lo, exec_lo, s17
	s_waitcnt vmcnt(25) lgkmcnt(25)
	v_and_b32_e32 v94, 0xff, v101
	s_mov_b32 s13, 0
	s_mov_b32 s30, exec_lo
                                        ; implicit-def: $sgpr17
	s_delay_alu instid0(VALU_DEP_1)
	v_cmpx_lt_i16_e32 0x7f, v94
	s_xor_b32 s30, exec_lo, s30
	s_cbranch_execnz .LBB6_5862
; %bb.5401:                             ;   in Loop: Header=BB6_5300 Depth=3
	s_or_saveexec_b32 s30, s30
	v_mov_b32_e32 v92, s17
	s_xor_b32 exec_lo, exec_lo, s30
	s_cbranch_execnz .LBB6_5865
.LBB6_5402:                             ;   in Loop: Header=BB6_5300 Depth=3
	s_or_b32 exec_lo, exec_lo, s30
	s_and_saveexec_b32 s17, s13
	s_cbranch_execz .LBB6_5404
.LBB6_5403:                             ;   in Loop: Header=BB6_5300 Depth=3
	v_and_b32_e32 v92, 7, v101
	v_lshrrev_b16 v104, 3, v101
	s_delay_alu instid0(VALU_DEP_2) | instskip(NEXT) | instid1(VALU_DEP_2)
	v_clz_i32_u32_e32 v94, v92
	v_and_b32_e32 v104, 15, v104
	s_delay_alu instid0(VALU_DEP_2) | instskip(NEXT) | instid1(VALU_DEP_2)
	v_min_u32_e32 v94, 32, v94
	v_cmp_eq_u32_e32 vcc_lo, 0, v104
	s_delay_alu instid0(VALU_DEP_2) | instskip(SKIP_1) | instid1(VALU_DEP_1)
	v_subrev_nc_u32_e32 v95, 28, v94
	v_sub_nc_u32_e32 v94, 29, v94
	v_dual_cndmask_b32 v94, v104, v94 :: v_dual_lshlrev_b32 v95, v95, v101
	s_delay_alu instid0(VALU_DEP_1) | instskip(SKIP_1) | instid1(VALU_DEP_3)
	v_and_b32_e32 v95, 7, v95
	v_lshlrev_b32_e32 v101, 24, v101
	v_lshl_add_u32 v94, v94, 23, 0x3b800000
	s_delay_alu instid0(VALU_DEP_2) | instskip(NEXT) | instid1(VALU_DEP_1)
	v_dual_cndmask_b32 v92, v92, v95 :: v_dual_and_b32 v101, 0x80000000, v101
	v_lshlrev_b32_e32 v92, 20, v92
	s_delay_alu instid0(VALU_DEP_1)
	v_or3_b32 v92, v101, v94, v92
.LBB6_5404:                             ;   in Loop: Header=BB6_5300 Depth=3
	s_or_b32 exec_lo, exec_lo, s17
	s_delay_alu instid0(VALU_DEP_1) | instskip(NEXT) | instid1(VALU_DEP_1)
	v_add_f32_e32 v92, v93, v92
	v_and_b32_e32 v101, 0x7f800000, v92
	s_delay_alu instid0(VALU_DEP_1)
	v_cmp_ne_u32_e32 vcc_lo, 0x7f800000, v101
	v_mov_b32_e32 v101, 0x80
	s_and_saveexec_b32 s17, vcc_lo
	s_cbranch_execz .LBB6_5412
; %bb.5405:                             ;   in Loop: Header=BB6_5300 Depth=3
	v_mov_b32_e32 v101, 0
	s_mov_b32 s30, exec_lo
	v_cmpx_ne_u32_e32 0, v92
	s_cbranch_execz .LBB6_5411
; %bb.5406:                             ;   in Loop: Header=BB6_5300 Depth=3
	v_bfe_u32 v101, v92, 23, 8
	s_delay_alu instid0(VALU_DEP_1) | instskip(SKIP_1) | instid1(VALU_DEP_2)
	v_sub_nc_u32_e32 v94, 0x78, v101
	v_cmp_gt_u32_e32 vcc_lo, 0x79, v101
	v_dual_cndmask_b32 v94, 0, v94 :: v_dual_and_b32 v93, 0x7fffff, v92
	s_delay_alu instid0(VALU_DEP_1) | instskip(SKIP_2) | instid1(VALU_DEP_4)
	v_or_b32_e32 v95, 0x800000, v93
	v_cmp_eq_u32_e32 vcc_lo, 0, v101
	v_add_nc_u32_e32 v101, 0xffffff89, v101
	v_cndmask_b32_e64 v94, v94, 0x77, vcc_lo
	s_delay_alu instid0(VALU_DEP_4) | instskip(NEXT) | instid1(VALU_DEP_3)
	v_cndmask_b32_e32 v93, v95, v93, vcc_lo
	v_cndmask_b32_e64 v101, v101, 0xffffff8a, vcc_lo
	s_delay_alu instid0(VALU_DEP_3) | instskip(NEXT) | instid1(VALU_DEP_3)
	v_lshl_add_u32 v95, 0x100000, v94, -1
	v_lshrrev_b32_e32 v104, v94, v93
	v_lshlrev_b32_e64 v106, v94, 0x80000
	s_delay_alu instid0(VALU_DEP_4) | instskip(NEXT) | instid1(VALU_DEP_4)
	v_add_nc_u32_e32 v94, v94, v101
	v_and_b32_e32 v93, v95, v93
	s_delay_alu instid0(VALU_DEP_4) | instskip(NEXT) | instid1(VALU_DEP_2)
	v_bfe_u32 v105, v104, 20, 1
	v_cmp_eq_u32_e64 s13, v93, v106
	s_delay_alu instid0(VALU_DEP_2) | instskip(NEXT) | instid1(VALU_DEP_1)
	v_add_nc_u32_e32 v95, -1, v105
	v_cndmask_b32_e64 v93, 0, v95, s13
	v_lshrrev_b32_e32 v95, 23, v104
	s_mov_b32 s13, exec_lo
	s_delay_alu instid0(VALU_DEP_2) | instskip(NEXT) | instid1(VALU_DEP_2)
	v_add_nc_u32_e32 v93, v93, v104
	v_xor_b32_e32 v95, 1, v95
	s_delay_alu instid0(VALU_DEP_2) | instskip(NEXT) | instid1(VALU_DEP_1)
	v_and_b32_e32 v101, 0xfffff, v93
	v_add_nc_u32_e32 v93, v101, v104
                                        ; implicit-def: $vgpr101
	s_delay_alu instid0(VALU_DEP_3)
	v_cmpx_ne_u32_e64 v94, v95
	s_xor_b32 s13, exec_lo, s13
; %bb.5407:                             ;   in Loop: Header=BB6_5300 Depth=3
	s_delay_alu instid0(VALU_DEP_2) | instskip(SKIP_2) | instid1(VALU_DEP_2)
	v_cmp_lt_u32_e32 vcc_lo, 0xffffff, v93
	v_sub_nc_u32_e32 v101, v94, v95
	v_cndmask_b32_e64 v94, 0, 1, vcc_lo
	v_add_co_ci_u32_e32 v101, vcc_lo, 0, v101, vcc_lo
	s_delay_alu instid0(VALU_DEP_2)
	v_lshrrev_b32_e32 v93, v94, v93
; %bb.5408:                             ;   in Loop: Header=BB6_5300 Depth=3
	s_and_not1_saveexec_b32 s13, s13
; %bb.5409:                             ;   in Loop: Header=BB6_5300 Depth=3
	s_delay_alu instid0(VALU_DEP_1)
	v_bfe_u32 v101, v93, 23, 1
; %bb.5410:                             ;   in Loop: Header=BB6_5300 Depth=3
	s_or_b32 exec_lo, exec_lo, s13
	v_lshrrev_b32_e32 v93, 20, v93
	s_delay_alu instid0(VALU_DEP_2) | instskip(SKIP_2) | instid1(VALU_DEP_2)
	v_cmp_gt_i32_e32 vcc_lo, 16, v101
	v_lshrrev_b32_e32 v92, 24, v92
	v_min_i32_e32 v94, 15, v101
	v_dual_cndmask_b32 v93, 7, v93 :: v_dual_and_b32 v92, 0x80, v92
	s_delay_alu instid0(VALU_DEP_1) | instskip(SKIP_1) | instid1(VALU_DEP_2)
	v_or_b32_e32 v101, v101, v93
	v_and_b32_e32 v95, 7, v93
	v_cmp_ne_u32_e32 vcc_lo, 0, v101
	v_lshlrev_b32_e32 v94, 3, v94
	s_delay_alu instid0(VALU_DEP_1) | instskip(NEXT) | instid1(VALU_DEP_1)
	v_or3_b32 v92, v94, v92, v95
	v_cndmask_b32_e32 v101, 0, v92, vcc_lo
.LBB6_5411:                             ;   in Loop: Header=BB6_5300 Depth=3
	s_or_b32 exec_lo, exec_lo, s30
.LBB6_5412:                             ;   in Loop: Header=BB6_5300 Depth=3
	s_delay_alu instid0(SALU_CYCLE_1) | instskip(SKIP_3) | instid1(VALU_DEP_1)
	s_or_b32 exec_lo, exec_lo, s17
	v_and_b32_e32 v93, 0xff, v91
	s_mov_b32 s13, 0
	s_mov_b32 s30, exec_lo
                                        ; implicit-def: $sgpr17
	v_cmpx_lt_i16_e32 0x7f, v93
	s_xor_b32 s30, exec_lo, s30
	s_cbranch_execnz .LBB6_5866
; %bb.5413:                             ;   in Loop: Header=BB6_5300 Depth=3
	s_or_saveexec_b32 s30, s30
	v_mov_b32_e32 v92, s17
	s_xor_b32 exec_lo, exec_lo, s30
	s_cbranch_execnz .LBB6_5869
.LBB6_5414:                             ;   in Loop: Header=BB6_5300 Depth=3
	s_or_b32 exec_lo, exec_lo, s30
	s_and_saveexec_b32 s17, s13
	s_cbranch_execz .LBB6_5416
.LBB6_5415:                             ;   in Loop: Header=BB6_5300 Depth=3
	v_lshrrev_b16 v95, 3, v91
	s_delay_alu instid0(VALU_DEP_1) | instskip(NEXT) | instid1(VALU_DEP_1)
	v_and_b32_e32 v95, 15, v95
	v_cmp_eq_u32_e32 vcc_lo, 0, v95
	v_and_b32_e32 v92, 7, v91
	s_delay_alu instid0(VALU_DEP_1) | instskip(NEXT) | instid1(VALU_DEP_1)
	v_clz_i32_u32_e32 v93, v92
	v_min_u32_e32 v93, 32, v93
	s_delay_alu instid0(VALU_DEP_1) | instskip(SKIP_1) | instid1(VALU_DEP_1)
	v_subrev_nc_u32_e32 v94, 28, v93
	v_sub_nc_u32_e32 v93, 29, v93
	v_dual_cndmask_b32 v93, v95, v93 :: v_dual_lshlrev_b32 v94, v94, v91
	v_lshlrev_b32_e32 v91, 24, v91
	s_delay_alu instid0(VALU_DEP_2) | instskip(NEXT) | instid1(VALU_DEP_3)
	v_and_b32_e32 v94, 7, v94
	v_lshl_add_u32 v93, v93, 23, 0x3b800000
	s_delay_alu instid0(VALU_DEP_2) | instskip(NEXT) | instid1(VALU_DEP_1)
	v_dual_cndmask_b32 v92, v92, v94 :: v_dual_and_b32 v91, 0x80000000, v91
	v_lshlrev_b32_e32 v92, 20, v92
	s_delay_alu instid0(VALU_DEP_1)
	v_or3_b32 v92, v91, v93, v92
.LBB6_5416:                             ;   in Loop: Header=BB6_5300 Depth=3
	s_or_b32 exec_lo, exec_lo, s17
	s_waitcnt vmcnt(24) lgkmcnt(24)
	v_and_b32_e32 v93, 0xff, v113
	s_mov_b32 s13, 0
	s_mov_b32 s30, exec_lo
                                        ; implicit-def: $sgpr17
	s_delay_alu instid0(VALU_DEP_1)
	v_cmpx_lt_i16_e32 0x7f, v93
	s_xor_b32 s30, exec_lo, s30
	s_cbranch_execnz .LBB6_5870
; %bb.5417:                             ;   in Loop: Header=BB6_5300 Depth=3
	s_or_saveexec_b32 s30, s30
	v_mov_b32_e32 v91, s17
	s_xor_b32 exec_lo, exec_lo, s30
	s_cbranch_execnz .LBB6_5873
.LBB6_5418:                             ;   in Loop: Header=BB6_5300 Depth=3
	s_or_b32 exec_lo, exec_lo, s30
	s_and_saveexec_b32 s17, s13
	s_cbranch_execz .LBB6_5420
.LBB6_5419:                             ;   in Loop: Header=BB6_5300 Depth=3
	v_and_b32_e32 v91, 7, v113
	v_lshrrev_b16 v95, 3, v113
	s_delay_alu instid0(VALU_DEP_2) | instskip(NEXT) | instid1(VALU_DEP_2)
	v_clz_i32_u32_e32 v93, v91
	v_and_b32_e32 v95, 15, v95
	s_delay_alu instid0(VALU_DEP_2) | instskip(NEXT) | instid1(VALU_DEP_2)
	v_min_u32_e32 v93, 32, v93
	v_cmp_eq_u32_e32 vcc_lo, 0, v95
	s_delay_alu instid0(VALU_DEP_2) | instskip(SKIP_1) | instid1(VALU_DEP_2)
	v_subrev_nc_u32_e32 v94, 28, v93
	v_sub_nc_u32_e32 v93, 29, v93
	v_lshlrev_b32_e32 v94, v94, v113
	v_lshlrev_b32_e32 v113, 24, v113
	s_delay_alu instid0(VALU_DEP_2) | instskip(NEXT) | instid1(VALU_DEP_2)
	v_dual_cndmask_b32 v93, v95, v93 :: v_dual_and_b32 v94, 7, v94
	v_and_b32_e32 v113, 0x80000000, v113
	s_delay_alu instid0(VALU_DEP_2) | instskip(NEXT) | instid1(VALU_DEP_3)
	v_lshl_add_u32 v93, v93, 23, 0x3b800000
	v_cndmask_b32_e32 v91, v91, v94, vcc_lo
	s_delay_alu instid0(VALU_DEP_1) | instskip(NEXT) | instid1(VALU_DEP_1)
	v_lshlrev_b32_e32 v91, 20, v91
	v_or3_b32 v91, v113, v93, v91
.LBB6_5420:                             ;   in Loop: Header=BB6_5300 Depth=3
	s_or_b32 exec_lo, exec_lo, s17
	s_delay_alu instid0(VALU_DEP_1) | instskip(NEXT) | instid1(VALU_DEP_1)
	v_add_f32_e32 v91, v92, v91
	v_and_b32_e32 v113, 0x7f800000, v91
	s_delay_alu instid0(VALU_DEP_1)
	v_cmp_ne_u32_e32 vcc_lo, 0x7f800000, v113
	v_mov_b32_e32 v113, 0x80
	s_and_saveexec_b32 s17, vcc_lo
	s_cbranch_execz .LBB6_5428
; %bb.5421:                             ;   in Loop: Header=BB6_5300 Depth=3
	v_mov_b32_e32 v113, 0
	s_mov_b32 s30, exec_lo
	v_cmpx_ne_u32_e32 0, v91
	s_cbranch_execz .LBB6_5427
; %bb.5422:                             ;   in Loop: Header=BB6_5300 Depth=3
	v_bfe_u32 v113, v91, 23, 8
	s_delay_alu instid0(VALU_DEP_1) | instskip(SKIP_1) | instid1(VALU_DEP_2)
	v_sub_nc_u32_e32 v93, 0x78, v113
	v_cmp_gt_u32_e32 vcc_lo, 0x79, v113
	v_dual_cndmask_b32 v93, 0, v93 :: v_dual_and_b32 v92, 0x7fffff, v91
	s_delay_alu instid0(VALU_DEP_1) | instskip(SKIP_2) | instid1(VALU_DEP_4)
	v_or_b32_e32 v94, 0x800000, v92
	v_cmp_eq_u32_e32 vcc_lo, 0, v113
	v_add_nc_u32_e32 v113, 0xffffff89, v113
	v_cndmask_b32_e64 v93, v93, 0x77, vcc_lo
	s_delay_alu instid0(VALU_DEP_4) | instskip(NEXT) | instid1(VALU_DEP_3)
	v_cndmask_b32_e32 v92, v94, v92, vcc_lo
	v_cndmask_b32_e64 v113, v113, 0xffffff8a, vcc_lo
	s_delay_alu instid0(VALU_DEP_3) | instskip(NEXT) | instid1(VALU_DEP_3)
	v_lshl_add_u32 v94, 0x100000, v93, -1
	v_lshrrev_b32_e32 v95, v93, v92
	v_lshlrev_b32_e64 v105, v93, 0x80000
	s_delay_alu instid0(VALU_DEP_4) | instskip(NEXT) | instid1(VALU_DEP_4)
	v_add_nc_u32_e32 v93, v93, v113
	v_and_b32_e32 v92, v94, v92
	s_delay_alu instid0(VALU_DEP_4) | instskip(NEXT) | instid1(VALU_DEP_2)
	v_bfe_u32 v104, v95, 20, 1
	v_cmp_eq_u32_e64 s13, v92, v105
	s_delay_alu instid0(VALU_DEP_2) | instskip(NEXT) | instid1(VALU_DEP_1)
	v_add_nc_u32_e32 v94, -1, v104
	v_cndmask_b32_e64 v92, 0, v94, s13
	v_lshrrev_b32_e32 v94, 23, v95
	s_mov_b32 s13, exec_lo
	s_delay_alu instid0(VALU_DEP_2) | instskip(NEXT) | instid1(VALU_DEP_2)
	v_add_nc_u32_e32 v92, v92, v95
	v_xor_b32_e32 v94, 1, v94
	s_delay_alu instid0(VALU_DEP_2) | instskip(NEXT) | instid1(VALU_DEP_1)
	v_and_b32_e32 v113, 0xfffff, v92
	v_add_nc_u32_e32 v92, v113, v95
                                        ; implicit-def: $vgpr113
	s_delay_alu instid0(VALU_DEP_3)
	v_cmpx_ne_u32_e64 v93, v94
	s_xor_b32 s13, exec_lo, s13
; %bb.5423:                             ;   in Loop: Header=BB6_5300 Depth=3
	s_delay_alu instid0(VALU_DEP_2) | instskip(SKIP_2) | instid1(VALU_DEP_2)
	v_cmp_lt_u32_e32 vcc_lo, 0xffffff, v92
	v_sub_nc_u32_e32 v113, v93, v94
	v_cndmask_b32_e64 v93, 0, 1, vcc_lo
	v_add_co_ci_u32_e32 v113, vcc_lo, 0, v113, vcc_lo
	s_delay_alu instid0(VALU_DEP_2)
	v_lshrrev_b32_e32 v92, v93, v92
; %bb.5424:                             ;   in Loop: Header=BB6_5300 Depth=3
	s_and_not1_saveexec_b32 s13, s13
; %bb.5425:                             ;   in Loop: Header=BB6_5300 Depth=3
	s_delay_alu instid0(VALU_DEP_1)
	v_bfe_u32 v113, v92, 23, 1
; %bb.5426:                             ;   in Loop: Header=BB6_5300 Depth=3
	s_or_b32 exec_lo, exec_lo, s13
	v_lshrrev_b32_e32 v92, 20, v92
	s_delay_alu instid0(VALU_DEP_2) | instskip(SKIP_2) | instid1(VALU_DEP_2)
	v_cmp_gt_i32_e32 vcc_lo, 16, v113
	v_lshrrev_b32_e32 v91, 24, v91
	v_min_i32_e32 v93, 15, v113
	v_dual_cndmask_b32 v92, 7, v92 :: v_dual_and_b32 v91, 0x80, v91
	s_delay_alu instid0(VALU_DEP_2) | instskip(NEXT) | instid1(VALU_DEP_2)
	v_lshlrev_b32_e32 v93, 3, v93
	v_or_b32_e32 v113, v113, v92
	s_delay_alu instid0(VALU_DEP_1) | instskip(SKIP_1) | instid1(VALU_DEP_1)
	v_cmp_ne_u32_e32 vcc_lo, 0, v113
	v_and_b32_e32 v94, 7, v92
	v_or3_b32 v91, v93, v91, v94
	s_delay_alu instid0(VALU_DEP_1)
	v_cndmask_b32_e32 v113, 0, v91, vcc_lo
.LBB6_5427:                             ;   in Loop: Header=BB6_5300 Depth=3
	s_or_b32 exec_lo, exec_lo, s30
.LBB6_5428:                             ;   in Loop: Header=BB6_5300 Depth=3
	s_delay_alu instid0(SALU_CYCLE_1) | instskip(SKIP_3) | instid1(VALU_DEP_1)
	s_or_b32 exec_lo, exec_lo, s17
	v_and_b32_e32 v92, 0xff, v90
	s_mov_b32 s13, 0
	s_mov_b32 s30, exec_lo
                                        ; implicit-def: $sgpr17
	v_cmpx_lt_i16_e32 0x7f, v92
	s_xor_b32 s30, exec_lo, s30
	s_cbranch_execnz .LBB6_5874
; %bb.5429:                             ;   in Loop: Header=BB6_5300 Depth=3
	s_or_saveexec_b32 s30, s30
	v_mov_b32_e32 v91, s17
	s_xor_b32 exec_lo, exec_lo, s30
	s_cbranch_execnz .LBB6_5877
.LBB6_5430:                             ;   in Loop: Header=BB6_5300 Depth=3
	s_or_b32 exec_lo, exec_lo, s30
	s_and_saveexec_b32 s17, s13
	s_cbranch_execz .LBB6_5432
.LBB6_5431:                             ;   in Loop: Header=BB6_5300 Depth=3
	v_lshrrev_b16 v94, 3, v90
	s_delay_alu instid0(VALU_DEP_1) | instskip(NEXT) | instid1(VALU_DEP_1)
	v_and_b32_e32 v94, 15, v94
	v_cmp_eq_u32_e32 vcc_lo, 0, v94
	v_and_b32_e32 v91, 7, v90
	s_delay_alu instid0(VALU_DEP_1) | instskip(NEXT) | instid1(VALU_DEP_1)
	v_clz_i32_u32_e32 v92, v91
	v_min_u32_e32 v92, 32, v92
	s_delay_alu instid0(VALU_DEP_1) | instskip(SKIP_1) | instid1(VALU_DEP_1)
	v_subrev_nc_u32_e32 v93, 28, v92
	v_sub_nc_u32_e32 v92, 29, v92
	v_dual_cndmask_b32 v92, v94, v92 :: v_dual_lshlrev_b32 v93, v93, v90
	v_lshlrev_b32_e32 v90, 24, v90
	s_delay_alu instid0(VALU_DEP_2) | instskip(NEXT) | instid1(VALU_DEP_3)
	v_and_b32_e32 v93, 7, v93
	v_lshl_add_u32 v92, v92, 23, 0x3b800000
	s_delay_alu instid0(VALU_DEP_2) | instskip(NEXT) | instid1(VALU_DEP_1)
	v_dual_cndmask_b32 v91, v91, v93 :: v_dual_and_b32 v90, 0x80000000, v90
	v_lshlrev_b32_e32 v91, 20, v91
	s_delay_alu instid0(VALU_DEP_1)
	v_or3_b32 v91, v90, v92, v91
.LBB6_5432:                             ;   in Loop: Header=BB6_5300 Depth=3
	s_or_b32 exec_lo, exec_lo, s17
	s_waitcnt vmcnt(23) lgkmcnt(23)
	v_and_b32_e32 v92, 0xff, v116
	s_mov_b32 s13, 0
	s_mov_b32 s30, exec_lo
                                        ; implicit-def: $sgpr17
	s_delay_alu instid0(VALU_DEP_1)
	v_cmpx_lt_i16_e32 0x7f, v92
	s_xor_b32 s30, exec_lo, s30
	s_cbranch_execnz .LBB6_5878
; %bb.5433:                             ;   in Loop: Header=BB6_5300 Depth=3
	s_or_saveexec_b32 s30, s30
	v_mov_b32_e32 v90, s17
	s_xor_b32 exec_lo, exec_lo, s30
	s_cbranch_execnz .LBB6_5881
.LBB6_5434:                             ;   in Loop: Header=BB6_5300 Depth=3
	s_or_b32 exec_lo, exec_lo, s30
	s_and_saveexec_b32 s17, s13
	s_cbranch_execz .LBB6_5436
.LBB6_5435:                             ;   in Loop: Header=BB6_5300 Depth=3
	v_and_b32_e32 v90, 7, v116
	v_lshrrev_b16 v94, 3, v116
	s_delay_alu instid0(VALU_DEP_2) | instskip(NEXT) | instid1(VALU_DEP_2)
	v_clz_i32_u32_e32 v92, v90
	v_and_b32_e32 v94, 15, v94
	s_delay_alu instid0(VALU_DEP_2) | instskip(NEXT) | instid1(VALU_DEP_2)
	v_min_u32_e32 v92, 32, v92
	v_cmp_eq_u32_e32 vcc_lo, 0, v94
	s_delay_alu instid0(VALU_DEP_2) | instskip(SKIP_1) | instid1(VALU_DEP_2)
	v_subrev_nc_u32_e32 v93, 28, v92
	v_sub_nc_u32_e32 v92, 29, v92
	v_lshlrev_b32_e32 v93, v93, v116
	v_lshlrev_b32_e32 v116, 24, v116
	s_delay_alu instid0(VALU_DEP_2) | instskip(NEXT) | instid1(VALU_DEP_2)
	v_dual_cndmask_b32 v92, v94, v92 :: v_dual_and_b32 v93, 7, v93
	v_and_b32_e32 v116, 0x80000000, v116
	s_delay_alu instid0(VALU_DEP_2) | instskip(NEXT) | instid1(VALU_DEP_3)
	v_lshl_add_u32 v92, v92, 23, 0x3b800000
	v_cndmask_b32_e32 v90, v90, v93, vcc_lo
	s_delay_alu instid0(VALU_DEP_1) | instskip(NEXT) | instid1(VALU_DEP_1)
	v_lshlrev_b32_e32 v90, 20, v90
	v_or3_b32 v90, v116, v92, v90
.LBB6_5436:                             ;   in Loop: Header=BB6_5300 Depth=3
	s_or_b32 exec_lo, exec_lo, s17
	s_delay_alu instid0(VALU_DEP_1) | instskip(NEXT) | instid1(VALU_DEP_1)
	v_add_f32_e32 v90, v91, v90
	v_and_b32_e32 v116, 0x7f800000, v90
	s_delay_alu instid0(VALU_DEP_1)
	v_cmp_ne_u32_e32 vcc_lo, 0x7f800000, v116
	v_mov_b32_e32 v116, 0x80
	s_and_saveexec_b32 s17, vcc_lo
	s_cbranch_execz .LBB6_5444
; %bb.5437:                             ;   in Loop: Header=BB6_5300 Depth=3
	v_mov_b32_e32 v116, 0
	s_mov_b32 s30, exec_lo
	v_cmpx_ne_u32_e32 0, v90
	s_cbranch_execz .LBB6_5443
; %bb.5438:                             ;   in Loop: Header=BB6_5300 Depth=3
	v_bfe_u32 v116, v90, 23, 8
	s_delay_alu instid0(VALU_DEP_1) | instskip(SKIP_1) | instid1(VALU_DEP_2)
	v_sub_nc_u32_e32 v92, 0x78, v116
	v_cmp_gt_u32_e32 vcc_lo, 0x79, v116
	v_dual_cndmask_b32 v92, 0, v92 :: v_dual_and_b32 v91, 0x7fffff, v90
	s_delay_alu instid0(VALU_DEP_1) | instskip(SKIP_2) | instid1(VALU_DEP_4)
	v_or_b32_e32 v93, 0x800000, v91
	v_cmp_eq_u32_e32 vcc_lo, 0, v116
	v_add_nc_u32_e32 v116, 0xffffff89, v116
	v_cndmask_b32_e64 v92, v92, 0x77, vcc_lo
	s_delay_alu instid0(VALU_DEP_4) | instskip(NEXT) | instid1(VALU_DEP_3)
	v_cndmask_b32_e32 v91, v93, v91, vcc_lo
	v_cndmask_b32_e64 v116, v116, 0xffffff8a, vcc_lo
	s_delay_alu instid0(VALU_DEP_3) | instskip(NEXT) | instid1(VALU_DEP_3)
	v_lshl_add_u32 v93, 0x100000, v92, -1
	v_lshrrev_b32_e32 v94, v92, v91
	v_lshlrev_b32_e64 v104, v92, 0x80000
	s_delay_alu instid0(VALU_DEP_4) | instskip(NEXT) | instid1(VALU_DEP_4)
	v_add_nc_u32_e32 v92, v92, v116
	v_and_b32_e32 v91, v93, v91
	s_delay_alu instid0(VALU_DEP_4) | instskip(NEXT) | instid1(VALU_DEP_2)
	v_bfe_u32 v95, v94, 20, 1
	v_cmp_eq_u32_e64 s13, v91, v104
	s_delay_alu instid0(VALU_DEP_2) | instskip(NEXT) | instid1(VALU_DEP_1)
	v_add_nc_u32_e32 v93, -1, v95
	v_cndmask_b32_e64 v91, 0, v93, s13
	v_lshrrev_b32_e32 v93, 23, v94
	s_mov_b32 s13, exec_lo
	s_delay_alu instid0(VALU_DEP_2) | instskip(NEXT) | instid1(VALU_DEP_2)
	v_add_nc_u32_e32 v91, v91, v94
	v_xor_b32_e32 v93, 1, v93
	s_delay_alu instid0(VALU_DEP_2) | instskip(NEXT) | instid1(VALU_DEP_1)
	v_and_b32_e32 v116, 0xfffff, v91
	v_add_nc_u32_e32 v91, v116, v94
                                        ; implicit-def: $vgpr116
	s_delay_alu instid0(VALU_DEP_3)
	v_cmpx_ne_u32_e64 v92, v93
	s_xor_b32 s13, exec_lo, s13
; %bb.5439:                             ;   in Loop: Header=BB6_5300 Depth=3
	s_delay_alu instid0(VALU_DEP_2) | instskip(SKIP_2) | instid1(VALU_DEP_2)
	v_cmp_lt_u32_e32 vcc_lo, 0xffffff, v91
	v_sub_nc_u32_e32 v116, v92, v93
	v_cndmask_b32_e64 v92, 0, 1, vcc_lo
	v_add_co_ci_u32_e32 v116, vcc_lo, 0, v116, vcc_lo
	s_delay_alu instid0(VALU_DEP_2)
	v_lshrrev_b32_e32 v91, v92, v91
; %bb.5440:                             ;   in Loop: Header=BB6_5300 Depth=3
	s_and_not1_saveexec_b32 s13, s13
; %bb.5441:                             ;   in Loop: Header=BB6_5300 Depth=3
	s_delay_alu instid0(VALU_DEP_1)
	v_bfe_u32 v116, v91, 23, 1
; %bb.5442:                             ;   in Loop: Header=BB6_5300 Depth=3
	s_or_b32 exec_lo, exec_lo, s13
	v_lshrrev_b32_e32 v91, 20, v91
	s_delay_alu instid0(VALU_DEP_2) | instskip(SKIP_2) | instid1(VALU_DEP_2)
	v_cmp_gt_i32_e32 vcc_lo, 16, v116
	v_lshrrev_b32_e32 v90, 24, v90
	v_min_i32_e32 v92, 15, v116
	v_dual_cndmask_b32 v91, 7, v91 :: v_dual_and_b32 v90, 0x80, v90
	s_delay_alu instid0(VALU_DEP_2) | instskip(NEXT) | instid1(VALU_DEP_2)
	v_lshlrev_b32_e32 v92, 3, v92
	v_or_b32_e32 v116, v116, v91
	s_delay_alu instid0(VALU_DEP_1) | instskip(SKIP_1) | instid1(VALU_DEP_1)
	v_cmp_ne_u32_e32 vcc_lo, 0, v116
	v_and_b32_e32 v93, 7, v91
	v_or3_b32 v90, v92, v90, v93
	s_delay_alu instid0(VALU_DEP_1)
	v_cndmask_b32_e32 v116, 0, v90, vcc_lo
.LBB6_5443:                             ;   in Loop: Header=BB6_5300 Depth=3
	s_or_b32 exec_lo, exec_lo, s30
.LBB6_5444:                             ;   in Loop: Header=BB6_5300 Depth=3
	s_delay_alu instid0(SALU_CYCLE_1) | instskip(SKIP_3) | instid1(VALU_DEP_1)
	s_or_b32 exec_lo, exec_lo, s17
	v_and_b32_e32 v91, 0xff, v89
	s_mov_b32 s13, 0
	s_mov_b32 s30, exec_lo
                                        ; implicit-def: $sgpr17
	v_cmpx_lt_i16_e32 0x7f, v91
	s_xor_b32 s30, exec_lo, s30
	s_cbranch_execnz .LBB6_5882
; %bb.5445:                             ;   in Loop: Header=BB6_5300 Depth=3
	s_or_saveexec_b32 s30, s30
	v_mov_b32_e32 v90, s17
	s_xor_b32 exec_lo, exec_lo, s30
	s_cbranch_execnz .LBB6_5885
.LBB6_5446:                             ;   in Loop: Header=BB6_5300 Depth=3
	s_or_b32 exec_lo, exec_lo, s30
	s_and_saveexec_b32 s17, s13
	s_cbranch_execz .LBB6_5448
.LBB6_5447:                             ;   in Loop: Header=BB6_5300 Depth=3
	v_lshrrev_b16 v93, 3, v89
	s_delay_alu instid0(VALU_DEP_1) | instskip(NEXT) | instid1(VALU_DEP_1)
	v_and_b32_e32 v93, 15, v93
	v_cmp_eq_u32_e32 vcc_lo, 0, v93
	v_and_b32_e32 v90, 7, v89
	s_delay_alu instid0(VALU_DEP_1) | instskip(NEXT) | instid1(VALU_DEP_1)
	v_clz_i32_u32_e32 v91, v90
	v_min_u32_e32 v91, 32, v91
	s_delay_alu instid0(VALU_DEP_1) | instskip(SKIP_1) | instid1(VALU_DEP_1)
	v_subrev_nc_u32_e32 v92, 28, v91
	v_sub_nc_u32_e32 v91, 29, v91
	v_dual_cndmask_b32 v91, v93, v91 :: v_dual_lshlrev_b32 v92, v92, v89
	v_lshlrev_b32_e32 v89, 24, v89
	s_delay_alu instid0(VALU_DEP_2) | instskip(NEXT) | instid1(VALU_DEP_3)
	v_and_b32_e32 v92, 7, v92
	v_lshl_add_u32 v91, v91, 23, 0x3b800000
	s_delay_alu instid0(VALU_DEP_2) | instskip(NEXT) | instid1(VALU_DEP_1)
	v_dual_cndmask_b32 v90, v90, v92 :: v_dual_and_b32 v89, 0x80000000, v89
	v_lshlrev_b32_e32 v90, 20, v90
	s_delay_alu instid0(VALU_DEP_1)
	v_or3_b32 v90, v89, v91, v90
.LBB6_5448:                             ;   in Loop: Header=BB6_5300 Depth=3
	s_or_b32 exec_lo, exec_lo, s17
	s_waitcnt vmcnt(22) lgkmcnt(22)
	v_and_b32_e32 v91, 0xff, v40
	s_mov_b32 s13, 0
	s_mov_b32 s30, exec_lo
                                        ; implicit-def: $sgpr17
	s_delay_alu instid0(VALU_DEP_1)
	v_cmpx_lt_i16_e32 0x7f, v91
	s_xor_b32 s30, exec_lo, s30
	s_cbranch_execnz .LBB6_5886
; %bb.5449:                             ;   in Loop: Header=BB6_5300 Depth=3
	s_or_saveexec_b32 s30, s30
	v_mov_b32_e32 v89, s17
	s_xor_b32 exec_lo, exec_lo, s30
	s_cbranch_execnz .LBB6_5889
.LBB6_5450:                             ;   in Loop: Header=BB6_5300 Depth=3
	s_or_b32 exec_lo, exec_lo, s30
	s_and_saveexec_b32 s17, s13
	s_cbranch_execz .LBB6_5452
.LBB6_5451:                             ;   in Loop: Header=BB6_5300 Depth=3
	v_and_b32_e32 v89, 7, v40
	v_lshrrev_b16 v93, 3, v40
	s_delay_alu instid0(VALU_DEP_2) | instskip(NEXT) | instid1(VALU_DEP_2)
	v_clz_i32_u32_e32 v91, v89
	v_and_b32_e32 v93, 15, v93
	s_delay_alu instid0(VALU_DEP_2) | instskip(NEXT) | instid1(VALU_DEP_2)
	v_min_u32_e32 v91, 32, v91
	v_cmp_eq_u32_e32 vcc_lo, 0, v93
	s_delay_alu instid0(VALU_DEP_2) | instskip(SKIP_1) | instid1(VALU_DEP_1)
	v_subrev_nc_u32_e32 v92, 28, v91
	v_sub_nc_u32_e32 v91, 29, v91
	v_dual_cndmask_b32 v91, v93, v91 :: v_dual_lshlrev_b32 v92, v92, v40
	v_lshlrev_b32_e32 v40, 24, v40
	s_delay_alu instid0(VALU_DEP_2) | instskip(NEXT) | instid1(VALU_DEP_3)
	v_and_b32_e32 v92, 7, v92
	v_lshl_add_u32 v91, v91, 23, 0x3b800000
	s_delay_alu instid0(VALU_DEP_3) | instskip(NEXT) | instid1(VALU_DEP_3)
	v_and_b32_e32 v40, 0x80000000, v40
	v_cndmask_b32_e32 v89, v89, v92, vcc_lo
	s_delay_alu instid0(VALU_DEP_1) | instskip(NEXT) | instid1(VALU_DEP_1)
	v_lshlrev_b32_e32 v89, 20, v89
	v_or3_b32 v89, v40, v91, v89
.LBB6_5452:                             ;   in Loop: Header=BB6_5300 Depth=3
	s_or_b32 exec_lo, exec_lo, s17
	s_delay_alu instid0(VALU_DEP_1) | instskip(NEXT) | instid1(VALU_DEP_1)
	v_add_f32_e32 v89, v90, v89
	v_and_b32_e32 v40, 0x7f800000, v89
	s_delay_alu instid0(VALU_DEP_1)
	v_cmp_ne_u32_e32 vcc_lo, 0x7f800000, v40
	v_mov_b32_e32 v40, 0x80
	s_and_saveexec_b32 s17, vcc_lo
	s_cbranch_execz .LBB6_5460
; %bb.5453:                             ;   in Loop: Header=BB6_5300 Depth=3
	v_mov_b32_e32 v40, 0
	s_mov_b32 s30, exec_lo
	v_cmpx_ne_u32_e32 0, v89
	s_cbranch_execz .LBB6_5459
; %bb.5454:                             ;   in Loop: Header=BB6_5300 Depth=3
	v_bfe_u32 v40, v89, 23, 8
	s_delay_alu instid0(VALU_DEP_1) | instskip(SKIP_1) | instid1(VALU_DEP_2)
	v_sub_nc_u32_e32 v91, 0x78, v40
	v_cmp_gt_u32_e32 vcc_lo, 0x79, v40
	v_dual_cndmask_b32 v91, 0, v91 :: v_dual_and_b32 v90, 0x7fffff, v89
	s_delay_alu instid0(VALU_DEP_1) | instskip(SKIP_2) | instid1(VALU_DEP_4)
	v_or_b32_e32 v92, 0x800000, v90
	v_cmp_eq_u32_e32 vcc_lo, 0, v40
	v_add_nc_u32_e32 v40, 0xffffff89, v40
	v_cndmask_b32_e64 v91, v91, 0x77, vcc_lo
	s_delay_alu instid0(VALU_DEP_2) | instskip(SKIP_1) | instid1(VALU_DEP_3)
	v_cndmask_b32_e64 v40, v40, 0xffffff8a, vcc_lo
	v_cndmask_b32_e32 v90, v92, v90, vcc_lo
	v_lshl_add_u32 v92, 0x100000, v91, -1
	v_lshlrev_b32_e64 v95, v91, 0x80000
	s_delay_alu instid0(VALU_DEP_3) | instskip(SKIP_1) | instid1(VALU_DEP_4)
	v_lshrrev_b32_e32 v93, v91, v90
	v_add_nc_u32_e32 v91, v91, v40
	v_and_b32_e32 v90, v92, v90
	s_delay_alu instid0(VALU_DEP_3) | instskip(NEXT) | instid1(VALU_DEP_2)
	v_bfe_u32 v94, v93, 20, 1
	v_cmp_eq_u32_e64 s13, v90, v95
	s_delay_alu instid0(VALU_DEP_2) | instskip(NEXT) | instid1(VALU_DEP_1)
	v_add_nc_u32_e32 v92, -1, v94
	v_cndmask_b32_e64 v90, 0, v92, s13
	v_lshrrev_b32_e32 v92, 23, v93
	s_mov_b32 s13, exec_lo
	s_delay_alu instid0(VALU_DEP_2) | instskip(NEXT) | instid1(VALU_DEP_2)
	v_add_nc_u32_e32 v90, v90, v93
	v_xor_b32_e32 v92, 1, v92
	s_delay_alu instid0(VALU_DEP_2) | instskip(NEXT) | instid1(VALU_DEP_1)
	v_and_b32_e32 v40, 0xfffff, v90
	v_add_nc_u32_e32 v90, v40, v93
                                        ; implicit-def: $vgpr40
	s_delay_alu instid0(VALU_DEP_3)
	v_cmpx_ne_u32_e64 v91, v92
	s_xor_b32 s13, exec_lo, s13
; %bb.5455:                             ;   in Loop: Header=BB6_5300 Depth=3
	s_delay_alu instid0(VALU_DEP_2) | instskip(SKIP_2) | instid1(VALU_DEP_2)
	v_cmp_lt_u32_e32 vcc_lo, 0xffffff, v90
	v_sub_nc_u32_e32 v40, v91, v92
	v_cndmask_b32_e64 v91, 0, 1, vcc_lo
	v_add_co_ci_u32_e32 v40, vcc_lo, 0, v40, vcc_lo
	s_delay_alu instid0(VALU_DEP_2)
	v_lshrrev_b32_e32 v90, v91, v90
; %bb.5456:                             ;   in Loop: Header=BB6_5300 Depth=3
	s_and_not1_saveexec_b32 s13, s13
; %bb.5457:                             ;   in Loop: Header=BB6_5300 Depth=3
	s_delay_alu instid0(VALU_DEP_1)
	v_bfe_u32 v40, v90, 23, 1
; %bb.5458:                             ;   in Loop: Header=BB6_5300 Depth=3
	s_or_b32 exec_lo, exec_lo, s13
	v_lshrrev_b32_e32 v90, 20, v90
	s_delay_alu instid0(VALU_DEP_2) | instskip(SKIP_2) | instid1(VALU_DEP_2)
	v_cmp_gt_i32_e32 vcc_lo, 16, v40
	v_lshrrev_b32_e32 v89, 24, v89
	v_min_i32_e32 v91, 15, v40
	v_dual_cndmask_b32 v90, 7, v90 :: v_dual_and_b32 v89, 0x80, v89
	s_delay_alu instid0(VALU_DEP_1) | instskip(SKIP_1) | instid1(VALU_DEP_2)
	v_or_b32_e32 v40, v40, v90
	v_and_b32_e32 v92, 7, v90
	v_cmp_ne_u32_e32 vcc_lo, 0, v40
	v_lshlrev_b32_e32 v91, 3, v91
	s_delay_alu instid0(VALU_DEP_1) | instskip(NEXT) | instid1(VALU_DEP_1)
	v_or3_b32 v89, v91, v89, v92
	v_cndmask_b32_e32 v40, 0, v89, vcc_lo
.LBB6_5459:                             ;   in Loop: Header=BB6_5300 Depth=3
	s_or_b32 exec_lo, exec_lo, s30
.LBB6_5460:                             ;   in Loop: Header=BB6_5300 Depth=3
	s_delay_alu instid0(SALU_CYCLE_1) | instskip(SKIP_3) | instid1(VALU_DEP_1)
	s_or_b32 exec_lo, exec_lo, s17
	v_and_b32_e32 v90, 0xff, v88
	s_mov_b32 s13, 0
	s_mov_b32 s30, exec_lo
                                        ; implicit-def: $sgpr17
	v_cmpx_lt_i16_e32 0x7f, v90
	s_xor_b32 s30, exec_lo, s30
	s_cbranch_execnz .LBB6_5890
; %bb.5461:                             ;   in Loop: Header=BB6_5300 Depth=3
	s_or_saveexec_b32 s30, s30
	v_mov_b32_e32 v89, s17
	s_xor_b32 exec_lo, exec_lo, s30
	s_cbranch_execnz .LBB6_5893
.LBB6_5462:                             ;   in Loop: Header=BB6_5300 Depth=3
	s_or_b32 exec_lo, exec_lo, s30
	s_and_saveexec_b32 s17, s13
	s_cbranch_execz .LBB6_5464
.LBB6_5463:                             ;   in Loop: Header=BB6_5300 Depth=3
	v_lshrrev_b16 v92, 3, v88
	s_delay_alu instid0(VALU_DEP_1) | instskip(NEXT) | instid1(VALU_DEP_1)
	v_and_b32_e32 v92, 15, v92
	v_cmp_eq_u32_e32 vcc_lo, 0, v92
	v_and_b32_e32 v89, 7, v88
	s_delay_alu instid0(VALU_DEP_1) | instskip(NEXT) | instid1(VALU_DEP_1)
	v_clz_i32_u32_e32 v90, v89
	v_min_u32_e32 v90, 32, v90
	s_delay_alu instid0(VALU_DEP_1) | instskip(SKIP_1) | instid1(VALU_DEP_1)
	v_subrev_nc_u32_e32 v91, 28, v90
	v_sub_nc_u32_e32 v90, 29, v90
	v_dual_cndmask_b32 v90, v92, v90 :: v_dual_lshlrev_b32 v91, v91, v88
	v_lshlrev_b32_e32 v88, 24, v88
	s_delay_alu instid0(VALU_DEP_2) | instskip(NEXT) | instid1(VALU_DEP_3)
	v_and_b32_e32 v91, 7, v91
	v_lshl_add_u32 v90, v90, 23, 0x3b800000
	s_delay_alu instid0(VALU_DEP_2) | instskip(NEXT) | instid1(VALU_DEP_1)
	v_dual_cndmask_b32 v89, v89, v91 :: v_dual_and_b32 v88, 0x80000000, v88
	v_lshlrev_b32_e32 v89, 20, v89
	s_delay_alu instid0(VALU_DEP_1)
	v_or3_b32 v89, v88, v90, v89
.LBB6_5464:                             ;   in Loop: Header=BB6_5300 Depth=3
	s_or_b32 exec_lo, exec_lo, s17
	s_waitcnt vmcnt(21) lgkmcnt(21)
	v_and_b32_e32 v90, 0xff, v43
	s_mov_b32 s13, 0
	s_mov_b32 s30, exec_lo
                                        ; implicit-def: $sgpr17
	s_delay_alu instid0(VALU_DEP_1)
	v_cmpx_lt_i16_e32 0x7f, v90
	s_xor_b32 s30, exec_lo, s30
	s_cbranch_execnz .LBB6_5894
; %bb.5465:                             ;   in Loop: Header=BB6_5300 Depth=3
	s_or_saveexec_b32 s30, s30
	v_mov_b32_e32 v88, s17
	s_xor_b32 exec_lo, exec_lo, s30
	s_cbranch_execnz .LBB6_5897
.LBB6_5466:                             ;   in Loop: Header=BB6_5300 Depth=3
	s_or_b32 exec_lo, exec_lo, s30
	s_and_saveexec_b32 s17, s13
	s_cbranch_execz .LBB6_5468
.LBB6_5467:                             ;   in Loop: Header=BB6_5300 Depth=3
	v_and_b32_e32 v88, 7, v43
	v_lshrrev_b16 v92, 3, v43
	s_delay_alu instid0(VALU_DEP_2) | instskip(NEXT) | instid1(VALU_DEP_2)
	v_clz_i32_u32_e32 v90, v88
	v_and_b32_e32 v92, 15, v92
	s_delay_alu instid0(VALU_DEP_2) | instskip(NEXT) | instid1(VALU_DEP_2)
	v_min_u32_e32 v90, 32, v90
	v_cmp_eq_u32_e32 vcc_lo, 0, v92
	s_delay_alu instid0(VALU_DEP_2) | instskip(SKIP_1) | instid1(VALU_DEP_1)
	v_subrev_nc_u32_e32 v91, 28, v90
	v_sub_nc_u32_e32 v90, 29, v90
	v_dual_cndmask_b32 v90, v92, v90 :: v_dual_lshlrev_b32 v91, v91, v43
	v_lshlrev_b32_e32 v43, 24, v43
	s_delay_alu instid0(VALU_DEP_2) | instskip(NEXT) | instid1(VALU_DEP_3)
	v_and_b32_e32 v91, 7, v91
	v_lshl_add_u32 v90, v90, 23, 0x3b800000
	s_delay_alu instid0(VALU_DEP_3) | instskip(NEXT) | instid1(VALU_DEP_3)
	v_and_b32_e32 v43, 0x80000000, v43
	v_cndmask_b32_e32 v88, v88, v91, vcc_lo
	s_delay_alu instid0(VALU_DEP_1) | instskip(NEXT) | instid1(VALU_DEP_1)
	v_lshlrev_b32_e32 v88, 20, v88
	v_or3_b32 v88, v43, v90, v88
.LBB6_5468:                             ;   in Loop: Header=BB6_5300 Depth=3
	s_or_b32 exec_lo, exec_lo, s17
	s_delay_alu instid0(VALU_DEP_1) | instskip(NEXT) | instid1(VALU_DEP_1)
	v_add_f32_e32 v88, v89, v88
	v_and_b32_e32 v43, 0x7f800000, v88
	s_delay_alu instid0(VALU_DEP_1)
	v_cmp_ne_u32_e32 vcc_lo, 0x7f800000, v43
	v_mov_b32_e32 v43, 0x80
	s_and_saveexec_b32 s17, vcc_lo
	s_cbranch_execz .LBB6_5476
; %bb.5469:                             ;   in Loop: Header=BB6_5300 Depth=3
	v_mov_b32_e32 v43, 0
	s_mov_b32 s30, exec_lo
	v_cmpx_ne_u32_e32 0, v88
	s_cbranch_execz .LBB6_5475
; %bb.5470:                             ;   in Loop: Header=BB6_5300 Depth=3
	v_bfe_u32 v43, v88, 23, 8
	s_delay_alu instid0(VALU_DEP_1) | instskip(SKIP_1) | instid1(VALU_DEP_2)
	v_sub_nc_u32_e32 v90, 0x78, v43
	v_cmp_gt_u32_e32 vcc_lo, 0x79, v43
	v_dual_cndmask_b32 v90, 0, v90 :: v_dual_and_b32 v89, 0x7fffff, v88
	s_delay_alu instid0(VALU_DEP_1) | instskip(SKIP_2) | instid1(VALU_DEP_4)
	v_or_b32_e32 v91, 0x800000, v89
	v_cmp_eq_u32_e32 vcc_lo, 0, v43
	v_add_nc_u32_e32 v43, 0xffffff89, v43
	v_cndmask_b32_e64 v90, v90, 0x77, vcc_lo
	s_delay_alu instid0(VALU_DEP_2) | instskip(SKIP_1) | instid1(VALU_DEP_3)
	v_cndmask_b32_e64 v43, v43, 0xffffff8a, vcc_lo
	v_cndmask_b32_e32 v89, v91, v89, vcc_lo
	v_lshl_add_u32 v91, 0x100000, v90, -1
	v_lshlrev_b32_e64 v94, v90, 0x80000
	s_delay_alu instid0(VALU_DEP_3) | instskip(SKIP_1) | instid1(VALU_DEP_4)
	v_lshrrev_b32_e32 v92, v90, v89
	v_add_nc_u32_e32 v90, v90, v43
	v_and_b32_e32 v89, v91, v89
	s_delay_alu instid0(VALU_DEP_3) | instskip(NEXT) | instid1(VALU_DEP_2)
	v_bfe_u32 v93, v92, 20, 1
	v_cmp_eq_u32_e64 s13, v89, v94
	s_delay_alu instid0(VALU_DEP_2) | instskip(NEXT) | instid1(VALU_DEP_1)
	v_add_nc_u32_e32 v91, -1, v93
	v_cndmask_b32_e64 v89, 0, v91, s13
	v_lshrrev_b32_e32 v91, 23, v92
	s_mov_b32 s13, exec_lo
	s_delay_alu instid0(VALU_DEP_2) | instskip(NEXT) | instid1(VALU_DEP_2)
	v_add_nc_u32_e32 v89, v89, v92
	v_xor_b32_e32 v91, 1, v91
	s_delay_alu instid0(VALU_DEP_2) | instskip(NEXT) | instid1(VALU_DEP_1)
	v_and_b32_e32 v43, 0xfffff, v89
	v_add_nc_u32_e32 v89, v43, v92
                                        ; implicit-def: $vgpr43
	s_delay_alu instid0(VALU_DEP_3)
	v_cmpx_ne_u32_e64 v90, v91
	s_xor_b32 s13, exec_lo, s13
; %bb.5471:                             ;   in Loop: Header=BB6_5300 Depth=3
	s_delay_alu instid0(VALU_DEP_2) | instskip(SKIP_2) | instid1(VALU_DEP_2)
	v_cmp_lt_u32_e32 vcc_lo, 0xffffff, v89
	v_sub_nc_u32_e32 v43, v90, v91
	v_cndmask_b32_e64 v90, 0, 1, vcc_lo
	v_add_co_ci_u32_e32 v43, vcc_lo, 0, v43, vcc_lo
	s_delay_alu instid0(VALU_DEP_2)
	v_lshrrev_b32_e32 v89, v90, v89
; %bb.5472:                             ;   in Loop: Header=BB6_5300 Depth=3
	s_and_not1_saveexec_b32 s13, s13
; %bb.5473:                             ;   in Loop: Header=BB6_5300 Depth=3
	s_delay_alu instid0(VALU_DEP_1)
	v_bfe_u32 v43, v89, 23, 1
; %bb.5474:                             ;   in Loop: Header=BB6_5300 Depth=3
	s_or_b32 exec_lo, exec_lo, s13
	v_lshrrev_b32_e32 v89, 20, v89
	s_delay_alu instid0(VALU_DEP_2) | instskip(SKIP_2) | instid1(VALU_DEP_2)
	v_cmp_gt_i32_e32 vcc_lo, 16, v43
	v_lshrrev_b32_e32 v88, 24, v88
	v_min_i32_e32 v90, 15, v43
	v_dual_cndmask_b32 v89, 7, v89 :: v_dual_and_b32 v88, 0x80, v88
	s_delay_alu instid0(VALU_DEP_1) | instskip(SKIP_1) | instid1(VALU_DEP_2)
	v_or_b32_e32 v43, v43, v89
	v_and_b32_e32 v91, 7, v89
	v_cmp_ne_u32_e32 vcc_lo, 0, v43
	v_lshlrev_b32_e32 v90, 3, v90
	s_delay_alu instid0(VALU_DEP_1) | instskip(NEXT) | instid1(VALU_DEP_1)
	v_or3_b32 v88, v90, v88, v91
	v_cndmask_b32_e32 v43, 0, v88, vcc_lo
.LBB6_5475:                             ;   in Loop: Header=BB6_5300 Depth=3
	s_or_b32 exec_lo, exec_lo, s30
.LBB6_5476:                             ;   in Loop: Header=BB6_5300 Depth=3
	s_delay_alu instid0(SALU_CYCLE_1) | instskip(SKIP_3) | instid1(VALU_DEP_1)
	s_or_b32 exec_lo, exec_lo, s17
	v_and_b32_e32 v89, 0xff, v79
	s_mov_b32 s13, 0
	s_mov_b32 s30, exec_lo
                                        ; implicit-def: $sgpr17
	v_cmpx_lt_i16_e32 0x7f, v89
	s_xor_b32 s30, exec_lo, s30
	s_cbranch_execnz .LBB6_5898
; %bb.5477:                             ;   in Loop: Header=BB6_5300 Depth=3
	s_or_saveexec_b32 s30, s30
	v_mov_b32_e32 v88, s17
	s_xor_b32 exec_lo, exec_lo, s30
	s_cbranch_execnz .LBB6_5901
.LBB6_5478:                             ;   in Loop: Header=BB6_5300 Depth=3
	s_or_b32 exec_lo, exec_lo, s30
	s_and_saveexec_b32 s17, s13
	s_cbranch_execz .LBB6_5480
.LBB6_5479:                             ;   in Loop: Header=BB6_5300 Depth=3
	v_lshrrev_b16 v91, 3, v79
	s_delay_alu instid0(VALU_DEP_1) | instskip(NEXT) | instid1(VALU_DEP_1)
	v_and_b32_e32 v91, 15, v91
	v_cmp_eq_u32_e32 vcc_lo, 0, v91
	v_and_b32_e32 v88, 7, v79
	s_delay_alu instid0(VALU_DEP_1) | instskip(NEXT) | instid1(VALU_DEP_1)
	v_clz_i32_u32_e32 v89, v88
	v_min_u32_e32 v89, 32, v89
	s_delay_alu instid0(VALU_DEP_1) | instskip(SKIP_1) | instid1(VALU_DEP_1)
	v_subrev_nc_u32_e32 v90, 28, v89
	v_sub_nc_u32_e32 v89, 29, v89
	v_dual_cndmask_b32 v89, v91, v89 :: v_dual_lshlrev_b32 v90, v90, v79
	v_lshlrev_b32_e32 v79, 24, v79
	s_delay_alu instid0(VALU_DEP_2) | instskip(NEXT) | instid1(VALU_DEP_3)
	v_and_b32_e32 v90, 7, v90
	v_lshl_add_u32 v89, v89, 23, 0x3b800000
	s_delay_alu instid0(VALU_DEP_2) | instskip(NEXT) | instid1(VALU_DEP_1)
	v_dual_cndmask_b32 v88, v88, v90 :: v_dual_and_b32 v79, 0x80000000, v79
	v_lshlrev_b32_e32 v88, 20, v88
	s_delay_alu instid0(VALU_DEP_1)
	v_or3_b32 v88, v79, v89, v88
.LBB6_5480:                             ;   in Loop: Header=BB6_5300 Depth=3
	s_or_b32 exec_lo, exec_lo, s17
	s_waitcnt vmcnt(20) lgkmcnt(20)
	v_and_b32_e32 v89, 0xff, v46
	s_mov_b32 s13, 0
	s_mov_b32 s30, exec_lo
                                        ; implicit-def: $sgpr17
	s_delay_alu instid0(VALU_DEP_1)
	v_cmpx_lt_i16_e32 0x7f, v89
	s_xor_b32 s30, exec_lo, s30
	s_cbranch_execnz .LBB6_5902
; %bb.5481:                             ;   in Loop: Header=BB6_5300 Depth=3
	s_or_saveexec_b32 s30, s30
	v_mov_b32_e32 v79, s17
	s_xor_b32 exec_lo, exec_lo, s30
	s_cbranch_execnz .LBB6_5905
.LBB6_5482:                             ;   in Loop: Header=BB6_5300 Depth=3
	s_or_b32 exec_lo, exec_lo, s30
	s_and_saveexec_b32 s17, s13
	s_cbranch_execz .LBB6_5484
.LBB6_5483:                             ;   in Loop: Header=BB6_5300 Depth=3
	v_and_b32_e32 v79, 7, v46
	v_lshrrev_b16 v91, 3, v46
	s_delay_alu instid0(VALU_DEP_2) | instskip(NEXT) | instid1(VALU_DEP_2)
	v_clz_i32_u32_e32 v89, v79
	v_and_b32_e32 v91, 15, v91
	s_delay_alu instid0(VALU_DEP_2) | instskip(NEXT) | instid1(VALU_DEP_2)
	v_min_u32_e32 v89, 32, v89
	v_cmp_eq_u32_e32 vcc_lo, 0, v91
	s_delay_alu instid0(VALU_DEP_2) | instskip(SKIP_1) | instid1(VALU_DEP_1)
	v_subrev_nc_u32_e32 v90, 28, v89
	v_sub_nc_u32_e32 v89, 29, v89
	v_dual_cndmask_b32 v89, v91, v89 :: v_dual_lshlrev_b32 v90, v90, v46
	v_lshlrev_b32_e32 v46, 24, v46
	s_delay_alu instid0(VALU_DEP_2) | instskip(NEXT) | instid1(VALU_DEP_3)
	v_and_b32_e32 v90, 7, v90
	v_lshl_add_u32 v89, v89, 23, 0x3b800000
	s_delay_alu instid0(VALU_DEP_3) | instskip(NEXT) | instid1(VALU_DEP_3)
	v_and_b32_e32 v46, 0x80000000, v46
	v_cndmask_b32_e32 v79, v79, v90, vcc_lo
	s_delay_alu instid0(VALU_DEP_1) | instskip(NEXT) | instid1(VALU_DEP_1)
	v_lshlrev_b32_e32 v79, 20, v79
	v_or3_b32 v79, v46, v89, v79
.LBB6_5484:                             ;   in Loop: Header=BB6_5300 Depth=3
	s_or_b32 exec_lo, exec_lo, s17
	s_delay_alu instid0(VALU_DEP_1) | instskip(NEXT) | instid1(VALU_DEP_1)
	v_add_f32_e32 v79, v88, v79
	v_and_b32_e32 v46, 0x7f800000, v79
	s_delay_alu instid0(VALU_DEP_1)
	v_cmp_ne_u32_e32 vcc_lo, 0x7f800000, v46
	v_mov_b32_e32 v46, 0x80
	s_and_saveexec_b32 s17, vcc_lo
	s_cbranch_execz .LBB6_5492
; %bb.5485:                             ;   in Loop: Header=BB6_5300 Depth=3
	v_mov_b32_e32 v46, 0
	s_mov_b32 s30, exec_lo
	v_cmpx_ne_u32_e32 0, v79
	s_cbranch_execz .LBB6_5491
; %bb.5486:                             ;   in Loop: Header=BB6_5300 Depth=3
	v_bfe_u32 v46, v79, 23, 8
	s_delay_alu instid0(VALU_DEP_1) | instskip(SKIP_1) | instid1(VALU_DEP_2)
	v_sub_nc_u32_e32 v89, 0x78, v46
	v_cmp_gt_u32_e32 vcc_lo, 0x79, v46
	v_dual_cndmask_b32 v89, 0, v89 :: v_dual_and_b32 v88, 0x7fffff, v79
	s_delay_alu instid0(VALU_DEP_1) | instskip(SKIP_2) | instid1(VALU_DEP_4)
	v_or_b32_e32 v90, 0x800000, v88
	v_cmp_eq_u32_e32 vcc_lo, 0, v46
	v_add_nc_u32_e32 v46, 0xffffff89, v46
	v_cndmask_b32_e64 v89, v89, 0x77, vcc_lo
	s_delay_alu instid0(VALU_DEP_2) | instskip(SKIP_1) | instid1(VALU_DEP_3)
	v_cndmask_b32_e64 v46, v46, 0xffffff8a, vcc_lo
	v_cndmask_b32_e32 v88, v90, v88, vcc_lo
	v_lshl_add_u32 v90, 0x100000, v89, -1
	v_lshlrev_b32_e64 v93, v89, 0x80000
	s_delay_alu instid0(VALU_DEP_3) | instskip(SKIP_1) | instid1(VALU_DEP_4)
	v_lshrrev_b32_e32 v91, v89, v88
	v_add_nc_u32_e32 v89, v89, v46
	v_and_b32_e32 v88, v90, v88
	s_delay_alu instid0(VALU_DEP_3) | instskip(NEXT) | instid1(VALU_DEP_2)
	v_bfe_u32 v92, v91, 20, 1
	v_cmp_eq_u32_e64 s13, v88, v93
	s_delay_alu instid0(VALU_DEP_2) | instskip(NEXT) | instid1(VALU_DEP_1)
	v_add_nc_u32_e32 v90, -1, v92
	v_cndmask_b32_e64 v88, 0, v90, s13
	v_lshrrev_b32_e32 v90, 23, v91
	s_mov_b32 s13, exec_lo
	s_delay_alu instid0(VALU_DEP_2) | instskip(NEXT) | instid1(VALU_DEP_2)
	v_add_nc_u32_e32 v88, v88, v91
	v_xor_b32_e32 v90, 1, v90
	s_delay_alu instid0(VALU_DEP_2) | instskip(NEXT) | instid1(VALU_DEP_1)
	v_and_b32_e32 v46, 0xfffff, v88
	v_add_nc_u32_e32 v88, v46, v91
                                        ; implicit-def: $vgpr46
	s_delay_alu instid0(VALU_DEP_3)
	v_cmpx_ne_u32_e64 v89, v90
	s_xor_b32 s13, exec_lo, s13
; %bb.5487:                             ;   in Loop: Header=BB6_5300 Depth=3
	s_delay_alu instid0(VALU_DEP_2) | instskip(SKIP_2) | instid1(VALU_DEP_2)
	v_cmp_lt_u32_e32 vcc_lo, 0xffffff, v88
	v_sub_nc_u32_e32 v46, v89, v90
	v_cndmask_b32_e64 v89, 0, 1, vcc_lo
	v_add_co_ci_u32_e32 v46, vcc_lo, 0, v46, vcc_lo
	s_delay_alu instid0(VALU_DEP_2)
	v_lshrrev_b32_e32 v88, v89, v88
; %bb.5488:                             ;   in Loop: Header=BB6_5300 Depth=3
	s_and_not1_saveexec_b32 s13, s13
; %bb.5489:                             ;   in Loop: Header=BB6_5300 Depth=3
	s_delay_alu instid0(VALU_DEP_1)
	v_bfe_u32 v46, v88, 23, 1
; %bb.5490:                             ;   in Loop: Header=BB6_5300 Depth=3
	s_or_b32 exec_lo, exec_lo, s13
	v_lshrrev_b32_e32 v88, 20, v88
	s_delay_alu instid0(VALU_DEP_2) | instskip(SKIP_2) | instid1(VALU_DEP_2)
	v_cmp_gt_i32_e32 vcc_lo, 16, v46
	v_lshrrev_b32_e32 v79, 24, v79
	v_min_i32_e32 v89, 15, v46
	v_dual_cndmask_b32 v88, 7, v88 :: v_dual_and_b32 v79, 0x80, v79
	s_delay_alu instid0(VALU_DEP_1) | instskip(SKIP_1) | instid1(VALU_DEP_2)
	v_or_b32_e32 v46, v46, v88
	v_and_b32_e32 v90, 7, v88
	v_cmp_ne_u32_e32 vcc_lo, 0, v46
	v_lshlrev_b32_e32 v89, 3, v89
	s_delay_alu instid0(VALU_DEP_1) | instskip(NEXT) | instid1(VALU_DEP_1)
	v_or3_b32 v79, v89, v79, v90
	v_cndmask_b32_e32 v46, 0, v79, vcc_lo
.LBB6_5491:                             ;   in Loop: Header=BB6_5300 Depth=3
	s_or_b32 exec_lo, exec_lo, s30
.LBB6_5492:                             ;   in Loop: Header=BB6_5300 Depth=3
	s_delay_alu instid0(SALU_CYCLE_1) | instskip(SKIP_3) | instid1(VALU_DEP_1)
	s_or_b32 exec_lo, exec_lo, s17
	v_and_b32_e32 v88, 0xff, v78
	s_mov_b32 s13, 0
	s_mov_b32 s30, exec_lo
                                        ; implicit-def: $sgpr17
	v_cmpx_lt_i16_e32 0x7f, v88
	s_xor_b32 s30, exec_lo, s30
	s_cbranch_execnz .LBB6_5906
; %bb.5493:                             ;   in Loop: Header=BB6_5300 Depth=3
	s_or_saveexec_b32 s30, s30
	v_mov_b32_e32 v79, s17
	s_xor_b32 exec_lo, exec_lo, s30
	s_cbranch_execnz .LBB6_5909
.LBB6_5494:                             ;   in Loop: Header=BB6_5300 Depth=3
	s_or_b32 exec_lo, exec_lo, s30
	s_and_saveexec_b32 s17, s13
	s_cbranch_execz .LBB6_5496
.LBB6_5495:                             ;   in Loop: Header=BB6_5300 Depth=3
	v_lshrrev_b16 v90, 3, v78
	s_delay_alu instid0(VALU_DEP_1) | instskip(NEXT) | instid1(VALU_DEP_1)
	v_and_b32_e32 v90, 15, v90
	v_cmp_eq_u32_e32 vcc_lo, 0, v90
	v_and_b32_e32 v79, 7, v78
	s_delay_alu instid0(VALU_DEP_1) | instskip(NEXT) | instid1(VALU_DEP_1)
	v_clz_i32_u32_e32 v88, v79
	v_min_u32_e32 v88, 32, v88
	s_delay_alu instid0(VALU_DEP_1) | instskip(SKIP_1) | instid1(VALU_DEP_1)
	v_subrev_nc_u32_e32 v89, 28, v88
	v_sub_nc_u32_e32 v88, 29, v88
	v_dual_cndmask_b32 v88, v90, v88 :: v_dual_lshlrev_b32 v89, v89, v78
	v_lshlrev_b32_e32 v78, 24, v78
	s_delay_alu instid0(VALU_DEP_2) | instskip(NEXT) | instid1(VALU_DEP_3)
	v_and_b32_e32 v89, 7, v89
	v_lshl_add_u32 v88, v88, 23, 0x3b800000
	s_delay_alu instid0(VALU_DEP_2) | instskip(NEXT) | instid1(VALU_DEP_1)
	v_dual_cndmask_b32 v79, v79, v89 :: v_dual_and_b32 v78, 0x80000000, v78
	v_lshlrev_b32_e32 v79, 20, v79
	s_delay_alu instid0(VALU_DEP_1)
	v_or3_b32 v79, v78, v88, v79
.LBB6_5496:                             ;   in Loop: Header=BB6_5300 Depth=3
	s_or_b32 exec_lo, exec_lo, s17
	s_waitcnt vmcnt(19) lgkmcnt(19)
	v_and_b32_e32 v88, 0xff, v57
	s_mov_b32 s13, 0
	s_mov_b32 s30, exec_lo
                                        ; implicit-def: $sgpr17
	s_delay_alu instid0(VALU_DEP_1)
	v_cmpx_lt_i16_e32 0x7f, v88
	s_xor_b32 s30, exec_lo, s30
	s_cbranch_execnz .LBB6_5910
; %bb.5497:                             ;   in Loop: Header=BB6_5300 Depth=3
	s_or_saveexec_b32 s30, s30
	v_mov_b32_e32 v78, s17
	s_xor_b32 exec_lo, exec_lo, s30
	s_cbranch_execnz .LBB6_5913
.LBB6_5498:                             ;   in Loop: Header=BB6_5300 Depth=3
	s_or_b32 exec_lo, exec_lo, s30
	s_and_saveexec_b32 s17, s13
	s_cbranch_execz .LBB6_5500
.LBB6_5499:                             ;   in Loop: Header=BB6_5300 Depth=3
	v_and_b32_e32 v78, 7, v57
	v_lshrrev_b16 v90, 3, v57
	s_delay_alu instid0(VALU_DEP_2) | instskip(NEXT) | instid1(VALU_DEP_2)
	v_clz_i32_u32_e32 v88, v78
	v_and_b32_e32 v90, 15, v90
	s_delay_alu instid0(VALU_DEP_2) | instskip(NEXT) | instid1(VALU_DEP_2)
	v_min_u32_e32 v88, 32, v88
	v_cmp_eq_u32_e32 vcc_lo, 0, v90
	s_delay_alu instid0(VALU_DEP_2) | instskip(SKIP_1) | instid1(VALU_DEP_1)
	v_subrev_nc_u32_e32 v89, 28, v88
	v_sub_nc_u32_e32 v88, 29, v88
	v_dual_cndmask_b32 v88, v90, v88 :: v_dual_lshlrev_b32 v89, v89, v57
	v_lshlrev_b32_e32 v57, 24, v57
	s_delay_alu instid0(VALU_DEP_2) | instskip(NEXT) | instid1(VALU_DEP_3)
	v_and_b32_e32 v89, 7, v89
	v_lshl_add_u32 v88, v88, 23, 0x3b800000
	s_delay_alu instid0(VALU_DEP_3) | instskip(NEXT) | instid1(VALU_DEP_3)
	v_and_b32_e32 v57, 0x80000000, v57
	v_cndmask_b32_e32 v78, v78, v89, vcc_lo
	s_delay_alu instid0(VALU_DEP_1) | instskip(NEXT) | instid1(VALU_DEP_1)
	v_lshlrev_b32_e32 v78, 20, v78
	v_or3_b32 v78, v57, v88, v78
.LBB6_5500:                             ;   in Loop: Header=BB6_5300 Depth=3
	s_or_b32 exec_lo, exec_lo, s17
	s_delay_alu instid0(VALU_DEP_1) | instskip(NEXT) | instid1(VALU_DEP_1)
	v_add_f32_e32 v78, v79, v78
	v_and_b32_e32 v57, 0x7f800000, v78
	s_delay_alu instid0(VALU_DEP_1)
	v_cmp_ne_u32_e32 vcc_lo, 0x7f800000, v57
	v_mov_b32_e32 v57, 0x80
	s_and_saveexec_b32 s17, vcc_lo
	s_cbranch_execz .LBB6_5508
; %bb.5501:                             ;   in Loop: Header=BB6_5300 Depth=3
	v_mov_b32_e32 v57, 0
	s_mov_b32 s30, exec_lo
	v_cmpx_ne_u32_e32 0, v78
	s_cbranch_execz .LBB6_5507
; %bb.5502:                             ;   in Loop: Header=BB6_5300 Depth=3
	v_bfe_u32 v57, v78, 23, 8
	s_delay_alu instid0(VALU_DEP_1) | instskip(SKIP_1) | instid1(VALU_DEP_2)
	v_sub_nc_u32_e32 v88, 0x78, v57
	v_cmp_gt_u32_e32 vcc_lo, 0x79, v57
	v_dual_cndmask_b32 v88, 0, v88 :: v_dual_and_b32 v79, 0x7fffff, v78
	s_delay_alu instid0(VALU_DEP_1) | instskip(SKIP_2) | instid1(VALU_DEP_4)
	v_or_b32_e32 v89, 0x800000, v79
	v_cmp_eq_u32_e32 vcc_lo, 0, v57
	v_add_nc_u32_e32 v57, 0xffffff89, v57
	v_cndmask_b32_e64 v88, v88, 0x77, vcc_lo
	s_delay_alu instid0(VALU_DEP_2) | instskip(SKIP_1) | instid1(VALU_DEP_3)
	v_cndmask_b32_e64 v57, v57, 0xffffff8a, vcc_lo
	v_cndmask_b32_e32 v79, v89, v79, vcc_lo
	v_lshl_add_u32 v89, 0x100000, v88, -1
	v_lshlrev_b32_e64 v92, v88, 0x80000
	s_delay_alu instid0(VALU_DEP_3) | instskip(SKIP_1) | instid1(VALU_DEP_4)
	v_lshrrev_b32_e32 v90, v88, v79
	v_add_nc_u32_e32 v88, v88, v57
	v_and_b32_e32 v79, v89, v79
	s_delay_alu instid0(VALU_DEP_3) | instskip(NEXT) | instid1(VALU_DEP_2)
	v_bfe_u32 v91, v90, 20, 1
	v_cmp_eq_u32_e64 s13, v79, v92
	s_delay_alu instid0(VALU_DEP_2) | instskip(NEXT) | instid1(VALU_DEP_1)
	v_add_nc_u32_e32 v89, -1, v91
	v_cndmask_b32_e64 v79, 0, v89, s13
	v_lshrrev_b32_e32 v89, 23, v90
	s_mov_b32 s13, exec_lo
	s_delay_alu instid0(VALU_DEP_2) | instskip(NEXT) | instid1(VALU_DEP_2)
	v_add_nc_u32_e32 v79, v79, v90
	v_xor_b32_e32 v89, 1, v89
	s_delay_alu instid0(VALU_DEP_2) | instskip(NEXT) | instid1(VALU_DEP_1)
	v_and_b32_e32 v57, 0xfffff, v79
	v_add_nc_u32_e32 v79, v57, v90
                                        ; implicit-def: $vgpr57
	s_delay_alu instid0(VALU_DEP_3)
	v_cmpx_ne_u32_e64 v88, v89
	s_xor_b32 s13, exec_lo, s13
; %bb.5503:                             ;   in Loop: Header=BB6_5300 Depth=3
	s_delay_alu instid0(VALU_DEP_2) | instskip(SKIP_2) | instid1(VALU_DEP_2)
	v_cmp_lt_u32_e32 vcc_lo, 0xffffff, v79
	v_sub_nc_u32_e32 v57, v88, v89
	v_cndmask_b32_e64 v88, 0, 1, vcc_lo
	v_add_co_ci_u32_e32 v57, vcc_lo, 0, v57, vcc_lo
	s_delay_alu instid0(VALU_DEP_2)
	v_lshrrev_b32_e32 v79, v88, v79
; %bb.5504:                             ;   in Loop: Header=BB6_5300 Depth=3
	s_and_not1_saveexec_b32 s13, s13
; %bb.5505:                             ;   in Loop: Header=BB6_5300 Depth=3
	s_delay_alu instid0(VALU_DEP_1)
	v_bfe_u32 v57, v79, 23, 1
; %bb.5506:                             ;   in Loop: Header=BB6_5300 Depth=3
	s_or_b32 exec_lo, exec_lo, s13
	v_lshrrev_b32_e32 v79, 20, v79
	s_delay_alu instid0(VALU_DEP_2) | instskip(SKIP_2) | instid1(VALU_DEP_2)
	v_cmp_gt_i32_e32 vcc_lo, 16, v57
	v_lshrrev_b32_e32 v78, 24, v78
	v_min_i32_e32 v88, 15, v57
	v_dual_cndmask_b32 v79, 7, v79 :: v_dual_and_b32 v78, 0x80, v78
	s_delay_alu instid0(VALU_DEP_1) | instskip(SKIP_1) | instid1(VALU_DEP_2)
	v_or_b32_e32 v57, v57, v79
	v_and_b32_e32 v89, 7, v79
	v_cmp_ne_u32_e32 vcc_lo, 0, v57
	v_lshlrev_b32_e32 v88, 3, v88
	s_delay_alu instid0(VALU_DEP_1) | instskip(NEXT) | instid1(VALU_DEP_1)
	v_or3_b32 v78, v88, v78, v89
	v_cndmask_b32_e32 v57, 0, v78, vcc_lo
.LBB6_5507:                             ;   in Loop: Header=BB6_5300 Depth=3
	s_or_b32 exec_lo, exec_lo, s30
.LBB6_5508:                             ;   in Loop: Header=BB6_5300 Depth=3
	s_delay_alu instid0(SALU_CYCLE_1) | instskip(SKIP_3) | instid1(VALU_DEP_1)
	s_or_b32 exec_lo, exec_lo, s17
	v_and_b32_e32 v79, 0xff, v77
	s_mov_b32 s13, 0
	s_mov_b32 s30, exec_lo
                                        ; implicit-def: $sgpr17
	v_cmpx_lt_i16_e32 0x7f, v79
	s_xor_b32 s30, exec_lo, s30
	s_cbranch_execnz .LBB6_5914
; %bb.5509:                             ;   in Loop: Header=BB6_5300 Depth=3
	s_or_saveexec_b32 s30, s30
	v_mov_b32_e32 v78, s17
	s_xor_b32 exec_lo, exec_lo, s30
	s_cbranch_execnz .LBB6_5917
.LBB6_5510:                             ;   in Loop: Header=BB6_5300 Depth=3
	s_or_b32 exec_lo, exec_lo, s30
	s_and_saveexec_b32 s17, s13
	s_cbranch_execz .LBB6_5512
.LBB6_5511:                             ;   in Loop: Header=BB6_5300 Depth=3
	v_lshrrev_b16 v89, 3, v77
	s_delay_alu instid0(VALU_DEP_1) | instskip(NEXT) | instid1(VALU_DEP_1)
	v_and_b32_e32 v89, 15, v89
	v_cmp_eq_u32_e32 vcc_lo, 0, v89
	v_and_b32_e32 v78, 7, v77
	s_delay_alu instid0(VALU_DEP_1) | instskip(NEXT) | instid1(VALU_DEP_1)
	v_clz_i32_u32_e32 v79, v78
	v_min_u32_e32 v79, 32, v79
	s_delay_alu instid0(VALU_DEP_1) | instskip(SKIP_1) | instid1(VALU_DEP_1)
	v_subrev_nc_u32_e32 v88, 28, v79
	v_sub_nc_u32_e32 v79, 29, v79
	v_dual_cndmask_b32 v79, v89, v79 :: v_dual_lshlrev_b32 v88, v88, v77
	v_lshlrev_b32_e32 v77, 24, v77
	s_delay_alu instid0(VALU_DEP_2) | instskip(NEXT) | instid1(VALU_DEP_3)
	v_and_b32_e32 v88, 7, v88
	v_lshl_add_u32 v79, v79, 23, 0x3b800000
	s_delay_alu instid0(VALU_DEP_2) | instskip(NEXT) | instid1(VALU_DEP_1)
	v_dual_cndmask_b32 v78, v78, v88 :: v_dual_and_b32 v77, 0x80000000, v77
	v_lshlrev_b32_e32 v78, 20, v78
	s_delay_alu instid0(VALU_DEP_1)
	v_or3_b32 v78, v77, v79, v78
.LBB6_5512:                             ;   in Loop: Header=BB6_5300 Depth=3
	s_or_b32 exec_lo, exec_lo, s17
	s_waitcnt vmcnt(18) lgkmcnt(18)
	v_and_b32_e32 v79, 0xff, v60
	s_mov_b32 s13, 0
	s_mov_b32 s30, exec_lo
                                        ; implicit-def: $sgpr17
	s_delay_alu instid0(VALU_DEP_1)
	v_cmpx_lt_i16_e32 0x7f, v79
	s_xor_b32 s30, exec_lo, s30
	s_cbranch_execnz .LBB6_5918
; %bb.5513:                             ;   in Loop: Header=BB6_5300 Depth=3
	s_or_saveexec_b32 s30, s30
	v_mov_b32_e32 v77, s17
	s_xor_b32 exec_lo, exec_lo, s30
	s_cbranch_execnz .LBB6_5921
.LBB6_5514:                             ;   in Loop: Header=BB6_5300 Depth=3
	s_or_b32 exec_lo, exec_lo, s30
	s_and_saveexec_b32 s17, s13
	s_cbranch_execz .LBB6_5516
.LBB6_5515:                             ;   in Loop: Header=BB6_5300 Depth=3
	v_and_b32_e32 v77, 7, v60
	v_lshrrev_b16 v89, 3, v60
	s_delay_alu instid0(VALU_DEP_2) | instskip(NEXT) | instid1(VALU_DEP_2)
	v_clz_i32_u32_e32 v79, v77
	v_and_b32_e32 v89, 15, v89
	s_delay_alu instid0(VALU_DEP_2) | instskip(NEXT) | instid1(VALU_DEP_2)
	v_min_u32_e32 v79, 32, v79
	v_cmp_eq_u32_e32 vcc_lo, 0, v89
	s_delay_alu instid0(VALU_DEP_2) | instskip(SKIP_1) | instid1(VALU_DEP_1)
	v_subrev_nc_u32_e32 v88, 28, v79
	v_sub_nc_u32_e32 v79, 29, v79
	v_dual_cndmask_b32 v79, v89, v79 :: v_dual_lshlrev_b32 v88, v88, v60
	v_lshlrev_b32_e32 v60, 24, v60
	s_delay_alu instid0(VALU_DEP_2) | instskip(NEXT) | instid1(VALU_DEP_3)
	v_and_b32_e32 v88, 7, v88
	v_lshl_add_u32 v79, v79, 23, 0x3b800000
	s_delay_alu instid0(VALU_DEP_3) | instskip(NEXT) | instid1(VALU_DEP_3)
	v_and_b32_e32 v60, 0x80000000, v60
	v_cndmask_b32_e32 v77, v77, v88, vcc_lo
	s_delay_alu instid0(VALU_DEP_1) | instskip(NEXT) | instid1(VALU_DEP_1)
	v_lshlrev_b32_e32 v77, 20, v77
	v_or3_b32 v77, v60, v79, v77
.LBB6_5516:                             ;   in Loop: Header=BB6_5300 Depth=3
	s_or_b32 exec_lo, exec_lo, s17
	s_delay_alu instid0(VALU_DEP_1) | instskip(NEXT) | instid1(VALU_DEP_1)
	v_add_f32_e32 v77, v78, v77
	v_and_b32_e32 v60, 0x7f800000, v77
	s_delay_alu instid0(VALU_DEP_1)
	v_cmp_ne_u32_e32 vcc_lo, 0x7f800000, v60
	v_mov_b32_e32 v60, 0x80
	s_and_saveexec_b32 s17, vcc_lo
	s_cbranch_execz .LBB6_5524
; %bb.5517:                             ;   in Loop: Header=BB6_5300 Depth=3
	v_mov_b32_e32 v60, 0
	s_mov_b32 s30, exec_lo
	v_cmpx_ne_u32_e32 0, v77
	s_cbranch_execz .LBB6_5523
; %bb.5518:                             ;   in Loop: Header=BB6_5300 Depth=3
	v_bfe_u32 v60, v77, 23, 8
	s_delay_alu instid0(VALU_DEP_1) | instskip(SKIP_1) | instid1(VALU_DEP_2)
	v_sub_nc_u32_e32 v79, 0x78, v60
	v_cmp_gt_u32_e32 vcc_lo, 0x79, v60
	v_dual_cndmask_b32 v79, 0, v79 :: v_dual_and_b32 v78, 0x7fffff, v77
	s_delay_alu instid0(VALU_DEP_1) | instskip(SKIP_2) | instid1(VALU_DEP_4)
	v_or_b32_e32 v88, 0x800000, v78
	v_cmp_eq_u32_e32 vcc_lo, 0, v60
	v_add_nc_u32_e32 v60, 0xffffff89, v60
	v_cndmask_b32_e64 v79, v79, 0x77, vcc_lo
	s_delay_alu instid0(VALU_DEP_2) | instskip(SKIP_1) | instid1(VALU_DEP_3)
	v_cndmask_b32_e64 v60, v60, 0xffffff8a, vcc_lo
	v_cndmask_b32_e32 v78, v88, v78, vcc_lo
	v_lshl_add_u32 v88, 0x100000, v79, -1
	v_lshlrev_b32_e64 v91, v79, 0x80000
	s_delay_alu instid0(VALU_DEP_3) | instskip(SKIP_1) | instid1(VALU_DEP_4)
	v_lshrrev_b32_e32 v89, v79, v78
	v_add_nc_u32_e32 v79, v79, v60
	v_and_b32_e32 v78, v88, v78
	s_delay_alu instid0(VALU_DEP_3) | instskip(NEXT) | instid1(VALU_DEP_2)
	v_bfe_u32 v90, v89, 20, 1
	v_cmp_eq_u32_e64 s13, v78, v91
	s_delay_alu instid0(VALU_DEP_2) | instskip(NEXT) | instid1(VALU_DEP_1)
	v_add_nc_u32_e32 v88, -1, v90
	v_cndmask_b32_e64 v78, 0, v88, s13
	v_lshrrev_b32_e32 v88, 23, v89
	s_mov_b32 s13, exec_lo
	s_delay_alu instid0(VALU_DEP_2) | instskip(NEXT) | instid1(VALU_DEP_2)
	v_add_nc_u32_e32 v78, v78, v89
	v_xor_b32_e32 v88, 1, v88
	s_delay_alu instid0(VALU_DEP_2) | instskip(NEXT) | instid1(VALU_DEP_1)
	v_and_b32_e32 v60, 0xfffff, v78
	v_add_nc_u32_e32 v78, v60, v89
                                        ; implicit-def: $vgpr60
	s_delay_alu instid0(VALU_DEP_3)
	v_cmpx_ne_u32_e64 v79, v88
	s_xor_b32 s13, exec_lo, s13
; %bb.5519:                             ;   in Loop: Header=BB6_5300 Depth=3
	s_delay_alu instid0(VALU_DEP_2) | instskip(SKIP_2) | instid1(VALU_DEP_2)
	v_cmp_lt_u32_e32 vcc_lo, 0xffffff, v78
	v_sub_nc_u32_e32 v60, v79, v88
	v_cndmask_b32_e64 v79, 0, 1, vcc_lo
	v_add_co_ci_u32_e32 v60, vcc_lo, 0, v60, vcc_lo
	s_delay_alu instid0(VALU_DEP_2)
	v_lshrrev_b32_e32 v78, v79, v78
; %bb.5520:                             ;   in Loop: Header=BB6_5300 Depth=3
	s_and_not1_saveexec_b32 s13, s13
; %bb.5521:                             ;   in Loop: Header=BB6_5300 Depth=3
	s_delay_alu instid0(VALU_DEP_1)
	v_bfe_u32 v60, v78, 23, 1
; %bb.5522:                             ;   in Loop: Header=BB6_5300 Depth=3
	s_or_b32 exec_lo, exec_lo, s13
	v_lshrrev_b32_e32 v78, 20, v78
	s_delay_alu instid0(VALU_DEP_2) | instskip(SKIP_2) | instid1(VALU_DEP_2)
	v_cmp_gt_i32_e32 vcc_lo, 16, v60
	v_lshrrev_b32_e32 v77, 24, v77
	v_min_i32_e32 v79, 15, v60
	v_dual_cndmask_b32 v78, 7, v78 :: v_dual_and_b32 v77, 0x80, v77
	s_delay_alu instid0(VALU_DEP_1) | instskip(SKIP_1) | instid1(VALU_DEP_2)
	v_or_b32_e32 v60, v60, v78
	v_and_b32_e32 v88, 7, v78
	v_cmp_ne_u32_e32 vcc_lo, 0, v60
	v_lshlrev_b32_e32 v79, 3, v79
	s_delay_alu instid0(VALU_DEP_1) | instskip(NEXT) | instid1(VALU_DEP_1)
	v_or3_b32 v77, v79, v77, v88
	v_cndmask_b32_e32 v60, 0, v77, vcc_lo
.LBB6_5523:                             ;   in Loop: Header=BB6_5300 Depth=3
	s_or_b32 exec_lo, exec_lo, s30
.LBB6_5524:                             ;   in Loop: Header=BB6_5300 Depth=3
	s_delay_alu instid0(SALU_CYCLE_1) | instskip(SKIP_3) | instid1(VALU_DEP_1)
	s_or_b32 exec_lo, exec_lo, s17
	v_and_b32_e32 v78, 0xff, v76
	s_mov_b32 s13, 0
	s_mov_b32 s30, exec_lo
                                        ; implicit-def: $sgpr17
	v_cmpx_lt_i16_e32 0x7f, v78
	s_xor_b32 s30, exec_lo, s30
	s_cbranch_execnz .LBB6_5922
; %bb.5525:                             ;   in Loop: Header=BB6_5300 Depth=3
	s_or_saveexec_b32 s30, s30
	v_mov_b32_e32 v77, s17
	s_xor_b32 exec_lo, exec_lo, s30
	s_cbranch_execnz .LBB6_5925
.LBB6_5526:                             ;   in Loop: Header=BB6_5300 Depth=3
	s_or_b32 exec_lo, exec_lo, s30
	s_and_saveexec_b32 s17, s13
	s_cbranch_execz .LBB6_5528
.LBB6_5527:                             ;   in Loop: Header=BB6_5300 Depth=3
	v_lshrrev_b16 v88, 3, v76
	s_delay_alu instid0(VALU_DEP_1) | instskip(NEXT) | instid1(VALU_DEP_1)
	v_and_b32_e32 v88, 15, v88
	v_cmp_eq_u32_e32 vcc_lo, 0, v88
	v_and_b32_e32 v77, 7, v76
	s_delay_alu instid0(VALU_DEP_1) | instskip(NEXT) | instid1(VALU_DEP_1)
	v_clz_i32_u32_e32 v78, v77
	v_min_u32_e32 v78, 32, v78
	s_delay_alu instid0(VALU_DEP_1) | instskip(SKIP_1) | instid1(VALU_DEP_1)
	v_subrev_nc_u32_e32 v79, 28, v78
	v_sub_nc_u32_e32 v78, 29, v78
	v_dual_cndmask_b32 v78, v88, v78 :: v_dual_lshlrev_b32 v79, v79, v76
	v_lshlrev_b32_e32 v76, 24, v76
	s_delay_alu instid0(VALU_DEP_2) | instskip(NEXT) | instid1(VALU_DEP_3)
	v_and_b32_e32 v79, 7, v79
	v_lshl_add_u32 v78, v78, 23, 0x3b800000
	s_delay_alu instid0(VALU_DEP_2) | instskip(NEXT) | instid1(VALU_DEP_1)
	v_dual_cndmask_b32 v77, v77, v79 :: v_dual_and_b32 v76, 0x80000000, v76
	v_lshlrev_b32_e32 v77, 20, v77
	s_delay_alu instid0(VALU_DEP_1)
	v_or3_b32 v77, v76, v78, v77
.LBB6_5528:                             ;   in Loop: Header=BB6_5300 Depth=3
	s_or_b32 exec_lo, exec_lo, s17
	s_waitcnt vmcnt(17) lgkmcnt(17)
	v_and_b32_e32 v78, 0xff, v63
	s_mov_b32 s13, 0
	s_mov_b32 s30, exec_lo
                                        ; implicit-def: $sgpr17
	s_delay_alu instid0(VALU_DEP_1)
	v_cmpx_lt_i16_e32 0x7f, v78
	s_xor_b32 s30, exec_lo, s30
	s_cbranch_execnz .LBB6_5926
; %bb.5529:                             ;   in Loop: Header=BB6_5300 Depth=3
	s_or_saveexec_b32 s30, s30
	v_mov_b32_e32 v76, s17
	s_xor_b32 exec_lo, exec_lo, s30
	s_cbranch_execnz .LBB6_5929
.LBB6_5530:                             ;   in Loop: Header=BB6_5300 Depth=3
	s_or_b32 exec_lo, exec_lo, s30
	s_and_saveexec_b32 s17, s13
	s_cbranch_execz .LBB6_5532
.LBB6_5531:                             ;   in Loop: Header=BB6_5300 Depth=3
	v_and_b32_e32 v76, 7, v63
	v_lshrrev_b16 v88, 3, v63
	s_delay_alu instid0(VALU_DEP_2) | instskip(NEXT) | instid1(VALU_DEP_2)
	v_clz_i32_u32_e32 v78, v76
	v_and_b32_e32 v88, 15, v88
	s_delay_alu instid0(VALU_DEP_2) | instskip(NEXT) | instid1(VALU_DEP_2)
	v_min_u32_e32 v78, 32, v78
	v_cmp_eq_u32_e32 vcc_lo, 0, v88
	s_delay_alu instid0(VALU_DEP_2) | instskip(SKIP_1) | instid1(VALU_DEP_1)
	v_subrev_nc_u32_e32 v79, 28, v78
	v_sub_nc_u32_e32 v78, 29, v78
	v_dual_cndmask_b32 v78, v88, v78 :: v_dual_lshlrev_b32 v79, v79, v63
	v_lshlrev_b32_e32 v63, 24, v63
	s_delay_alu instid0(VALU_DEP_2) | instskip(NEXT) | instid1(VALU_DEP_3)
	v_and_b32_e32 v79, 7, v79
	v_lshl_add_u32 v78, v78, 23, 0x3b800000
	s_delay_alu instid0(VALU_DEP_3) | instskip(NEXT) | instid1(VALU_DEP_3)
	v_and_b32_e32 v63, 0x80000000, v63
	v_cndmask_b32_e32 v76, v76, v79, vcc_lo
	s_delay_alu instid0(VALU_DEP_1) | instskip(NEXT) | instid1(VALU_DEP_1)
	v_lshlrev_b32_e32 v76, 20, v76
	v_or3_b32 v76, v63, v78, v76
.LBB6_5532:                             ;   in Loop: Header=BB6_5300 Depth=3
	s_or_b32 exec_lo, exec_lo, s17
	s_delay_alu instid0(VALU_DEP_1) | instskip(NEXT) | instid1(VALU_DEP_1)
	v_add_f32_e32 v76, v77, v76
	v_and_b32_e32 v63, 0x7f800000, v76
	s_delay_alu instid0(VALU_DEP_1)
	v_cmp_ne_u32_e32 vcc_lo, 0x7f800000, v63
	v_mov_b32_e32 v63, 0x80
	s_and_saveexec_b32 s17, vcc_lo
	s_cbranch_execz .LBB6_5540
; %bb.5533:                             ;   in Loop: Header=BB6_5300 Depth=3
	v_mov_b32_e32 v63, 0
	s_mov_b32 s30, exec_lo
	v_cmpx_ne_u32_e32 0, v76
	s_cbranch_execz .LBB6_5539
; %bb.5534:                             ;   in Loop: Header=BB6_5300 Depth=3
	v_bfe_u32 v63, v76, 23, 8
	s_delay_alu instid0(VALU_DEP_1) | instskip(SKIP_1) | instid1(VALU_DEP_2)
	v_sub_nc_u32_e32 v78, 0x78, v63
	v_cmp_gt_u32_e32 vcc_lo, 0x79, v63
	v_dual_cndmask_b32 v78, 0, v78 :: v_dual_and_b32 v77, 0x7fffff, v76
	s_delay_alu instid0(VALU_DEP_1) | instskip(SKIP_2) | instid1(VALU_DEP_4)
	v_or_b32_e32 v79, 0x800000, v77
	v_cmp_eq_u32_e32 vcc_lo, 0, v63
	v_add_nc_u32_e32 v63, 0xffffff89, v63
	v_cndmask_b32_e64 v78, v78, 0x77, vcc_lo
	s_delay_alu instid0(VALU_DEP_2) | instskip(SKIP_1) | instid1(VALU_DEP_3)
	v_cndmask_b32_e64 v63, v63, 0xffffff8a, vcc_lo
	v_cndmask_b32_e32 v77, v79, v77, vcc_lo
	v_lshl_add_u32 v79, 0x100000, v78, -1
	v_lshlrev_b32_e64 v90, v78, 0x80000
	s_delay_alu instid0(VALU_DEP_3) | instskip(SKIP_1) | instid1(VALU_DEP_4)
	v_lshrrev_b32_e32 v88, v78, v77
	v_add_nc_u32_e32 v78, v78, v63
	v_and_b32_e32 v77, v79, v77
	s_delay_alu instid0(VALU_DEP_3) | instskip(NEXT) | instid1(VALU_DEP_2)
	v_bfe_u32 v89, v88, 20, 1
	v_cmp_eq_u32_e64 s13, v77, v90
	s_delay_alu instid0(VALU_DEP_2) | instskip(NEXT) | instid1(VALU_DEP_1)
	v_add_nc_u32_e32 v79, -1, v89
	v_cndmask_b32_e64 v77, 0, v79, s13
	v_lshrrev_b32_e32 v79, 23, v88
	s_mov_b32 s13, exec_lo
	s_delay_alu instid0(VALU_DEP_2) | instskip(NEXT) | instid1(VALU_DEP_2)
	v_add_nc_u32_e32 v77, v77, v88
	v_xor_b32_e32 v79, 1, v79
	s_delay_alu instid0(VALU_DEP_2) | instskip(NEXT) | instid1(VALU_DEP_1)
	v_and_b32_e32 v63, 0xfffff, v77
	v_add_nc_u32_e32 v77, v63, v88
                                        ; implicit-def: $vgpr63
	s_delay_alu instid0(VALU_DEP_3)
	v_cmpx_ne_u32_e64 v78, v79
	s_xor_b32 s13, exec_lo, s13
; %bb.5535:                             ;   in Loop: Header=BB6_5300 Depth=3
	s_delay_alu instid0(VALU_DEP_2) | instskip(SKIP_2) | instid1(VALU_DEP_2)
	v_cmp_lt_u32_e32 vcc_lo, 0xffffff, v77
	v_sub_nc_u32_e32 v63, v78, v79
	v_cndmask_b32_e64 v78, 0, 1, vcc_lo
	v_add_co_ci_u32_e32 v63, vcc_lo, 0, v63, vcc_lo
	s_delay_alu instid0(VALU_DEP_2)
	v_lshrrev_b32_e32 v77, v78, v77
; %bb.5536:                             ;   in Loop: Header=BB6_5300 Depth=3
	s_and_not1_saveexec_b32 s13, s13
; %bb.5537:                             ;   in Loop: Header=BB6_5300 Depth=3
	s_delay_alu instid0(VALU_DEP_1)
	v_bfe_u32 v63, v77, 23, 1
; %bb.5538:                             ;   in Loop: Header=BB6_5300 Depth=3
	s_or_b32 exec_lo, exec_lo, s13
	v_lshrrev_b32_e32 v77, 20, v77
	s_delay_alu instid0(VALU_DEP_2) | instskip(SKIP_2) | instid1(VALU_DEP_2)
	v_cmp_gt_i32_e32 vcc_lo, 16, v63
	v_lshrrev_b32_e32 v76, 24, v76
	v_min_i32_e32 v78, 15, v63
	v_dual_cndmask_b32 v77, 7, v77 :: v_dual_and_b32 v76, 0x80, v76
	s_delay_alu instid0(VALU_DEP_1) | instskip(SKIP_1) | instid1(VALU_DEP_2)
	v_or_b32_e32 v63, v63, v77
	v_and_b32_e32 v79, 7, v77
	v_cmp_ne_u32_e32 vcc_lo, 0, v63
	v_lshlrev_b32_e32 v78, 3, v78
	s_delay_alu instid0(VALU_DEP_1) | instskip(NEXT) | instid1(VALU_DEP_1)
	v_or3_b32 v76, v78, v76, v79
	v_cndmask_b32_e32 v63, 0, v76, vcc_lo
.LBB6_5539:                             ;   in Loop: Header=BB6_5300 Depth=3
	s_or_b32 exec_lo, exec_lo, s30
.LBB6_5540:                             ;   in Loop: Header=BB6_5300 Depth=3
	s_delay_alu instid0(SALU_CYCLE_1) | instskip(SKIP_3) | instid1(VALU_DEP_1)
	s_or_b32 exec_lo, exec_lo, s17
	v_and_b32_e32 v77, 0xff, v75
	s_mov_b32 s13, 0
	s_mov_b32 s30, exec_lo
                                        ; implicit-def: $sgpr17
	v_cmpx_lt_i16_e32 0x7f, v77
	s_xor_b32 s30, exec_lo, s30
	s_cbranch_execnz .LBB6_5930
; %bb.5541:                             ;   in Loop: Header=BB6_5300 Depth=3
	s_or_saveexec_b32 s30, s30
	v_mov_b32_e32 v76, s17
	s_xor_b32 exec_lo, exec_lo, s30
	s_cbranch_execnz .LBB6_5933
.LBB6_5542:                             ;   in Loop: Header=BB6_5300 Depth=3
	s_or_b32 exec_lo, exec_lo, s30
	s_and_saveexec_b32 s17, s13
	s_cbranch_execz .LBB6_5544
.LBB6_5543:                             ;   in Loop: Header=BB6_5300 Depth=3
	v_lshrrev_b16 v79, 3, v75
	s_delay_alu instid0(VALU_DEP_1) | instskip(NEXT) | instid1(VALU_DEP_1)
	v_and_b32_e32 v79, 15, v79
	v_cmp_eq_u32_e32 vcc_lo, 0, v79
	v_and_b32_e32 v76, 7, v75
	s_delay_alu instid0(VALU_DEP_1) | instskip(NEXT) | instid1(VALU_DEP_1)
	v_clz_i32_u32_e32 v77, v76
	v_min_u32_e32 v77, 32, v77
	s_delay_alu instid0(VALU_DEP_1) | instskip(SKIP_1) | instid1(VALU_DEP_1)
	v_subrev_nc_u32_e32 v78, 28, v77
	v_sub_nc_u32_e32 v77, 29, v77
	v_dual_cndmask_b32 v77, v79, v77 :: v_dual_lshlrev_b32 v78, v78, v75
	v_lshlrev_b32_e32 v75, 24, v75
	s_delay_alu instid0(VALU_DEP_2) | instskip(NEXT) | instid1(VALU_DEP_3)
	v_and_b32_e32 v78, 7, v78
	v_lshl_add_u32 v77, v77, 23, 0x3b800000
	s_delay_alu instid0(VALU_DEP_2) | instskip(NEXT) | instid1(VALU_DEP_1)
	v_dual_cndmask_b32 v76, v76, v78 :: v_dual_and_b32 v75, 0x80000000, v75
	v_lshlrev_b32_e32 v76, 20, v76
	s_delay_alu instid0(VALU_DEP_1)
	v_or3_b32 v76, v75, v77, v76
.LBB6_5544:                             ;   in Loop: Header=BB6_5300 Depth=3
	s_or_b32 exec_lo, exec_lo, s17
	s_waitcnt vmcnt(16) lgkmcnt(16)
	v_and_b32_e32 v77, 0xff, v74
	s_mov_b32 s13, 0
	s_mov_b32 s30, exec_lo
                                        ; implicit-def: $sgpr17
	s_delay_alu instid0(VALU_DEP_1)
	v_cmpx_lt_i16_e32 0x7f, v77
	s_xor_b32 s30, exec_lo, s30
	s_cbranch_execnz .LBB6_5934
; %bb.5545:                             ;   in Loop: Header=BB6_5300 Depth=3
	s_or_saveexec_b32 s30, s30
	v_mov_b32_e32 v75, s17
	s_xor_b32 exec_lo, exec_lo, s30
	s_cbranch_execnz .LBB6_5937
.LBB6_5546:                             ;   in Loop: Header=BB6_5300 Depth=3
	s_or_b32 exec_lo, exec_lo, s30
	s_and_saveexec_b32 s17, s13
	s_cbranch_execz .LBB6_5548
.LBB6_5547:                             ;   in Loop: Header=BB6_5300 Depth=3
	v_and_b32_e32 v75, 7, v74
	v_lshrrev_b16 v79, 3, v74
	s_delay_alu instid0(VALU_DEP_2) | instskip(NEXT) | instid1(VALU_DEP_2)
	v_clz_i32_u32_e32 v77, v75
	v_and_b32_e32 v79, 15, v79
	s_delay_alu instid0(VALU_DEP_2) | instskip(NEXT) | instid1(VALU_DEP_2)
	v_min_u32_e32 v77, 32, v77
	v_cmp_eq_u32_e32 vcc_lo, 0, v79
	s_delay_alu instid0(VALU_DEP_2) | instskip(SKIP_1) | instid1(VALU_DEP_1)
	v_subrev_nc_u32_e32 v78, 28, v77
	v_sub_nc_u32_e32 v77, 29, v77
	v_dual_cndmask_b32 v77, v79, v77 :: v_dual_lshlrev_b32 v78, v78, v74
	v_lshlrev_b32_e32 v74, 24, v74
	s_delay_alu instid0(VALU_DEP_2) | instskip(NEXT) | instid1(VALU_DEP_3)
	v_and_b32_e32 v78, 7, v78
	v_lshl_add_u32 v77, v77, 23, 0x3b800000
	s_delay_alu instid0(VALU_DEP_3) | instskip(NEXT) | instid1(VALU_DEP_3)
	v_and_b32_e32 v74, 0x80000000, v74
	v_cndmask_b32_e32 v75, v75, v78, vcc_lo
	s_delay_alu instid0(VALU_DEP_1) | instskip(NEXT) | instid1(VALU_DEP_1)
	v_lshlrev_b32_e32 v75, 20, v75
	v_or3_b32 v75, v74, v77, v75
.LBB6_5548:                             ;   in Loop: Header=BB6_5300 Depth=3
	s_or_b32 exec_lo, exec_lo, s17
	s_delay_alu instid0(VALU_DEP_1) | instskip(NEXT) | instid1(VALU_DEP_1)
	v_add_f32_e32 v75, v76, v75
	v_and_b32_e32 v74, 0x7f800000, v75
	s_delay_alu instid0(VALU_DEP_1)
	v_cmp_ne_u32_e32 vcc_lo, 0x7f800000, v74
	v_mov_b32_e32 v74, 0x80
	s_and_saveexec_b32 s17, vcc_lo
	s_cbranch_execz .LBB6_5556
; %bb.5549:                             ;   in Loop: Header=BB6_5300 Depth=3
	v_mov_b32_e32 v74, 0
	s_mov_b32 s30, exec_lo
	v_cmpx_ne_u32_e32 0, v75
	s_cbranch_execz .LBB6_5555
; %bb.5550:                             ;   in Loop: Header=BB6_5300 Depth=3
	v_bfe_u32 v74, v75, 23, 8
	s_delay_alu instid0(VALU_DEP_1) | instskip(SKIP_1) | instid1(VALU_DEP_2)
	v_sub_nc_u32_e32 v77, 0x78, v74
	v_cmp_gt_u32_e32 vcc_lo, 0x79, v74
	v_dual_cndmask_b32 v77, 0, v77 :: v_dual_and_b32 v76, 0x7fffff, v75
	s_delay_alu instid0(VALU_DEP_1) | instskip(SKIP_2) | instid1(VALU_DEP_4)
	v_or_b32_e32 v78, 0x800000, v76
	v_cmp_eq_u32_e32 vcc_lo, 0, v74
	v_add_nc_u32_e32 v74, 0xffffff89, v74
	v_cndmask_b32_e64 v77, v77, 0x77, vcc_lo
	s_delay_alu instid0(VALU_DEP_2) | instskip(SKIP_1) | instid1(VALU_DEP_3)
	v_cndmask_b32_e64 v74, v74, 0xffffff8a, vcc_lo
	v_cndmask_b32_e32 v76, v78, v76, vcc_lo
	v_lshl_add_u32 v78, 0x100000, v77, -1
	v_lshlrev_b32_e64 v89, v77, 0x80000
	s_delay_alu instid0(VALU_DEP_3) | instskip(SKIP_1) | instid1(VALU_DEP_4)
	v_lshrrev_b32_e32 v79, v77, v76
	v_add_nc_u32_e32 v77, v77, v74
	v_and_b32_e32 v76, v78, v76
	s_delay_alu instid0(VALU_DEP_3) | instskip(NEXT) | instid1(VALU_DEP_2)
	v_bfe_u32 v88, v79, 20, 1
	v_cmp_eq_u32_e64 s13, v76, v89
	s_delay_alu instid0(VALU_DEP_2) | instskip(NEXT) | instid1(VALU_DEP_1)
	v_add_nc_u32_e32 v78, -1, v88
	v_cndmask_b32_e64 v76, 0, v78, s13
	v_lshrrev_b32_e32 v78, 23, v79
	s_mov_b32 s13, exec_lo
	s_delay_alu instid0(VALU_DEP_2) | instskip(NEXT) | instid1(VALU_DEP_2)
	v_add_nc_u32_e32 v76, v76, v79
	v_xor_b32_e32 v78, 1, v78
	s_delay_alu instid0(VALU_DEP_2) | instskip(NEXT) | instid1(VALU_DEP_1)
	v_and_b32_e32 v74, 0xfffff, v76
	v_add_nc_u32_e32 v76, v74, v79
                                        ; implicit-def: $vgpr74
	s_delay_alu instid0(VALU_DEP_3)
	v_cmpx_ne_u32_e64 v77, v78
	s_xor_b32 s13, exec_lo, s13
; %bb.5551:                             ;   in Loop: Header=BB6_5300 Depth=3
	s_delay_alu instid0(VALU_DEP_2) | instskip(SKIP_2) | instid1(VALU_DEP_2)
	v_cmp_lt_u32_e32 vcc_lo, 0xffffff, v76
	v_sub_nc_u32_e32 v74, v77, v78
	v_cndmask_b32_e64 v77, 0, 1, vcc_lo
	v_add_co_ci_u32_e32 v74, vcc_lo, 0, v74, vcc_lo
	s_delay_alu instid0(VALU_DEP_2)
	v_lshrrev_b32_e32 v76, v77, v76
; %bb.5552:                             ;   in Loop: Header=BB6_5300 Depth=3
	s_and_not1_saveexec_b32 s13, s13
; %bb.5553:                             ;   in Loop: Header=BB6_5300 Depth=3
	s_delay_alu instid0(VALU_DEP_1)
	v_bfe_u32 v74, v76, 23, 1
; %bb.5554:                             ;   in Loop: Header=BB6_5300 Depth=3
	s_or_b32 exec_lo, exec_lo, s13
	v_lshrrev_b32_e32 v76, 20, v76
	s_delay_alu instid0(VALU_DEP_2) | instskip(SKIP_2) | instid1(VALU_DEP_2)
	v_cmp_gt_i32_e32 vcc_lo, 16, v74
	v_lshrrev_b32_e32 v75, 24, v75
	v_min_i32_e32 v77, 15, v74
	v_dual_cndmask_b32 v76, 7, v76 :: v_dual_and_b32 v75, 0x80, v75
	s_delay_alu instid0(VALU_DEP_1) | instskip(SKIP_1) | instid1(VALU_DEP_2)
	v_or_b32_e32 v74, v74, v76
	v_and_b32_e32 v78, 7, v76
	v_cmp_ne_u32_e32 vcc_lo, 0, v74
	v_lshlrev_b32_e32 v77, 3, v77
	s_delay_alu instid0(VALU_DEP_1) | instskip(NEXT) | instid1(VALU_DEP_1)
	v_or3_b32 v75, v77, v75, v78
	v_cndmask_b32_e32 v74, 0, v75, vcc_lo
.LBB6_5555:                             ;   in Loop: Header=BB6_5300 Depth=3
	s_or_b32 exec_lo, exec_lo, s30
.LBB6_5556:                             ;   in Loop: Header=BB6_5300 Depth=3
	s_delay_alu instid0(SALU_CYCLE_1) | instskip(SKIP_3) | instid1(VALU_DEP_1)
	s_or_b32 exec_lo, exec_lo, s17
	v_and_b32_e32 v76, 0xff, v73
	s_mov_b32 s13, 0
	s_mov_b32 s30, exec_lo
                                        ; implicit-def: $sgpr17
	v_cmpx_lt_i16_e32 0x7f, v76
	s_xor_b32 s30, exec_lo, s30
	s_cbranch_execnz .LBB6_5938
; %bb.5557:                             ;   in Loop: Header=BB6_5300 Depth=3
	s_or_saveexec_b32 s30, s30
	v_mov_b32_e32 v75, s17
	s_xor_b32 exec_lo, exec_lo, s30
	s_cbranch_execnz .LBB6_5941
.LBB6_5558:                             ;   in Loop: Header=BB6_5300 Depth=3
	s_or_b32 exec_lo, exec_lo, s30
	s_and_saveexec_b32 s17, s13
	s_cbranch_execz .LBB6_5560
.LBB6_5559:                             ;   in Loop: Header=BB6_5300 Depth=3
	v_lshrrev_b16 v78, 3, v73
	s_delay_alu instid0(VALU_DEP_1) | instskip(NEXT) | instid1(VALU_DEP_1)
	v_and_b32_e32 v78, 15, v78
	v_cmp_eq_u32_e32 vcc_lo, 0, v78
	v_and_b32_e32 v75, 7, v73
	s_delay_alu instid0(VALU_DEP_1) | instskip(NEXT) | instid1(VALU_DEP_1)
	v_clz_i32_u32_e32 v76, v75
	v_min_u32_e32 v76, 32, v76
	s_delay_alu instid0(VALU_DEP_1) | instskip(SKIP_1) | instid1(VALU_DEP_1)
	v_subrev_nc_u32_e32 v77, 28, v76
	v_sub_nc_u32_e32 v76, 29, v76
	v_dual_cndmask_b32 v76, v78, v76 :: v_dual_lshlrev_b32 v77, v77, v73
	v_lshlrev_b32_e32 v73, 24, v73
	s_delay_alu instid0(VALU_DEP_2) | instskip(NEXT) | instid1(VALU_DEP_3)
	v_and_b32_e32 v77, 7, v77
	v_lshl_add_u32 v76, v76, 23, 0x3b800000
	s_delay_alu instid0(VALU_DEP_3) | instskip(NEXT) | instid1(VALU_DEP_3)
	v_and_b32_e32 v73, 0x80000000, v73
	v_cndmask_b32_e32 v75, v75, v77, vcc_lo
	s_delay_alu instid0(VALU_DEP_1) | instskip(NEXT) | instid1(VALU_DEP_1)
	v_lshlrev_b32_e32 v75, 20, v75
	v_or3_b32 v75, v73, v76, v75
.LBB6_5560:                             ;   in Loop: Header=BB6_5300 Depth=3
	s_or_b32 exec_lo, exec_lo, s17
	s_waitcnt vmcnt(15) lgkmcnt(15)
	v_and_b32_e32 v76, 0xff, v72
	s_mov_b32 s13, 0
	s_mov_b32 s30, exec_lo
                                        ; implicit-def: $sgpr17
	s_delay_alu instid0(VALU_DEP_1)
	v_cmpx_lt_i16_e32 0x7f, v76
	s_xor_b32 s30, exec_lo, s30
	s_cbranch_execnz .LBB6_5942
; %bb.5561:                             ;   in Loop: Header=BB6_5300 Depth=3
	s_or_saveexec_b32 s30, s30
	v_mov_b32_e32 v73, s17
	s_xor_b32 exec_lo, exec_lo, s30
	s_cbranch_execnz .LBB6_5945
.LBB6_5562:                             ;   in Loop: Header=BB6_5300 Depth=3
	s_or_b32 exec_lo, exec_lo, s30
	s_and_saveexec_b32 s17, s13
	s_cbranch_execz .LBB6_5564
.LBB6_5563:                             ;   in Loop: Header=BB6_5300 Depth=3
	v_and_b32_e32 v73, 7, v72
	v_lshrrev_b16 v78, 3, v72
	s_delay_alu instid0(VALU_DEP_2) | instskip(NEXT) | instid1(VALU_DEP_1)
	v_clz_i32_u32_e32 v76, v73
	v_min_u32_e32 v76, 32, v76
	s_delay_alu instid0(VALU_DEP_1) | instskip(SKIP_1) | instid1(VALU_DEP_2)
	v_subrev_nc_u32_e32 v77, 28, v76
	v_sub_nc_u32_e32 v76, 29, v76
	v_lshlrev_b32_e32 v77, v77, v72
	v_lshlrev_b32_e32 v72, 24, v72
	s_delay_alu instid0(VALU_DEP_2) | instskip(SKIP_1) | instid1(VALU_DEP_3)
	v_and_b32_e32 v77, 7, v77
	v_and_b32_e32 v78, 15, v78
	;; [unrolled: 1-line block ×3, first 2 shown]
	s_delay_alu instid0(VALU_DEP_2) | instskip(NEXT) | instid1(VALU_DEP_4)
	v_cmp_eq_u32_e32 vcc_lo, 0, v78
	v_dual_cndmask_b32 v73, v73, v77 :: v_dual_cndmask_b32 v76, v78, v76
	s_delay_alu instid0(VALU_DEP_1) | instskip(NEXT) | instid1(VALU_DEP_2)
	v_lshlrev_b32_e32 v73, 20, v73
	v_lshl_add_u32 v76, v76, 23, 0x3b800000
	s_delay_alu instid0(VALU_DEP_1)
	v_or3_b32 v73, v72, v76, v73
.LBB6_5564:                             ;   in Loop: Header=BB6_5300 Depth=3
	s_or_b32 exec_lo, exec_lo, s17
	s_delay_alu instid0(VALU_DEP_1) | instskip(NEXT) | instid1(VALU_DEP_1)
	v_add_f32_e32 v73, v75, v73
	v_and_b32_e32 v72, 0x7f800000, v73
	s_delay_alu instid0(VALU_DEP_1)
	v_cmp_ne_u32_e32 vcc_lo, 0x7f800000, v72
	v_mov_b32_e32 v72, 0x80
	s_and_saveexec_b32 s17, vcc_lo
	s_cbranch_execz .LBB6_5572
; %bb.5565:                             ;   in Loop: Header=BB6_5300 Depth=3
	v_mov_b32_e32 v72, 0
	s_mov_b32 s30, exec_lo
	v_cmpx_ne_u32_e32 0, v73
	s_cbranch_execz .LBB6_5571
; %bb.5566:                             ;   in Loop: Header=BB6_5300 Depth=3
	v_bfe_u32 v72, v73, 23, 8
	s_delay_alu instid0(VALU_DEP_1) | instskip(SKIP_1) | instid1(VALU_DEP_2)
	v_sub_nc_u32_e32 v76, 0x78, v72
	v_cmp_gt_u32_e32 vcc_lo, 0x79, v72
	v_dual_cndmask_b32 v76, 0, v76 :: v_dual_and_b32 v75, 0x7fffff, v73
	s_delay_alu instid0(VALU_DEP_1) | instskip(SKIP_2) | instid1(VALU_DEP_4)
	v_or_b32_e32 v77, 0x800000, v75
	v_cmp_eq_u32_e32 vcc_lo, 0, v72
	v_add_nc_u32_e32 v72, 0xffffff89, v72
	v_cndmask_b32_e64 v76, v76, 0x77, vcc_lo
	s_delay_alu instid0(VALU_DEP_4) | instskip(NEXT) | instid1(VALU_DEP_3)
	v_cndmask_b32_e32 v75, v77, v75, vcc_lo
	v_cndmask_b32_e64 v72, v72, 0xffffff8a, vcc_lo
	s_delay_alu instid0(VALU_DEP_3) | instskip(NEXT) | instid1(VALU_DEP_3)
	v_lshl_add_u32 v77, 0x100000, v76, -1
	v_lshrrev_b32_e32 v78, v76, v75
	v_lshlrev_b32_e64 v88, v76, 0x80000
	s_delay_alu instid0(VALU_DEP_4) | instskip(NEXT) | instid1(VALU_DEP_4)
	v_add_nc_u32_e32 v76, v76, v72
	v_and_b32_e32 v75, v77, v75
	s_delay_alu instid0(VALU_DEP_4) | instskip(NEXT) | instid1(VALU_DEP_2)
	v_bfe_u32 v79, v78, 20, 1
	v_cmp_eq_u32_e64 s13, v75, v88
	s_delay_alu instid0(VALU_DEP_2) | instskip(NEXT) | instid1(VALU_DEP_1)
	v_add_nc_u32_e32 v77, -1, v79
	v_cndmask_b32_e64 v75, 0, v77, s13
	v_lshrrev_b32_e32 v77, 23, v78
	s_mov_b32 s13, exec_lo
	s_delay_alu instid0(VALU_DEP_2) | instskip(NEXT) | instid1(VALU_DEP_2)
	v_add_nc_u32_e32 v75, v75, v78
	v_xor_b32_e32 v77, 1, v77
	s_delay_alu instid0(VALU_DEP_2) | instskip(NEXT) | instid1(VALU_DEP_1)
	v_and_b32_e32 v72, 0xfffff, v75
	v_add_nc_u32_e32 v75, v72, v78
                                        ; implicit-def: $vgpr72
	s_delay_alu instid0(VALU_DEP_3)
	v_cmpx_ne_u32_e64 v76, v77
	s_xor_b32 s13, exec_lo, s13
; %bb.5567:                             ;   in Loop: Header=BB6_5300 Depth=3
	s_delay_alu instid0(VALU_DEP_2) | instskip(SKIP_2) | instid1(VALU_DEP_2)
	v_cmp_lt_u32_e32 vcc_lo, 0xffffff, v75
	v_sub_nc_u32_e32 v72, v76, v77
	v_cndmask_b32_e64 v76, 0, 1, vcc_lo
	v_add_co_ci_u32_e32 v72, vcc_lo, 0, v72, vcc_lo
	s_delay_alu instid0(VALU_DEP_2)
	v_lshrrev_b32_e32 v75, v76, v75
; %bb.5568:                             ;   in Loop: Header=BB6_5300 Depth=3
	s_and_not1_saveexec_b32 s13, s13
; %bb.5569:                             ;   in Loop: Header=BB6_5300 Depth=3
	s_delay_alu instid0(VALU_DEP_1)
	v_bfe_u32 v72, v75, 23, 1
; %bb.5570:                             ;   in Loop: Header=BB6_5300 Depth=3
	s_or_b32 exec_lo, exec_lo, s13
	v_lshrrev_b32_e32 v75, 20, v75
	s_delay_alu instid0(VALU_DEP_2) | instskip(SKIP_2) | instid1(VALU_DEP_2)
	v_cmp_gt_i32_e32 vcc_lo, 16, v72
	v_min_i32_e32 v76, 15, v72
	v_lshrrev_b32_e32 v73, 24, v73
	v_dual_cndmask_b32 v75, 7, v75 :: v_dual_lshlrev_b32 v76, 3, v76
	s_delay_alu instid0(VALU_DEP_2) | instskip(NEXT) | instid1(VALU_DEP_2)
	v_and_b32_e32 v73, 0x80, v73
	v_or_b32_e32 v72, v72, v75
	s_delay_alu instid0(VALU_DEP_1) | instskip(SKIP_1) | instid1(VALU_DEP_1)
	v_cmp_ne_u32_e32 vcc_lo, 0, v72
	v_and_b32_e32 v77, 7, v75
	v_or3_b32 v73, v76, v73, v77
	s_delay_alu instid0(VALU_DEP_1)
	v_cndmask_b32_e32 v72, 0, v73, vcc_lo
.LBB6_5571:                             ;   in Loop: Header=BB6_5300 Depth=3
	s_or_b32 exec_lo, exec_lo, s30
.LBB6_5572:                             ;   in Loop: Header=BB6_5300 Depth=3
	s_delay_alu instid0(SALU_CYCLE_1) | instskip(SKIP_3) | instid1(VALU_DEP_1)
	s_or_b32 exec_lo, exec_lo, s17
	v_and_b32_e32 v75, 0xff, v62
	s_mov_b32 s13, 0
	s_mov_b32 s30, exec_lo
                                        ; implicit-def: $sgpr17
	v_cmpx_lt_i16_e32 0x7f, v75
	s_xor_b32 s30, exec_lo, s30
	s_cbranch_execnz .LBB6_5946
; %bb.5573:                             ;   in Loop: Header=BB6_5300 Depth=3
	s_or_saveexec_b32 s30, s30
	v_mov_b32_e32 v73, s17
	s_xor_b32 exec_lo, exec_lo, s30
	s_cbranch_execnz .LBB6_5949
.LBB6_5574:                             ;   in Loop: Header=BB6_5300 Depth=3
	s_or_b32 exec_lo, exec_lo, s30
	s_and_saveexec_b32 s17, s13
	s_cbranch_execz .LBB6_5576
.LBB6_5575:                             ;   in Loop: Header=BB6_5300 Depth=3
	v_and_b32_e32 v73, 7, v62
	v_lshrrev_b16 v77, 3, v62
	s_delay_alu instid0(VALU_DEP_2) | instskip(NEXT) | instid1(VALU_DEP_2)
	v_clz_i32_u32_e32 v75, v73
	v_and_b32_e32 v77, 15, v77
	s_delay_alu instid0(VALU_DEP_2) | instskip(NEXT) | instid1(VALU_DEP_2)
	v_min_u32_e32 v75, 32, v75
	v_cmp_eq_u32_e32 vcc_lo, 0, v77
	s_delay_alu instid0(VALU_DEP_2) | instskip(SKIP_1) | instid1(VALU_DEP_1)
	v_subrev_nc_u32_e32 v76, 28, v75
	v_sub_nc_u32_e32 v75, 29, v75
	v_dual_cndmask_b32 v75, v77, v75 :: v_dual_lshlrev_b32 v76, v76, v62
	s_delay_alu instid0(VALU_DEP_1) | instskip(SKIP_1) | instid1(VALU_DEP_3)
	v_and_b32_e32 v76, 7, v76
	v_lshlrev_b32_e32 v62, 24, v62
	v_lshl_add_u32 v75, v75, 23, 0x3b800000
	s_delay_alu instid0(VALU_DEP_2) | instskip(NEXT) | instid1(VALU_DEP_1)
	v_dual_cndmask_b32 v73, v73, v76 :: v_dual_and_b32 v62, 0x80000000, v62
	v_lshlrev_b32_e32 v73, 20, v73
	s_delay_alu instid0(VALU_DEP_1)
	v_or3_b32 v73, v62, v75, v73
.LBB6_5576:                             ;   in Loop: Header=BB6_5300 Depth=3
	s_or_b32 exec_lo, exec_lo, s17
	s_waitcnt vmcnt(14) lgkmcnt(14)
	v_and_b32_e32 v75, 0xff, v61
	s_mov_b32 s13, 0
	s_mov_b32 s30, exec_lo
                                        ; implicit-def: $sgpr17
	s_delay_alu instid0(VALU_DEP_1)
	v_cmpx_lt_i16_e32 0x7f, v75
	s_xor_b32 s30, exec_lo, s30
	s_cbranch_execnz .LBB6_5950
; %bb.5577:                             ;   in Loop: Header=BB6_5300 Depth=3
	s_or_saveexec_b32 s30, s30
	v_mov_b32_e32 v62, s17
	s_xor_b32 exec_lo, exec_lo, s30
	s_cbranch_execnz .LBB6_5953
.LBB6_5578:                             ;   in Loop: Header=BB6_5300 Depth=3
	s_or_b32 exec_lo, exec_lo, s30
	s_and_saveexec_b32 s17, s13
	s_cbranch_execz .LBB6_5580
.LBB6_5579:                             ;   in Loop: Header=BB6_5300 Depth=3
	v_lshrrev_b16 v77, 3, v61
	s_delay_alu instid0(VALU_DEP_1) | instskip(NEXT) | instid1(VALU_DEP_1)
	v_and_b32_e32 v77, 15, v77
	v_cmp_eq_u32_e32 vcc_lo, 0, v77
	v_and_b32_e32 v62, 7, v61
	s_delay_alu instid0(VALU_DEP_1) | instskip(NEXT) | instid1(VALU_DEP_1)
	v_clz_i32_u32_e32 v75, v62
	v_min_u32_e32 v75, 32, v75
	s_delay_alu instid0(VALU_DEP_1) | instskip(SKIP_1) | instid1(VALU_DEP_1)
	v_subrev_nc_u32_e32 v76, 28, v75
	v_sub_nc_u32_e32 v75, 29, v75
	v_dual_cndmask_b32 v75, v77, v75 :: v_dual_lshlrev_b32 v76, v76, v61
	v_lshlrev_b32_e32 v61, 24, v61
	s_delay_alu instid0(VALU_DEP_2) | instskip(NEXT) | instid1(VALU_DEP_3)
	v_and_b32_e32 v76, 7, v76
	v_lshl_add_u32 v75, v75, 23, 0x3b800000
	s_delay_alu instid0(VALU_DEP_2) | instskip(NEXT) | instid1(VALU_DEP_1)
	v_dual_cndmask_b32 v62, v62, v76 :: v_dual_and_b32 v61, 0x80000000, v61
	v_lshlrev_b32_e32 v62, 20, v62
	s_delay_alu instid0(VALU_DEP_1)
	v_or3_b32 v62, v61, v75, v62
.LBB6_5580:                             ;   in Loop: Header=BB6_5300 Depth=3
	s_or_b32 exec_lo, exec_lo, s17
	s_delay_alu instid0(VALU_DEP_1) | instskip(NEXT) | instid1(VALU_DEP_1)
	v_add_f32_e32 v62, v73, v62
	v_and_b32_e32 v61, 0x7f800000, v62
	s_delay_alu instid0(VALU_DEP_1)
	v_cmp_ne_u32_e32 vcc_lo, 0x7f800000, v61
	v_mov_b32_e32 v61, 0x80
	s_and_saveexec_b32 s17, vcc_lo
	s_cbranch_execz .LBB6_5588
; %bb.5581:                             ;   in Loop: Header=BB6_5300 Depth=3
	v_mov_b32_e32 v61, 0
	s_mov_b32 s30, exec_lo
	v_cmpx_ne_u32_e32 0, v62
	s_cbranch_execz .LBB6_5587
; %bb.5582:                             ;   in Loop: Header=BB6_5300 Depth=3
	v_bfe_u32 v61, v62, 23, 8
	v_and_b32_e32 v73, 0x7fffff, v62
	s_delay_alu instid0(VALU_DEP_2) | instskip(SKIP_1) | instid1(VALU_DEP_3)
	v_sub_nc_u32_e32 v75, 0x78, v61
	v_cmp_gt_u32_e32 vcc_lo, 0x79, v61
	v_or_b32_e32 v76, 0x800000, v73
	s_delay_alu instid0(VALU_DEP_3) | instskip(SKIP_2) | instid1(VALU_DEP_3)
	v_cndmask_b32_e32 v75, 0, v75, vcc_lo
	v_cmp_eq_u32_e32 vcc_lo, 0, v61
	v_add_nc_u32_e32 v61, 0xffffff89, v61
	v_cndmask_b32_e64 v75, v75, 0x77, vcc_lo
	v_cndmask_b32_e32 v73, v76, v73, vcc_lo
	s_delay_alu instid0(VALU_DEP_3) | instskip(NEXT) | instid1(VALU_DEP_3)
	v_cndmask_b32_e64 v61, v61, 0xffffff8a, vcc_lo
	v_lshl_add_u32 v76, 0x100000, v75, -1
	s_delay_alu instid0(VALU_DEP_3) | instskip(SKIP_1) | instid1(VALU_DEP_4)
	v_lshrrev_b32_e32 v77, v75, v73
	v_lshlrev_b32_e64 v79, v75, 0x80000
	v_add_nc_u32_e32 v75, v75, v61
	s_delay_alu instid0(VALU_DEP_4) | instskip(NEXT) | instid1(VALU_DEP_4)
	v_and_b32_e32 v73, v76, v73
	v_bfe_u32 v78, v77, 20, 1
	s_delay_alu instid0(VALU_DEP_2) | instskip(NEXT) | instid1(VALU_DEP_2)
	v_cmp_eq_u32_e64 s13, v73, v79
	v_add_nc_u32_e32 v76, -1, v78
	s_delay_alu instid0(VALU_DEP_1) | instskip(SKIP_2) | instid1(VALU_DEP_2)
	v_cndmask_b32_e64 v73, 0, v76, s13
	v_lshrrev_b32_e32 v76, 23, v77
	s_mov_b32 s13, exec_lo
	v_add_nc_u32_e32 v73, v73, v77
	s_delay_alu instid0(VALU_DEP_2) | instskip(NEXT) | instid1(VALU_DEP_2)
	v_xor_b32_e32 v76, 1, v76
	v_and_b32_e32 v61, 0xfffff, v73
	s_delay_alu instid0(VALU_DEP_1) | instskip(NEXT) | instid1(VALU_DEP_3)
	v_add_nc_u32_e32 v73, v61, v77
                                        ; implicit-def: $vgpr61
	v_cmpx_ne_u32_e64 v75, v76
	s_xor_b32 s13, exec_lo, s13
; %bb.5583:                             ;   in Loop: Header=BB6_5300 Depth=3
	s_delay_alu instid0(VALU_DEP_2) | instskip(SKIP_2) | instid1(VALU_DEP_2)
	v_cmp_lt_u32_e32 vcc_lo, 0xffffff, v73
	v_sub_nc_u32_e32 v61, v75, v76
	v_cndmask_b32_e64 v75, 0, 1, vcc_lo
	v_add_co_ci_u32_e32 v61, vcc_lo, 0, v61, vcc_lo
	s_delay_alu instid0(VALU_DEP_2)
	v_lshrrev_b32_e32 v73, v75, v73
; %bb.5584:                             ;   in Loop: Header=BB6_5300 Depth=3
	s_and_not1_saveexec_b32 s13, s13
; %bb.5585:                             ;   in Loop: Header=BB6_5300 Depth=3
	s_delay_alu instid0(VALU_DEP_1)
	v_bfe_u32 v61, v73, 23, 1
; %bb.5586:                             ;   in Loop: Header=BB6_5300 Depth=3
	s_or_b32 exec_lo, exec_lo, s13
	v_lshrrev_b32_e32 v73, 20, v73
	s_delay_alu instid0(VALU_DEP_2) | instskip(SKIP_2) | instid1(VALU_DEP_2)
	v_cmp_gt_i32_e32 vcc_lo, 16, v61
	v_lshrrev_b32_e32 v62, 24, v62
	v_min_i32_e32 v75, 15, v61
	v_dual_cndmask_b32 v73, 7, v73 :: v_dual_and_b32 v62, 0x80, v62
	s_delay_alu instid0(VALU_DEP_2) | instskip(NEXT) | instid1(VALU_DEP_2)
	v_lshlrev_b32_e32 v75, 3, v75
	v_or_b32_e32 v61, v61, v73
	s_delay_alu instid0(VALU_DEP_1) | instskip(SKIP_1) | instid1(VALU_DEP_1)
	v_cmp_ne_u32_e32 vcc_lo, 0, v61
	v_and_b32_e32 v76, 7, v73
	v_or3_b32 v62, v75, v62, v76
	s_delay_alu instid0(VALU_DEP_1)
	v_cndmask_b32_e32 v61, 0, v62, vcc_lo
.LBB6_5587:                             ;   in Loop: Header=BB6_5300 Depth=3
	s_or_b32 exec_lo, exec_lo, s30
.LBB6_5588:                             ;   in Loop: Header=BB6_5300 Depth=3
	s_delay_alu instid0(SALU_CYCLE_1) | instskip(SKIP_3) | instid1(VALU_DEP_1)
	s_or_b32 exec_lo, exec_lo, s17
	v_and_b32_e32 v73, 0xff, v59
	s_mov_b32 s13, 0
	s_mov_b32 s30, exec_lo
                                        ; implicit-def: $sgpr17
	v_cmpx_lt_i16_e32 0x7f, v73
	s_xor_b32 s30, exec_lo, s30
	s_cbranch_execnz .LBB6_5954
; %bb.5589:                             ;   in Loop: Header=BB6_5300 Depth=3
	s_or_saveexec_b32 s30, s30
	v_mov_b32_e32 v62, s17
	s_xor_b32 exec_lo, exec_lo, s30
	s_cbranch_execnz .LBB6_5957
.LBB6_5590:                             ;   in Loop: Header=BB6_5300 Depth=3
	s_or_b32 exec_lo, exec_lo, s30
	s_and_saveexec_b32 s17, s13
	s_cbranch_execz .LBB6_5592
.LBB6_5591:                             ;   in Loop: Header=BB6_5300 Depth=3
	v_lshrrev_b16 v76, 3, v59
	s_delay_alu instid0(VALU_DEP_1) | instskip(NEXT) | instid1(VALU_DEP_1)
	v_and_b32_e32 v76, 15, v76
	v_cmp_eq_u32_e32 vcc_lo, 0, v76
	v_and_b32_e32 v62, 7, v59
	s_delay_alu instid0(VALU_DEP_1) | instskip(NEXT) | instid1(VALU_DEP_1)
	v_clz_i32_u32_e32 v73, v62
	v_min_u32_e32 v73, 32, v73
	s_delay_alu instid0(VALU_DEP_1) | instskip(SKIP_1) | instid1(VALU_DEP_2)
	v_subrev_nc_u32_e32 v75, 28, v73
	v_sub_nc_u32_e32 v73, 29, v73
	v_lshlrev_b32_e32 v75, v75, v59
	s_delay_alu instid0(VALU_DEP_2) | instskip(SKIP_1) | instid1(VALU_DEP_3)
	v_cndmask_b32_e32 v73, v76, v73, vcc_lo
	v_lshlrev_b32_e32 v59, 24, v59
	v_and_b32_e32 v75, 7, v75
	s_delay_alu instid0(VALU_DEP_3) | instskip(NEXT) | instid1(VALU_DEP_3)
	v_lshl_add_u32 v73, v73, 23, 0x3b800000
	v_and_b32_e32 v59, 0x80000000, v59
	s_delay_alu instid0(VALU_DEP_3) | instskip(NEXT) | instid1(VALU_DEP_1)
	v_cndmask_b32_e32 v62, v62, v75, vcc_lo
	v_lshlrev_b32_e32 v62, 20, v62
	s_delay_alu instid0(VALU_DEP_1)
	v_or3_b32 v62, v59, v73, v62
.LBB6_5592:                             ;   in Loop: Header=BB6_5300 Depth=3
	s_or_b32 exec_lo, exec_lo, s17
	s_waitcnt vmcnt(13) lgkmcnt(13)
	v_and_b32_e32 v73, 0xff, v58
	s_mov_b32 s13, 0
	s_mov_b32 s30, exec_lo
                                        ; implicit-def: $sgpr17
	s_delay_alu instid0(VALU_DEP_1)
	v_cmpx_lt_i16_e32 0x7f, v73
	s_xor_b32 s30, exec_lo, s30
	s_cbranch_execnz .LBB6_5958
; %bb.5593:                             ;   in Loop: Header=BB6_5300 Depth=3
	s_or_saveexec_b32 s30, s30
	v_mov_b32_e32 v59, s17
	s_xor_b32 exec_lo, exec_lo, s30
	s_cbranch_execnz .LBB6_5961
.LBB6_5594:                             ;   in Loop: Header=BB6_5300 Depth=3
	s_or_b32 exec_lo, exec_lo, s30
	s_and_saveexec_b32 s17, s13
	s_cbranch_execz .LBB6_5596
.LBB6_5595:                             ;   in Loop: Header=BB6_5300 Depth=3
	v_and_b32_e32 v59, 7, v58
	v_lshrrev_b16 v76, 3, v58
	s_delay_alu instid0(VALU_DEP_2) | instskip(NEXT) | instid1(VALU_DEP_1)
	v_clz_i32_u32_e32 v73, v59
	v_min_u32_e32 v73, 32, v73
	s_delay_alu instid0(VALU_DEP_1) | instskip(SKIP_1) | instid1(VALU_DEP_2)
	v_subrev_nc_u32_e32 v75, 28, v73
	v_sub_nc_u32_e32 v73, 29, v73
	v_lshlrev_b32_e32 v75, v75, v58
	s_delay_alu instid0(VALU_DEP_1) | instskip(SKIP_1) | instid1(VALU_DEP_1)
	v_and_b32_e32 v75, 7, v75
	v_and_b32_e32 v76, 15, v76
	v_cmp_eq_u32_e32 vcc_lo, 0, v76
	s_delay_alu instid0(VALU_DEP_3) | instskip(SKIP_1) | instid1(VALU_DEP_2)
	v_dual_cndmask_b32 v59, v59, v75 :: v_dual_lshlrev_b32 v58, 24, v58
	v_cndmask_b32_e32 v73, v76, v73, vcc_lo
	v_lshlrev_b32_e32 v59, 20, v59
	s_delay_alu instid0(VALU_DEP_3) | instskip(NEXT) | instid1(VALU_DEP_3)
	v_and_b32_e32 v58, 0x80000000, v58
	v_lshl_add_u32 v73, v73, 23, 0x3b800000
	s_delay_alu instid0(VALU_DEP_1)
	v_or3_b32 v59, v58, v73, v59
.LBB6_5596:                             ;   in Loop: Header=BB6_5300 Depth=3
	s_or_b32 exec_lo, exec_lo, s17
	s_delay_alu instid0(VALU_DEP_1) | instskip(NEXT) | instid1(VALU_DEP_1)
	v_add_f32_e32 v59, v62, v59
	v_and_b32_e32 v58, 0x7f800000, v59
	s_delay_alu instid0(VALU_DEP_1)
	v_cmp_ne_u32_e32 vcc_lo, 0x7f800000, v58
	v_mov_b32_e32 v58, 0x80
	s_and_saveexec_b32 s17, vcc_lo
	s_cbranch_execz .LBB6_5604
; %bb.5597:                             ;   in Loop: Header=BB6_5300 Depth=3
	v_mov_b32_e32 v58, 0
	s_mov_b32 s30, exec_lo
	v_cmpx_ne_u32_e32 0, v59
	s_cbranch_execz .LBB6_5603
; %bb.5598:                             ;   in Loop: Header=BB6_5300 Depth=3
	v_bfe_u32 v58, v59, 23, 8
	s_delay_alu instid0(VALU_DEP_1) | instskip(SKIP_1) | instid1(VALU_DEP_2)
	v_sub_nc_u32_e32 v73, 0x78, v58
	v_cmp_gt_u32_e32 vcc_lo, 0x79, v58
	v_dual_cndmask_b32 v73, 0, v73 :: v_dual_and_b32 v62, 0x7fffff, v59
	s_delay_alu instid0(VALU_DEP_1) | instskip(SKIP_2) | instid1(VALU_DEP_4)
	v_or_b32_e32 v75, 0x800000, v62
	v_cmp_eq_u32_e32 vcc_lo, 0, v58
	v_add_nc_u32_e32 v58, 0xffffff89, v58
	v_cndmask_b32_e64 v73, v73, 0x77, vcc_lo
	s_delay_alu instid0(VALU_DEP_4) | instskip(NEXT) | instid1(VALU_DEP_3)
	v_cndmask_b32_e32 v62, v75, v62, vcc_lo
	v_cndmask_b32_e64 v58, v58, 0xffffff8a, vcc_lo
	s_delay_alu instid0(VALU_DEP_3) | instskip(NEXT) | instid1(VALU_DEP_3)
	v_lshl_add_u32 v75, 0x100000, v73, -1
	v_lshrrev_b32_e32 v76, v73, v62
	v_lshlrev_b32_e64 v78, v73, 0x80000
	s_delay_alu instid0(VALU_DEP_4) | instskip(NEXT) | instid1(VALU_DEP_4)
	v_add_nc_u32_e32 v73, v73, v58
	v_and_b32_e32 v62, v75, v62
	s_delay_alu instid0(VALU_DEP_4) | instskip(NEXT) | instid1(VALU_DEP_2)
	v_bfe_u32 v77, v76, 20, 1
	v_cmp_eq_u32_e64 s13, v62, v78
	s_delay_alu instid0(VALU_DEP_2) | instskip(NEXT) | instid1(VALU_DEP_1)
	v_add_nc_u32_e32 v75, -1, v77
	v_cndmask_b32_e64 v62, 0, v75, s13
	v_lshrrev_b32_e32 v75, 23, v76
	s_mov_b32 s13, exec_lo
	s_delay_alu instid0(VALU_DEP_2) | instskip(NEXT) | instid1(VALU_DEP_2)
	v_add_nc_u32_e32 v62, v62, v76
	v_xor_b32_e32 v75, 1, v75
	s_delay_alu instid0(VALU_DEP_2) | instskip(NEXT) | instid1(VALU_DEP_1)
	v_and_b32_e32 v58, 0xfffff, v62
	v_add_nc_u32_e32 v62, v58, v76
                                        ; implicit-def: $vgpr58
	s_delay_alu instid0(VALU_DEP_3)
	v_cmpx_ne_u32_e64 v73, v75
	s_xor_b32 s13, exec_lo, s13
; %bb.5599:                             ;   in Loop: Header=BB6_5300 Depth=3
	s_delay_alu instid0(VALU_DEP_2) | instskip(SKIP_2) | instid1(VALU_DEP_2)
	v_cmp_lt_u32_e32 vcc_lo, 0xffffff, v62
	v_sub_nc_u32_e32 v58, v73, v75
	v_cndmask_b32_e64 v73, 0, 1, vcc_lo
	v_add_co_ci_u32_e32 v58, vcc_lo, 0, v58, vcc_lo
	s_delay_alu instid0(VALU_DEP_2)
	v_lshrrev_b32_e32 v62, v73, v62
; %bb.5600:                             ;   in Loop: Header=BB6_5300 Depth=3
	s_and_not1_saveexec_b32 s13, s13
; %bb.5601:                             ;   in Loop: Header=BB6_5300 Depth=3
	s_delay_alu instid0(VALU_DEP_1)
	v_bfe_u32 v58, v62, 23, 1
; %bb.5602:                             ;   in Loop: Header=BB6_5300 Depth=3
	s_or_b32 exec_lo, exec_lo, s13
	v_lshrrev_b32_e32 v62, 20, v62
	s_delay_alu instid0(VALU_DEP_2) | instskip(SKIP_2) | instid1(VALU_DEP_2)
	v_cmp_gt_i32_e32 vcc_lo, 16, v58
	v_lshrrev_b32_e32 v59, 24, v59
	v_min_i32_e32 v73, 15, v58
	v_dual_cndmask_b32 v62, 7, v62 :: v_dual_and_b32 v59, 0x80, v59
	s_delay_alu instid0(VALU_DEP_2) | instskip(NEXT) | instid1(VALU_DEP_2)
	v_lshlrev_b32_e32 v73, 3, v73
	v_or_b32_e32 v58, v58, v62
	s_delay_alu instid0(VALU_DEP_1) | instskip(SKIP_1) | instid1(VALU_DEP_1)
	v_cmp_ne_u32_e32 vcc_lo, 0, v58
	v_and_b32_e32 v75, 7, v62
	v_or3_b32 v59, v73, v59, v75
	s_delay_alu instid0(VALU_DEP_1)
	v_cndmask_b32_e32 v58, 0, v59, vcc_lo
.LBB6_5603:                             ;   in Loop: Header=BB6_5300 Depth=3
	s_or_b32 exec_lo, exec_lo, s30
.LBB6_5604:                             ;   in Loop: Header=BB6_5300 Depth=3
	s_delay_alu instid0(SALU_CYCLE_1) | instskip(SKIP_3) | instid1(VALU_DEP_1)
	s_or_b32 exec_lo, exec_lo, s17
	v_and_b32_e32 v62, 0xff, v56
	s_mov_b32 s13, 0
	s_mov_b32 s30, exec_lo
                                        ; implicit-def: $sgpr17
	v_cmpx_lt_i16_e32 0x7f, v62
	s_xor_b32 s30, exec_lo, s30
	s_cbranch_execnz .LBB6_5962
; %bb.5605:                             ;   in Loop: Header=BB6_5300 Depth=3
	s_or_saveexec_b32 s30, s30
	v_mov_b32_e32 v59, s17
	s_xor_b32 exec_lo, exec_lo, s30
	s_cbranch_execnz .LBB6_5965
.LBB6_5606:                             ;   in Loop: Header=BB6_5300 Depth=3
	s_or_b32 exec_lo, exec_lo, s30
	s_and_saveexec_b32 s17, s13
	s_cbranch_execz .LBB6_5608
.LBB6_5607:                             ;   in Loop: Header=BB6_5300 Depth=3
	v_lshrrev_b16 v75, 3, v56
	s_delay_alu instid0(VALU_DEP_1) | instskip(NEXT) | instid1(VALU_DEP_1)
	v_and_b32_e32 v75, 15, v75
	v_cmp_eq_u32_e32 vcc_lo, 0, v75
	v_and_b32_e32 v59, 7, v56
	s_delay_alu instid0(VALU_DEP_1) | instskip(NEXT) | instid1(VALU_DEP_1)
	v_clz_i32_u32_e32 v62, v59
	v_min_u32_e32 v62, 32, v62
	s_delay_alu instid0(VALU_DEP_1) | instskip(SKIP_1) | instid1(VALU_DEP_1)
	v_subrev_nc_u32_e32 v73, 28, v62
	v_sub_nc_u32_e32 v62, 29, v62
	v_dual_cndmask_b32 v62, v75, v62 :: v_dual_lshlrev_b32 v73, v73, v56
	s_delay_alu instid0(VALU_DEP_1) | instskip(SKIP_1) | instid1(VALU_DEP_3)
	v_and_b32_e32 v73, 7, v73
	v_lshlrev_b32_e32 v56, 24, v56
	v_lshl_add_u32 v62, v62, 23, 0x3b800000
	s_delay_alu instid0(VALU_DEP_2) | instskip(NEXT) | instid1(VALU_DEP_1)
	v_dual_cndmask_b32 v59, v59, v73 :: v_dual_and_b32 v56, 0x80000000, v56
	v_lshlrev_b32_e32 v59, 20, v59
	s_delay_alu instid0(VALU_DEP_1)
	v_or3_b32 v59, v56, v62, v59
.LBB6_5608:                             ;   in Loop: Header=BB6_5300 Depth=3
	s_or_b32 exec_lo, exec_lo, s17
	s_waitcnt vmcnt(12) lgkmcnt(12)
	v_and_b32_e32 v62, 0xff, v47
	s_mov_b32 s13, 0
	s_mov_b32 s30, exec_lo
                                        ; implicit-def: $sgpr17
	s_delay_alu instid0(VALU_DEP_1)
	v_cmpx_lt_i16_e32 0x7f, v62
	s_xor_b32 s30, exec_lo, s30
	s_cbranch_execnz .LBB6_5966
; %bb.5609:                             ;   in Loop: Header=BB6_5300 Depth=3
	s_or_saveexec_b32 s30, s30
	v_mov_b32_e32 v56, s17
	s_xor_b32 exec_lo, exec_lo, s30
	s_cbranch_execnz .LBB6_5969
.LBB6_5610:                             ;   in Loop: Header=BB6_5300 Depth=3
	s_or_b32 exec_lo, exec_lo, s30
	s_and_saveexec_b32 s17, s13
	s_cbranch_execz .LBB6_5612
.LBB6_5611:                             ;   in Loop: Header=BB6_5300 Depth=3
	v_and_b32_e32 v56, 7, v47
	v_lshrrev_b16 v75, 3, v47
	s_delay_alu instid0(VALU_DEP_2) | instskip(NEXT) | instid1(VALU_DEP_2)
	v_clz_i32_u32_e32 v62, v56
	v_and_b32_e32 v75, 15, v75
	s_delay_alu instid0(VALU_DEP_2) | instskip(NEXT) | instid1(VALU_DEP_2)
	v_min_u32_e32 v62, 32, v62
	v_cmp_eq_u32_e32 vcc_lo, 0, v75
	s_delay_alu instid0(VALU_DEP_2) | instskip(SKIP_1) | instid1(VALU_DEP_1)
	v_subrev_nc_u32_e32 v73, 28, v62
	v_sub_nc_u32_e32 v62, 29, v62
	v_dual_cndmask_b32 v62, v75, v62 :: v_dual_lshlrev_b32 v73, v73, v47
	v_lshlrev_b32_e32 v47, 24, v47
	s_delay_alu instid0(VALU_DEP_2) | instskip(NEXT) | instid1(VALU_DEP_3)
	v_and_b32_e32 v73, 7, v73
	v_lshl_add_u32 v62, v62, 23, 0x3b800000
	s_delay_alu instid0(VALU_DEP_2) | instskip(NEXT) | instid1(VALU_DEP_1)
	v_dual_cndmask_b32 v56, v56, v73 :: v_dual_and_b32 v47, 0x80000000, v47
	v_lshlrev_b32_e32 v56, 20, v56
	s_delay_alu instid0(VALU_DEP_1)
	v_or3_b32 v56, v47, v62, v56
.LBB6_5612:                             ;   in Loop: Header=BB6_5300 Depth=3
	s_or_b32 exec_lo, exec_lo, s17
	s_delay_alu instid0(VALU_DEP_1) | instskip(NEXT) | instid1(VALU_DEP_1)
	v_add_f32_e32 v56, v59, v56
	v_and_b32_e32 v47, 0x7f800000, v56
	s_delay_alu instid0(VALU_DEP_1)
	v_cmp_ne_u32_e32 vcc_lo, 0x7f800000, v47
	v_mov_b32_e32 v47, 0x80
	s_and_saveexec_b32 s17, vcc_lo
	s_cbranch_execz .LBB6_5620
; %bb.5613:                             ;   in Loop: Header=BB6_5300 Depth=3
	v_mov_b32_e32 v47, 0
	s_mov_b32 s30, exec_lo
	v_cmpx_ne_u32_e32 0, v56
	s_cbranch_execz .LBB6_5619
; %bb.5614:                             ;   in Loop: Header=BB6_5300 Depth=3
	v_bfe_u32 v47, v56, 23, 8
	s_delay_alu instid0(VALU_DEP_1) | instskip(SKIP_1) | instid1(VALU_DEP_2)
	v_sub_nc_u32_e32 v62, 0x78, v47
	v_cmp_gt_u32_e32 vcc_lo, 0x79, v47
	v_dual_cndmask_b32 v62, 0, v62 :: v_dual_and_b32 v59, 0x7fffff, v56
	s_delay_alu instid0(VALU_DEP_1) | instskip(SKIP_2) | instid1(VALU_DEP_4)
	v_or_b32_e32 v73, 0x800000, v59
	v_cmp_eq_u32_e32 vcc_lo, 0, v47
	v_add_nc_u32_e32 v47, 0xffffff89, v47
	v_cndmask_b32_e64 v62, v62, 0x77, vcc_lo
	s_delay_alu instid0(VALU_DEP_4) | instskip(NEXT) | instid1(VALU_DEP_3)
	v_cndmask_b32_e32 v59, v73, v59, vcc_lo
	v_cndmask_b32_e64 v47, v47, 0xffffff8a, vcc_lo
	s_delay_alu instid0(VALU_DEP_3) | instskip(NEXT) | instid1(VALU_DEP_3)
	v_lshl_add_u32 v73, 0x100000, v62, -1
	v_lshrrev_b32_e32 v75, v62, v59
	v_lshlrev_b32_e64 v77, v62, 0x80000
	s_delay_alu instid0(VALU_DEP_4) | instskip(NEXT) | instid1(VALU_DEP_4)
	v_add_nc_u32_e32 v62, v62, v47
	v_and_b32_e32 v59, v73, v59
	s_delay_alu instid0(VALU_DEP_4) | instskip(NEXT) | instid1(VALU_DEP_2)
	v_bfe_u32 v76, v75, 20, 1
	v_cmp_eq_u32_e64 s13, v59, v77
	s_delay_alu instid0(VALU_DEP_2) | instskip(NEXT) | instid1(VALU_DEP_1)
	v_add_nc_u32_e32 v73, -1, v76
	v_cndmask_b32_e64 v59, 0, v73, s13
	v_lshrrev_b32_e32 v73, 23, v75
	s_mov_b32 s13, exec_lo
	s_delay_alu instid0(VALU_DEP_2) | instskip(NEXT) | instid1(VALU_DEP_2)
	v_add_nc_u32_e32 v59, v59, v75
	v_xor_b32_e32 v73, 1, v73
	s_delay_alu instid0(VALU_DEP_2) | instskip(NEXT) | instid1(VALU_DEP_1)
	v_and_b32_e32 v47, 0xfffff, v59
	v_add_nc_u32_e32 v59, v47, v75
                                        ; implicit-def: $vgpr47
	s_delay_alu instid0(VALU_DEP_3)
	v_cmpx_ne_u32_e64 v62, v73
	s_xor_b32 s13, exec_lo, s13
; %bb.5615:                             ;   in Loop: Header=BB6_5300 Depth=3
	s_delay_alu instid0(VALU_DEP_2) | instskip(SKIP_2) | instid1(VALU_DEP_2)
	v_cmp_lt_u32_e32 vcc_lo, 0xffffff, v59
	v_sub_nc_u32_e32 v47, v62, v73
	v_cndmask_b32_e64 v62, 0, 1, vcc_lo
	v_add_co_ci_u32_e32 v47, vcc_lo, 0, v47, vcc_lo
	s_delay_alu instid0(VALU_DEP_2)
	v_lshrrev_b32_e32 v59, v62, v59
; %bb.5616:                             ;   in Loop: Header=BB6_5300 Depth=3
	s_and_not1_saveexec_b32 s13, s13
; %bb.5617:                             ;   in Loop: Header=BB6_5300 Depth=3
	s_delay_alu instid0(VALU_DEP_1)
	v_bfe_u32 v47, v59, 23, 1
; %bb.5618:                             ;   in Loop: Header=BB6_5300 Depth=3
	s_or_b32 exec_lo, exec_lo, s13
	v_lshrrev_b32_e32 v59, 20, v59
	s_delay_alu instid0(VALU_DEP_2) | instskip(SKIP_2) | instid1(VALU_DEP_2)
	v_cmp_gt_i32_e32 vcc_lo, 16, v47
	v_lshrrev_b32_e32 v56, 24, v56
	v_min_i32_e32 v62, 15, v47
	v_dual_cndmask_b32 v59, 7, v59 :: v_dual_and_b32 v56, 0x80, v56
	s_delay_alu instid0(VALU_DEP_1) | instskip(SKIP_1) | instid1(VALU_DEP_2)
	v_or_b32_e32 v47, v47, v59
	v_and_b32_e32 v73, 7, v59
	v_cmp_ne_u32_e32 vcc_lo, 0, v47
	v_lshlrev_b32_e32 v62, 3, v62
	s_delay_alu instid0(VALU_DEP_1) | instskip(NEXT) | instid1(VALU_DEP_1)
	v_or3_b32 v56, v62, v56, v73
	v_cndmask_b32_e32 v47, 0, v56, vcc_lo
.LBB6_5619:                             ;   in Loop: Header=BB6_5300 Depth=3
	s_or_b32 exec_lo, exec_lo, s30
.LBB6_5620:                             ;   in Loop: Header=BB6_5300 Depth=3
	s_delay_alu instid0(SALU_CYCLE_1) | instskip(SKIP_3) | instid1(VALU_DEP_1)
	s_or_b32 exec_lo, exec_lo, s17
	v_and_b32_e32 v59, 0xff, v45
	s_mov_b32 s13, 0
	s_mov_b32 s30, exec_lo
                                        ; implicit-def: $sgpr17
	v_cmpx_lt_i16_e32 0x7f, v59
	s_xor_b32 s30, exec_lo, s30
	s_cbranch_execnz .LBB6_5970
; %bb.5621:                             ;   in Loop: Header=BB6_5300 Depth=3
	s_or_saveexec_b32 s30, s30
	v_mov_b32_e32 v56, s17
	s_xor_b32 exec_lo, exec_lo, s30
	s_cbranch_execnz .LBB6_5973
.LBB6_5622:                             ;   in Loop: Header=BB6_5300 Depth=3
	s_or_b32 exec_lo, exec_lo, s30
	s_and_saveexec_b32 s17, s13
	s_cbranch_execz .LBB6_5624
.LBB6_5623:                             ;   in Loop: Header=BB6_5300 Depth=3
	v_lshrrev_b16 v73, 3, v45
	s_delay_alu instid0(VALU_DEP_1) | instskip(NEXT) | instid1(VALU_DEP_1)
	v_and_b32_e32 v73, 15, v73
	v_cmp_eq_u32_e32 vcc_lo, 0, v73
	v_and_b32_e32 v56, 7, v45
	s_delay_alu instid0(VALU_DEP_1) | instskip(NEXT) | instid1(VALU_DEP_1)
	v_clz_i32_u32_e32 v59, v56
	v_min_u32_e32 v59, 32, v59
	s_delay_alu instid0(VALU_DEP_1) | instskip(SKIP_1) | instid1(VALU_DEP_1)
	v_subrev_nc_u32_e32 v62, 28, v59
	v_sub_nc_u32_e32 v59, 29, v59
	v_dual_cndmask_b32 v59, v73, v59 :: v_dual_lshlrev_b32 v62, v62, v45
	v_lshlrev_b32_e32 v45, 24, v45
	s_delay_alu instid0(VALU_DEP_2) | instskip(NEXT) | instid1(VALU_DEP_3)
	v_and_b32_e32 v62, 7, v62
	v_lshl_add_u32 v59, v59, 23, 0x3b800000
	s_delay_alu instid0(VALU_DEP_2) | instskip(NEXT) | instid1(VALU_DEP_1)
	v_dual_cndmask_b32 v56, v56, v62 :: v_dual_and_b32 v45, 0x80000000, v45
	v_lshlrev_b32_e32 v56, 20, v56
	s_delay_alu instid0(VALU_DEP_1)
	v_or3_b32 v56, v45, v59, v56
.LBB6_5624:                             ;   in Loop: Header=BB6_5300 Depth=3
	s_or_b32 exec_lo, exec_lo, s17
	s_waitcnt vmcnt(11) lgkmcnt(11)
	v_and_b32_e32 v59, 0xff, v44
	s_mov_b32 s13, 0
	s_mov_b32 s30, exec_lo
                                        ; implicit-def: $sgpr17
	s_delay_alu instid0(VALU_DEP_1)
	v_cmpx_lt_i16_e32 0x7f, v59
	s_xor_b32 s30, exec_lo, s30
	s_cbranch_execnz .LBB6_5974
; %bb.5625:                             ;   in Loop: Header=BB6_5300 Depth=3
	s_or_saveexec_b32 s30, s30
	v_mov_b32_e32 v45, s17
	s_xor_b32 exec_lo, exec_lo, s30
	s_cbranch_execnz .LBB6_5977
.LBB6_5626:                             ;   in Loop: Header=BB6_5300 Depth=3
	s_or_b32 exec_lo, exec_lo, s30
	s_and_saveexec_b32 s17, s13
	s_cbranch_execz .LBB6_5628
.LBB6_5627:                             ;   in Loop: Header=BB6_5300 Depth=3
	v_and_b32_e32 v45, 7, v44
	v_lshrrev_b16 v73, 3, v44
	s_delay_alu instid0(VALU_DEP_2) | instskip(NEXT) | instid1(VALU_DEP_2)
	v_clz_i32_u32_e32 v59, v45
	v_and_b32_e32 v73, 15, v73
	s_delay_alu instid0(VALU_DEP_2) | instskip(NEXT) | instid1(VALU_DEP_2)
	v_min_u32_e32 v59, 32, v59
	v_cmp_eq_u32_e32 vcc_lo, 0, v73
	s_delay_alu instid0(VALU_DEP_2) | instskip(SKIP_1) | instid1(VALU_DEP_1)
	v_subrev_nc_u32_e32 v62, 28, v59
	v_sub_nc_u32_e32 v59, 29, v59
	v_dual_cndmask_b32 v59, v73, v59 :: v_dual_lshlrev_b32 v62, v62, v44
	s_delay_alu instid0(VALU_DEP_1) | instskip(SKIP_1) | instid1(VALU_DEP_3)
	v_and_b32_e32 v62, 7, v62
	v_lshlrev_b32_e32 v44, 24, v44
	v_lshl_add_u32 v59, v59, 23, 0x3b800000
	s_delay_alu instid0(VALU_DEP_2) | instskip(NEXT) | instid1(VALU_DEP_1)
	v_dual_cndmask_b32 v45, v45, v62 :: v_dual_and_b32 v44, 0x80000000, v44
	v_lshlrev_b32_e32 v45, 20, v45
	s_delay_alu instid0(VALU_DEP_1)
	v_or3_b32 v45, v44, v59, v45
.LBB6_5628:                             ;   in Loop: Header=BB6_5300 Depth=3
	s_or_b32 exec_lo, exec_lo, s17
	s_delay_alu instid0(VALU_DEP_1) | instskip(NEXT) | instid1(VALU_DEP_1)
	v_add_f32_e32 v45, v56, v45
	v_and_b32_e32 v44, 0x7f800000, v45
	s_delay_alu instid0(VALU_DEP_1)
	v_cmp_ne_u32_e32 vcc_lo, 0x7f800000, v44
	v_mov_b32_e32 v44, 0x80
	s_and_saveexec_b32 s17, vcc_lo
	s_cbranch_execz .LBB6_5636
; %bb.5629:                             ;   in Loop: Header=BB6_5300 Depth=3
	v_mov_b32_e32 v44, 0
	s_mov_b32 s30, exec_lo
	v_cmpx_ne_u32_e32 0, v45
	s_cbranch_execz .LBB6_5635
; %bb.5630:                             ;   in Loop: Header=BB6_5300 Depth=3
	v_bfe_u32 v44, v45, 23, 8
	s_delay_alu instid0(VALU_DEP_1) | instskip(SKIP_1) | instid1(VALU_DEP_2)
	v_sub_nc_u32_e32 v59, 0x78, v44
	v_cmp_gt_u32_e32 vcc_lo, 0x79, v44
	v_dual_cndmask_b32 v59, 0, v59 :: v_dual_and_b32 v56, 0x7fffff, v45
	s_delay_alu instid0(VALU_DEP_1) | instskip(SKIP_2) | instid1(VALU_DEP_4)
	v_or_b32_e32 v62, 0x800000, v56
	v_cmp_eq_u32_e32 vcc_lo, 0, v44
	v_add_nc_u32_e32 v44, 0xffffff89, v44
	v_cndmask_b32_e64 v59, v59, 0x77, vcc_lo
	s_delay_alu instid0(VALU_DEP_4) | instskip(NEXT) | instid1(VALU_DEP_3)
	v_cndmask_b32_e32 v56, v62, v56, vcc_lo
	v_cndmask_b32_e64 v44, v44, 0xffffff8a, vcc_lo
	s_delay_alu instid0(VALU_DEP_3) | instskip(NEXT) | instid1(VALU_DEP_3)
	v_lshl_add_u32 v62, 0x100000, v59, -1
	v_lshrrev_b32_e32 v73, v59, v56
	v_lshlrev_b32_e64 v76, v59, 0x80000
	s_delay_alu instid0(VALU_DEP_4) | instskip(NEXT) | instid1(VALU_DEP_4)
	v_add_nc_u32_e32 v59, v59, v44
	v_and_b32_e32 v56, v62, v56
	s_delay_alu instid0(VALU_DEP_4) | instskip(NEXT) | instid1(VALU_DEP_2)
	v_bfe_u32 v75, v73, 20, 1
	v_cmp_eq_u32_e64 s13, v56, v76
	s_delay_alu instid0(VALU_DEP_2) | instskip(NEXT) | instid1(VALU_DEP_1)
	v_add_nc_u32_e32 v62, -1, v75
	v_cndmask_b32_e64 v56, 0, v62, s13
	v_lshrrev_b32_e32 v62, 23, v73
	s_mov_b32 s13, exec_lo
	s_delay_alu instid0(VALU_DEP_2) | instskip(NEXT) | instid1(VALU_DEP_2)
	v_add_nc_u32_e32 v56, v56, v73
	v_xor_b32_e32 v62, 1, v62
	s_delay_alu instid0(VALU_DEP_2) | instskip(NEXT) | instid1(VALU_DEP_1)
	v_and_b32_e32 v44, 0xfffff, v56
	v_add_nc_u32_e32 v56, v44, v73
                                        ; implicit-def: $vgpr44
	s_delay_alu instid0(VALU_DEP_3)
	v_cmpx_ne_u32_e64 v59, v62
	s_xor_b32 s13, exec_lo, s13
; %bb.5631:                             ;   in Loop: Header=BB6_5300 Depth=3
	s_delay_alu instid0(VALU_DEP_2) | instskip(SKIP_2) | instid1(VALU_DEP_2)
	v_cmp_lt_u32_e32 vcc_lo, 0xffffff, v56
	v_sub_nc_u32_e32 v44, v59, v62
	v_cndmask_b32_e64 v59, 0, 1, vcc_lo
	v_add_co_ci_u32_e32 v44, vcc_lo, 0, v44, vcc_lo
	s_delay_alu instid0(VALU_DEP_2)
	v_lshrrev_b32_e32 v56, v59, v56
; %bb.5632:                             ;   in Loop: Header=BB6_5300 Depth=3
	s_and_not1_saveexec_b32 s13, s13
; %bb.5633:                             ;   in Loop: Header=BB6_5300 Depth=3
	s_delay_alu instid0(VALU_DEP_1)
	v_bfe_u32 v44, v56, 23, 1
; %bb.5634:                             ;   in Loop: Header=BB6_5300 Depth=3
	s_or_b32 exec_lo, exec_lo, s13
	v_lshrrev_b32_e32 v56, 20, v56
	s_delay_alu instid0(VALU_DEP_2) | instskip(SKIP_2) | instid1(VALU_DEP_2)
	v_cmp_gt_i32_e32 vcc_lo, 16, v44
	v_lshrrev_b32_e32 v45, 24, v45
	v_min_i32_e32 v59, 15, v44
	v_dual_cndmask_b32 v56, 7, v56 :: v_dual_and_b32 v45, 0x80, v45
	s_delay_alu instid0(VALU_DEP_1) | instskip(SKIP_1) | instid1(VALU_DEP_2)
	v_or_b32_e32 v44, v44, v56
	v_and_b32_e32 v62, 7, v56
	v_cmp_ne_u32_e32 vcc_lo, 0, v44
	v_lshlrev_b32_e32 v59, 3, v59
	s_delay_alu instid0(VALU_DEP_1) | instskip(NEXT) | instid1(VALU_DEP_1)
	v_or3_b32 v45, v59, v45, v62
	v_cndmask_b32_e32 v44, 0, v45, vcc_lo
.LBB6_5635:                             ;   in Loop: Header=BB6_5300 Depth=3
	s_or_b32 exec_lo, exec_lo, s30
.LBB6_5636:                             ;   in Loop: Header=BB6_5300 Depth=3
	s_delay_alu instid0(SALU_CYCLE_1) | instskip(SKIP_3) | instid1(VALU_DEP_1)
	s_or_b32 exec_lo, exec_lo, s17
	v_and_b32_e32 v56, 0xff, v42
	s_mov_b32 s13, 0
	s_mov_b32 s30, exec_lo
                                        ; implicit-def: $sgpr17
	v_cmpx_lt_i16_e32 0x7f, v56
	s_xor_b32 s30, exec_lo, s30
	s_cbranch_execnz .LBB6_5978
; %bb.5637:                             ;   in Loop: Header=BB6_5300 Depth=3
	s_or_saveexec_b32 s30, s30
	v_mov_b32_e32 v45, s17
	s_xor_b32 exec_lo, exec_lo, s30
	s_cbranch_execnz .LBB6_5981
.LBB6_5638:                             ;   in Loop: Header=BB6_5300 Depth=3
	s_or_b32 exec_lo, exec_lo, s30
	s_and_saveexec_b32 s17, s13
	s_cbranch_execz .LBB6_5640
.LBB6_5639:                             ;   in Loop: Header=BB6_5300 Depth=3
	v_lshrrev_b16 v62, 3, v42
	s_delay_alu instid0(VALU_DEP_1) | instskip(NEXT) | instid1(VALU_DEP_1)
	v_and_b32_e32 v62, 15, v62
	v_cmp_eq_u32_e32 vcc_lo, 0, v62
	v_and_b32_e32 v45, 7, v42
	s_delay_alu instid0(VALU_DEP_1) | instskip(NEXT) | instid1(VALU_DEP_1)
	v_clz_i32_u32_e32 v56, v45
	v_min_u32_e32 v56, 32, v56
	s_delay_alu instid0(VALU_DEP_1) | instskip(SKIP_1) | instid1(VALU_DEP_1)
	v_subrev_nc_u32_e32 v59, 28, v56
	v_sub_nc_u32_e32 v56, 29, v56
	v_dual_cndmask_b32 v56, v62, v56 :: v_dual_lshlrev_b32 v59, v59, v42
	v_lshlrev_b32_e32 v42, 24, v42
	s_delay_alu instid0(VALU_DEP_2) | instskip(NEXT) | instid1(VALU_DEP_3)
	v_and_b32_e32 v59, 7, v59
	v_lshl_add_u32 v56, v56, 23, 0x3b800000
	s_delay_alu instid0(VALU_DEP_2) | instskip(NEXT) | instid1(VALU_DEP_1)
	v_dual_cndmask_b32 v45, v45, v59 :: v_dual_and_b32 v42, 0x80000000, v42
	v_lshlrev_b32_e32 v45, 20, v45
	s_delay_alu instid0(VALU_DEP_1)
	v_or3_b32 v45, v42, v56, v45
.LBB6_5640:                             ;   in Loop: Header=BB6_5300 Depth=3
	s_or_b32 exec_lo, exec_lo, s17
	s_waitcnt vmcnt(10) lgkmcnt(10)
	v_and_b32_e32 v56, 0xff, v41
	s_mov_b32 s13, 0
	s_mov_b32 s30, exec_lo
                                        ; implicit-def: $sgpr17
	s_delay_alu instid0(VALU_DEP_1)
	v_cmpx_lt_i16_e32 0x7f, v56
	s_xor_b32 s30, exec_lo, s30
	s_cbranch_execnz .LBB6_5982
; %bb.5641:                             ;   in Loop: Header=BB6_5300 Depth=3
	s_or_saveexec_b32 s30, s30
	v_mov_b32_e32 v42, s17
	s_xor_b32 exec_lo, exec_lo, s30
	s_cbranch_execnz .LBB6_5985
.LBB6_5642:                             ;   in Loop: Header=BB6_5300 Depth=3
	s_or_b32 exec_lo, exec_lo, s30
	s_and_saveexec_b32 s17, s13
	s_cbranch_execz .LBB6_5644
.LBB6_5643:                             ;   in Loop: Header=BB6_5300 Depth=3
	v_and_b32_e32 v42, 7, v41
	v_lshrrev_b16 v62, 3, v41
	s_delay_alu instid0(VALU_DEP_2) | instskip(NEXT) | instid1(VALU_DEP_2)
	v_clz_i32_u32_e32 v56, v42
	v_and_b32_e32 v62, 15, v62
	s_delay_alu instid0(VALU_DEP_2) | instskip(NEXT) | instid1(VALU_DEP_2)
	v_min_u32_e32 v56, 32, v56
	v_cmp_eq_u32_e32 vcc_lo, 0, v62
	s_delay_alu instid0(VALU_DEP_2) | instskip(SKIP_1) | instid1(VALU_DEP_1)
	v_subrev_nc_u32_e32 v59, 28, v56
	v_sub_nc_u32_e32 v56, 29, v56
	v_dual_cndmask_b32 v56, v62, v56 :: v_dual_lshlrev_b32 v59, v59, v41
	s_delay_alu instid0(VALU_DEP_1) | instskip(SKIP_1) | instid1(VALU_DEP_3)
	v_and_b32_e32 v59, 7, v59
	v_lshlrev_b32_e32 v41, 24, v41
	v_lshl_add_u32 v56, v56, 23, 0x3b800000
	s_delay_alu instid0(VALU_DEP_2) | instskip(NEXT) | instid1(VALU_DEP_1)
	v_dual_cndmask_b32 v42, v42, v59 :: v_dual_and_b32 v41, 0x80000000, v41
	v_lshlrev_b32_e32 v42, 20, v42
	s_delay_alu instid0(VALU_DEP_1)
	v_or3_b32 v42, v41, v56, v42
.LBB6_5644:                             ;   in Loop: Header=BB6_5300 Depth=3
	s_or_b32 exec_lo, exec_lo, s17
	s_delay_alu instid0(VALU_DEP_1) | instskip(NEXT) | instid1(VALU_DEP_1)
	v_add_f32_e32 v42, v45, v42
	v_and_b32_e32 v41, 0x7f800000, v42
	s_delay_alu instid0(VALU_DEP_1)
	v_cmp_ne_u32_e32 vcc_lo, 0x7f800000, v41
	v_mov_b32_e32 v41, 0x80
	s_and_saveexec_b32 s17, vcc_lo
	s_cbranch_execz .LBB6_5652
; %bb.5645:                             ;   in Loop: Header=BB6_5300 Depth=3
	v_mov_b32_e32 v41, 0
	s_mov_b32 s30, exec_lo
	v_cmpx_ne_u32_e32 0, v42
	s_cbranch_execz .LBB6_5651
; %bb.5646:                             ;   in Loop: Header=BB6_5300 Depth=3
	v_bfe_u32 v41, v42, 23, 8
	s_delay_alu instid0(VALU_DEP_1) | instskip(SKIP_1) | instid1(VALU_DEP_2)
	v_sub_nc_u32_e32 v56, 0x78, v41
	v_cmp_gt_u32_e32 vcc_lo, 0x79, v41
	v_dual_cndmask_b32 v56, 0, v56 :: v_dual_and_b32 v45, 0x7fffff, v42
	s_delay_alu instid0(VALU_DEP_1) | instskip(SKIP_2) | instid1(VALU_DEP_4)
	v_or_b32_e32 v59, 0x800000, v45
	v_cmp_eq_u32_e32 vcc_lo, 0, v41
	v_add_nc_u32_e32 v41, 0xffffff89, v41
	v_cndmask_b32_e64 v56, v56, 0x77, vcc_lo
	s_delay_alu instid0(VALU_DEP_4) | instskip(NEXT) | instid1(VALU_DEP_3)
	v_cndmask_b32_e32 v45, v59, v45, vcc_lo
	v_cndmask_b32_e64 v41, v41, 0xffffff8a, vcc_lo
	s_delay_alu instid0(VALU_DEP_3) | instskip(NEXT) | instid1(VALU_DEP_3)
	v_lshl_add_u32 v59, 0x100000, v56, -1
	v_lshrrev_b32_e32 v62, v56, v45
	v_lshlrev_b32_e64 v75, v56, 0x80000
	s_delay_alu instid0(VALU_DEP_4) | instskip(NEXT) | instid1(VALU_DEP_4)
	v_add_nc_u32_e32 v56, v56, v41
	v_and_b32_e32 v45, v59, v45
	s_delay_alu instid0(VALU_DEP_4) | instskip(NEXT) | instid1(VALU_DEP_2)
	v_bfe_u32 v73, v62, 20, 1
	v_cmp_eq_u32_e64 s13, v45, v75
	s_delay_alu instid0(VALU_DEP_2) | instskip(NEXT) | instid1(VALU_DEP_1)
	v_add_nc_u32_e32 v59, -1, v73
	v_cndmask_b32_e64 v45, 0, v59, s13
	v_lshrrev_b32_e32 v59, 23, v62
	s_mov_b32 s13, exec_lo
	s_delay_alu instid0(VALU_DEP_2) | instskip(NEXT) | instid1(VALU_DEP_2)
	v_add_nc_u32_e32 v45, v45, v62
	v_xor_b32_e32 v59, 1, v59
	s_delay_alu instid0(VALU_DEP_2) | instskip(NEXT) | instid1(VALU_DEP_1)
	v_and_b32_e32 v41, 0xfffff, v45
	v_add_nc_u32_e32 v45, v41, v62
                                        ; implicit-def: $vgpr41
	s_delay_alu instid0(VALU_DEP_3)
	v_cmpx_ne_u32_e64 v56, v59
	s_xor_b32 s13, exec_lo, s13
; %bb.5647:                             ;   in Loop: Header=BB6_5300 Depth=3
	s_delay_alu instid0(VALU_DEP_2) | instskip(SKIP_2) | instid1(VALU_DEP_2)
	v_cmp_lt_u32_e32 vcc_lo, 0xffffff, v45
	v_sub_nc_u32_e32 v41, v56, v59
	v_cndmask_b32_e64 v56, 0, 1, vcc_lo
	v_add_co_ci_u32_e32 v41, vcc_lo, 0, v41, vcc_lo
	s_delay_alu instid0(VALU_DEP_2)
	v_lshrrev_b32_e32 v45, v56, v45
; %bb.5648:                             ;   in Loop: Header=BB6_5300 Depth=3
	s_and_not1_saveexec_b32 s13, s13
; %bb.5649:                             ;   in Loop: Header=BB6_5300 Depth=3
	s_delay_alu instid0(VALU_DEP_1)
	v_bfe_u32 v41, v45, 23, 1
; %bb.5650:                             ;   in Loop: Header=BB6_5300 Depth=3
	s_or_b32 exec_lo, exec_lo, s13
	v_lshrrev_b32_e32 v45, 20, v45
	s_delay_alu instid0(VALU_DEP_2) | instskip(SKIP_2) | instid1(VALU_DEP_2)
	v_cmp_gt_i32_e32 vcc_lo, 16, v41
	v_lshrrev_b32_e32 v42, 24, v42
	v_min_i32_e32 v56, 15, v41
	v_dual_cndmask_b32 v45, 7, v45 :: v_dual_and_b32 v42, 0x80, v42
	s_delay_alu instid0(VALU_DEP_1) | instskip(SKIP_1) | instid1(VALU_DEP_2)
	v_or_b32_e32 v41, v41, v45
	v_and_b32_e32 v59, 7, v45
	v_cmp_ne_u32_e32 vcc_lo, 0, v41
	v_lshlrev_b32_e32 v56, 3, v56
	s_delay_alu instid0(VALU_DEP_1) | instskip(NEXT) | instid1(VALU_DEP_1)
	v_or3_b32 v42, v56, v42, v59
	v_cndmask_b32_e32 v41, 0, v42, vcc_lo
.LBB6_5651:                             ;   in Loop: Header=BB6_5300 Depth=3
	s_or_b32 exec_lo, exec_lo, s30
.LBB6_5652:                             ;   in Loop: Header=BB6_5300 Depth=3
	s_delay_alu instid0(SALU_CYCLE_1) | instskip(SKIP_3) | instid1(VALU_DEP_1)
	s_or_b32 exec_lo, exec_lo, s17
	v_and_b32_e32 v45, 0xff, v183
	s_mov_b32 s13, 0
	s_mov_b32 s30, exec_lo
                                        ; implicit-def: $sgpr17
	v_cmpx_lt_i16_e32 0x7f, v45
	s_xor_b32 s30, exec_lo, s30
	s_cbranch_execnz .LBB6_5986
; %bb.5653:                             ;   in Loop: Header=BB6_5300 Depth=3
	s_or_saveexec_b32 s30, s30
	v_mov_b32_e32 v42, s17
	s_xor_b32 exec_lo, exec_lo, s30
	s_cbranch_execnz .LBB6_5989
.LBB6_5654:                             ;   in Loop: Header=BB6_5300 Depth=3
	s_or_b32 exec_lo, exec_lo, s30
	s_and_saveexec_b32 s17, s13
	s_cbranch_execz .LBB6_5656
.LBB6_5655:                             ;   in Loop: Header=BB6_5300 Depth=3
	v_lshrrev_b16 v59, 3, v183
	s_delay_alu instid0(VALU_DEP_1) | instskip(NEXT) | instid1(VALU_DEP_1)
	v_and_b32_e32 v59, 15, v59
	v_cmp_eq_u32_e32 vcc_lo, 0, v59
	v_and_b32_e32 v42, 7, v183
	s_delay_alu instid0(VALU_DEP_1) | instskip(NEXT) | instid1(VALU_DEP_1)
	v_clz_i32_u32_e32 v45, v42
	v_min_u32_e32 v45, 32, v45
	s_delay_alu instid0(VALU_DEP_1) | instskip(SKIP_1) | instid1(VALU_DEP_1)
	v_subrev_nc_u32_e32 v56, 28, v45
	v_sub_nc_u32_e32 v45, 29, v45
	v_dual_cndmask_b32 v45, v59, v45 :: v_dual_lshlrev_b32 v56, v56, v183
	v_lshlrev_b32_e32 v183, 24, v183
	s_delay_alu instid0(VALU_DEP_2) | instskip(NEXT) | instid1(VALU_DEP_3)
	v_and_b32_e32 v56, 7, v56
	v_lshl_add_u32 v45, v45, 23, 0x3b800000
	s_delay_alu instid0(VALU_DEP_2) | instskip(NEXT) | instid1(VALU_DEP_1)
	v_dual_cndmask_b32 v42, v42, v56 :: v_dual_and_b32 v183, 0x80000000, v183
	v_lshlrev_b32_e32 v42, 20, v42
	s_delay_alu instid0(VALU_DEP_1)
	v_or3_b32 v42, v183, v45, v42
.LBB6_5656:                             ;   in Loop: Header=BB6_5300 Depth=3
	s_or_b32 exec_lo, exec_lo, s17
	s_waitcnt vmcnt(9) lgkmcnt(9)
	v_and_b32_e32 v45, 0xff, v117
	s_mov_b32 s13, 0
	s_mov_b32 s30, exec_lo
                                        ; implicit-def: $sgpr17
	s_delay_alu instid0(VALU_DEP_1)
	v_cmpx_lt_i16_e32 0x7f, v45
	s_xor_b32 s30, exec_lo, s30
	s_cbranch_execnz .LBB6_5990
; %bb.5657:                             ;   in Loop: Header=BB6_5300 Depth=3
	s_or_saveexec_b32 s30, s30
	v_mov_b32_e32 v183, s17
	s_xor_b32 exec_lo, exec_lo, s30
	s_cbranch_execnz .LBB6_5993
.LBB6_5658:                             ;   in Loop: Header=BB6_5300 Depth=3
	s_or_b32 exec_lo, exec_lo, s30
	s_and_saveexec_b32 s17, s13
	s_cbranch_execz .LBB6_5660
.LBB6_5659:                             ;   in Loop: Header=BB6_5300 Depth=3
	v_and_b32_e32 v183, 7, v117
	v_lshrrev_b16 v59, 3, v117
	s_delay_alu instid0(VALU_DEP_2) | instskip(NEXT) | instid1(VALU_DEP_2)
	v_clz_i32_u32_e32 v45, v183
	v_and_b32_e32 v59, 15, v59
	s_delay_alu instid0(VALU_DEP_2) | instskip(NEXT) | instid1(VALU_DEP_2)
	v_min_u32_e32 v45, 32, v45
	v_cmp_eq_u32_e32 vcc_lo, 0, v59
	s_delay_alu instid0(VALU_DEP_2) | instskip(SKIP_1) | instid1(VALU_DEP_2)
	v_subrev_nc_u32_e32 v56, 28, v45
	v_sub_nc_u32_e32 v45, 29, v45
	v_lshlrev_b32_e32 v56, v56, v117
	v_lshlrev_b32_e32 v117, 24, v117
	s_delay_alu instid0(VALU_DEP_2) | instskip(NEXT) | instid1(VALU_DEP_2)
	v_dual_cndmask_b32 v45, v59, v45 :: v_dual_and_b32 v56, 7, v56
	v_and_b32_e32 v117, 0x80000000, v117
	s_delay_alu instid0(VALU_DEP_2) | instskip(NEXT) | instid1(VALU_DEP_3)
	v_lshl_add_u32 v45, v45, 23, 0x3b800000
	v_cndmask_b32_e32 v183, v183, v56, vcc_lo
	s_delay_alu instid0(VALU_DEP_1) | instskip(NEXT) | instid1(VALU_DEP_1)
	v_lshlrev_b32_e32 v183, 20, v183
	v_or3_b32 v183, v117, v45, v183
.LBB6_5660:                             ;   in Loop: Header=BB6_5300 Depth=3
	s_or_b32 exec_lo, exec_lo, s17
	s_delay_alu instid0(VALU_DEP_1) | instskip(NEXT) | instid1(VALU_DEP_1)
	v_add_f32_e32 v183, v42, v183
	v_and_b32_e32 v117, 0x7f800000, v183
	s_delay_alu instid0(VALU_DEP_1)
	v_cmp_ne_u32_e32 vcc_lo, 0x7f800000, v117
	v_mov_b32_e32 v117, 0x80
	s_and_saveexec_b32 s17, vcc_lo
	s_cbranch_execz .LBB6_5668
; %bb.5661:                             ;   in Loop: Header=BB6_5300 Depth=3
	v_mov_b32_e32 v117, 0
	s_mov_b32 s30, exec_lo
	v_cmpx_ne_u32_e32 0, v183
	s_cbranch_execz .LBB6_5667
; %bb.5662:                             ;   in Loop: Header=BB6_5300 Depth=3
	v_bfe_u32 v117, v183, 23, 8
	s_delay_alu instid0(VALU_DEP_1) | instskip(SKIP_1) | instid1(VALU_DEP_2)
	v_sub_nc_u32_e32 v45, 0x78, v117
	v_cmp_gt_u32_e32 vcc_lo, 0x79, v117
	v_dual_cndmask_b32 v45, 0, v45 :: v_dual_and_b32 v42, 0x7fffff, v183
	s_delay_alu instid0(VALU_DEP_1) | instskip(SKIP_2) | instid1(VALU_DEP_4)
	v_or_b32_e32 v56, 0x800000, v42
	v_cmp_eq_u32_e32 vcc_lo, 0, v117
	v_add_nc_u32_e32 v117, 0xffffff89, v117
	v_cndmask_b32_e64 v45, v45, 0x77, vcc_lo
	s_delay_alu instid0(VALU_DEP_4) | instskip(NEXT) | instid1(VALU_DEP_3)
	v_cndmask_b32_e32 v42, v56, v42, vcc_lo
	v_cndmask_b32_e64 v117, v117, 0xffffff8a, vcc_lo
	s_delay_alu instid0(VALU_DEP_3) | instskip(NEXT) | instid1(VALU_DEP_3)
	v_lshl_add_u32 v56, 0x100000, v45, -1
	v_lshrrev_b32_e32 v59, v45, v42
	v_lshlrev_b32_e64 v73, v45, 0x80000
	s_delay_alu instid0(VALU_DEP_4) | instskip(NEXT) | instid1(VALU_DEP_4)
	v_add_nc_u32_e32 v45, v45, v117
	v_and_b32_e32 v42, v56, v42
	s_delay_alu instid0(VALU_DEP_4) | instskip(NEXT) | instid1(VALU_DEP_2)
	v_bfe_u32 v62, v59, 20, 1
	v_cmp_eq_u32_e64 s13, v42, v73
	s_delay_alu instid0(VALU_DEP_2) | instskip(NEXT) | instid1(VALU_DEP_1)
	v_add_nc_u32_e32 v56, -1, v62
	v_cndmask_b32_e64 v42, 0, v56, s13
	v_lshrrev_b32_e32 v56, 23, v59
	s_mov_b32 s13, exec_lo
	s_delay_alu instid0(VALU_DEP_2) | instskip(NEXT) | instid1(VALU_DEP_2)
	v_add_nc_u32_e32 v42, v42, v59
	v_xor_b32_e32 v56, 1, v56
	s_delay_alu instid0(VALU_DEP_2) | instskip(NEXT) | instid1(VALU_DEP_1)
	v_and_b32_e32 v117, 0xfffff, v42
	v_add_nc_u32_e32 v42, v117, v59
                                        ; implicit-def: $vgpr117
	s_delay_alu instid0(VALU_DEP_3)
	v_cmpx_ne_u32_e64 v45, v56
	s_xor_b32 s13, exec_lo, s13
; %bb.5663:                             ;   in Loop: Header=BB6_5300 Depth=3
	s_delay_alu instid0(VALU_DEP_2) | instskip(SKIP_2) | instid1(VALU_DEP_2)
	v_cmp_lt_u32_e32 vcc_lo, 0xffffff, v42
	v_sub_nc_u32_e32 v117, v45, v56
	v_cndmask_b32_e64 v45, 0, 1, vcc_lo
	v_add_co_ci_u32_e32 v117, vcc_lo, 0, v117, vcc_lo
	s_delay_alu instid0(VALU_DEP_2)
	v_lshrrev_b32_e32 v42, v45, v42
; %bb.5664:                             ;   in Loop: Header=BB6_5300 Depth=3
	s_and_not1_saveexec_b32 s13, s13
; %bb.5665:                             ;   in Loop: Header=BB6_5300 Depth=3
	s_delay_alu instid0(VALU_DEP_1)
	v_bfe_u32 v117, v42, 23, 1
; %bb.5666:                             ;   in Loop: Header=BB6_5300 Depth=3
	s_or_b32 exec_lo, exec_lo, s13
	v_lshrrev_b32_e32 v42, 20, v42
	s_delay_alu instid0(VALU_DEP_2) | instskip(SKIP_2) | instid1(VALU_DEP_2)
	v_cmp_gt_i32_e32 vcc_lo, 16, v117
	v_lshrrev_b32_e32 v183, 24, v183
	v_min_i32_e32 v45, 15, v117
	v_dual_cndmask_b32 v42, 7, v42 :: v_dual_and_b32 v183, 0x80, v183
	s_delay_alu instid0(VALU_DEP_2) | instskip(NEXT) | instid1(VALU_DEP_2)
	v_lshlrev_b32_e32 v45, 3, v45
	v_or_b32_e32 v117, v117, v42
	s_delay_alu instid0(VALU_DEP_1) | instskip(SKIP_1) | instid1(VALU_DEP_1)
	v_cmp_ne_u32_e32 vcc_lo, 0, v117
	v_and_b32_e32 v56, 7, v42
	v_or3_b32 v183, v45, v183, v56
	s_delay_alu instid0(VALU_DEP_1)
	v_cndmask_b32_e32 v117, 0, v183, vcc_lo
.LBB6_5667:                             ;   in Loop: Header=BB6_5300 Depth=3
	s_or_b32 exec_lo, exec_lo, s30
.LBB6_5668:                             ;   in Loop: Header=BB6_5300 Depth=3
	s_delay_alu instid0(SALU_CYCLE_1) | instskip(SKIP_3) | instid1(VALU_DEP_1)
	s_or_b32 exec_lo, exec_lo, s17
	v_and_b32_e32 v42, 0xff, v115
	s_mov_b32 s13, 0
	s_mov_b32 s30, exec_lo
                                        ; implicit-def: $sgpr17
	v_cmpx_lt_i16_e32 0x7f, v42
	s_xor_b32 s30, exec_lo, s30
	s_cbranch_execnz .LBB6_5994
; %bb.5669:                             ;   in Loop: Header=BB6_5300 Depth=3
	s_or_saveexec_b32 s30, s30
	v_mov_b32_e32 v183, s17
	s_xor_b32 exec_lo, exec_lo, s30
	s_cbranch_execnz .LBB6_5997
.LBB6_5670:                             ;   in Loop: Header=BB6_5300 Depth=3
	s_or_b32 exec_lo, exec_lo, s30
	s_and_saveexec_b32 s17, s13
	s_cbranch_execz .LBB6_5672
.LBB6_5671:                             ;   in Loop: Header=BB6_5300 Depth=3
	v_lshrrev_b16 v56, 3, v115
	s_delay_alu instid0(VALU_DEP_1) | instskip(NEXT) | instid1(VALU_DEP_1)
	v_and_b32_e32 v56, 15, v56
	v_cmp_eq_u32_e32 vcc_lo, 0, v56
	v_and_b32_e32 v183, 7, v115
	s_delay_alu instid0(VALU_DEP_1) | instskip(NEXT) | instid1(VALU_DEP_1)
	v_clz_i32_u32_e32 v42, v183
	v_min_u32_e32 v42, 32, v42
	s_delay_alu instid0(VALU_DEP_1) | instskip(SKIP_1) | instid1(VALU_DEP_1)
	v_subrev_nc_u32_e32 v45, 28, v42
	v_sub_nc_u32_e32 v42, 29, v42
	v_dual_cndmask_b32 v42, v56, v42 :: v_dual_lshlrev_b32 v45, v45, v115
	v_lshlrev_b32_e32 v115, 24, v115
	s_delay_alu instid0(VALU_DEP_2) | instskip(NEXT) | instid1(VALU_DEP_3)
	v_and_b32_e32 v45, 7, v45
	v_lshl_add_u32 v42, v42, 23, 0x3b800000
	s_delay_alu instid0(VALU_DEP_3) | instskip(NEXT) | instid1(VALU_DEP_3)
	v_and_b32_e32 v115, 0x80000000, v115
	v_cndmask_b32_e32 v183, v183, v45, vcc_lo
	s_delay_alu instid0(VALU_DEP_1) | instskip(NEXT) | instid1(VALU_DEP_1)
	v_lshlrev_b32_e32 v183, 20, v183
	v_or3_b32 v183, v115, v42, v183
.LBB6_5672:                             ;   in Loop: Header=BB6_5300 Depth=3
	s_or_b32 exec_lo, exec_lo, s17
	s_waitcnt vmcnt(8) lgkmcnt(8)
	v_and_b32_e32 v42, 0xff, v114
	s_mov_b32 s13, 0
	s_mov_b32 s30, exec_lo
                                        ; implicit-def: $sgpr17
	s_delay_alu instid0(VALU_DEP_1)
	v_cmpx_lt_i16_e32 0x7f, v42
	s_xor_b32 s30, exec_lo, s30
	s_cbranch_execnz .LBB6_5998
; %bb.5673:                             ;   in Loop: Header=BB6_5300 Depth=3
	s_or_saveexec_b32 s30, s30
	v_mov_b32_e32 v115, s17
	s_xor_b32 exec_lo, exec_lo, s30
	s_cbranch_execnz .LBB6_6001
.LBB6_5674:                             ;   in Loop: Header=BB6_5300 Depth=3
	s_or_b32 exec_lo, exec_lo, s30
	s_and_saveexec_b32 s17, s13
	s_cbranch_execz .LBB6_5676
.LBB6_5675:                             ;   in Loop: Header=BB6_5300 Depth=3
	v_and_b32_e32 v115, 7, v114
	v_lshrrev_b16 v56, 3, v114
	s_delay_alu instid0(VALU_DEP_2) | instskip(NEXT) | instid1(VALU_DEP_1)
	v_clz_i32_u32_e32 v42, v115
	v_min_u32_e32 v42, 32, v42
	s_delay_alu instid0(VALU_DEP_1) | instskip(SKIP_1) | instid1(VALU_DEP_2)
	v_subrev_nc_u32_e32 v45, 28, v42
	v_sub_nc_u32_e32 v42, 29, v42
	v_lshlrev_b32_e32 v45, v45, v114
	v_lshlrev_b32_e32 v114, 24, v114
	s_delay_alu instid0(VALU_DEP_2) | instskip(SKIP_1) | instid1(VALU_DEP_3)
	v_and_b32_e32 v45, 7, v45
	v_and_b32_e32 v56, 15, v56
	;; [unrolled: 1-line block ×3, first 2 shown]
	s_delay_alu instid0(VALU_DEP_2) | instskip(NEXT) | instid1(VALU_DEP_4)
	v_cmp_eq_u32_e32 vcc_lo, 0, v56
	v_dual_cndmask_b32 v115, v115, v45 :: v_dual_cndmask_b32 v42, v56, v42
	s_delay_alu instid0(VALU_DEP_1) | instskip(NEXT) | instid1(VALU_DEP_2)
	v_lshlrev_b32_e32 v115, 20, v115
	v_lshl_add_u32 v42, v42, 23, 0x3b800000
	s_delay_alu instid0(VALU_DEP_1)
	v_or3_b32 v115, v114, v42, v115
.LBB6_5676:                             ;   in Loop: Header=BB6_5300 Depth=3
	s_or_b32 exec_lo, exec_lo, s17
	s_delay_alu instid0(VALU_DEP_1) | instskip(NEXT) | instid1(VALU_DEP_1)
	v_add_f32_e32 v115, v183, v115
	v_and_b32_e32 v114, 0x7f800000, v115
	s_delay_alu instid0(VALU_DEP_1)
	v_cmp_ne_u32_e32 vcc_lo, 0x7f800000, v114
	v_mov_b32_e32 v114, 0x80
	s_and_saveexec_b32 s17, vcc_lo
	s_cbranch_execz .LBB6_5684
; %bb.5677:                             ;   in Loop: Header=BB6_5300 Depth=3
	v_mov_b32_e32 v114, 0
	s_mov_b32 s30, exec_lo
	v_cmpx_ne_u32_e32 0, v115
	s_cbranch_execz .LBB6_5683
; %bb.5678:                             ;   in Loop: Header=BB6_5300 Depth=3
	v_bfe_u32 v114, v115, 23, 8
	s_delay_alu instid0(VALU_DEP_1) | instskip(SKIP_1) | instid1(VALU_DEP_2)
	v_sub_nc_u32_e32 v42, 0x78, v114
	v_cmp_gt_u32_e32 vcc_lo, 0x79, v114
	v_dual_cndmask_b32 v42, 0, v42 :: v_dual_and_b32 v183, 0x7fffff, v115
	s_delay_alu instid0(VALU_DEP_1) | instskip(SKIP_2) | instid1(VALU_DEP_4)
	v_or_b32_e32 v45, 0x800000, v183
	v_cmp_eq_u32_e32 vcc_lo, 0, v114
	v_add_nc_u32_e32 v114, 0xffffff89, v114
	v_cndmask_b32_e64 v42, v42, 0x77, vcc_lo
	s_delay_alu instid0(VALU_DEP_4) | instskip(NEXT) | instid1(VALU_DEP_3)
	v_cndmask_b32_e32 v183, v45, v183, vcc_lo
	v_cndmask_b32_e64 v114, v114, 0xffffff8a, vcc_lo
	s_delay_alu instid0(VALU_DEP_3) | instskip(NEXT) | instid1(VALU_DEP_3)
	v_lshl_add_u32 v45, 0x100000, v42, -1
	v_lshrrev_b32_e32 v56, v42, v183
	v_lshlrev_b32_e64 v62, v42, 0x80000
	s_delay_alu instid0(VALU_DEP_4) | instskip(NEXT) | instid1(VALU_DEP_4)
	v_add_nc_u32_e32 v42, v42, v114
	v_and_b32_e32 v183, v45, v183
	s_delay_alu instid0(VALU_DEP_4) | instskip(NEXT) | instid1(VALU_DEP_2)
	v_bfe_u32 v59, v56, 20, 1
	v_cmp_eq_u32_e64 s13, v183, v62
	s_delay_alu instid0(VALU_DEP_2) | instskip(NEXT) | instid1(VALU_DEP_1)
	v_add_nc_u32_e32 v45, -1, v59
	v_cndmask_b32_e64 v183, 0, v45, s13
	v_lshrrev_b32_e32 v45, 23, v56
	s_mov_b32 s13, exec_lo
	s_delay_alu instid0(VALU_DEP_2) | instskip(NEXT) | instid1(VALU_DEP_2)
	v_add_nc_u32_e32 v183, v183, v56
	v_xor_b32_e32 v45, 1, v45
	s_delay_alu instid0(VALU_DEP_2) | instskip(NEXT) | instid1(VALU_DEP_1)
	v_and_b32_e32 v114, 0xfffff, v183
	v_add_nc_u32_e32 v183, v114, v56
                                        ; implicit-def: $vgpr114
	s_delay_alu instid0(VALU_DEP_3)
	v_cmpx_ne_u32_e64 v42, v45
	s_xor_b32 s13, exec_lo, s13
; %bb.5679:                             ;   in Loop: Header=BB6_5300 Depth=3
	s_delay_alu instid0(VALU_DEP_2) | instskip(SKIP_2) | instid1(VALU_DEP_2)
	v_cmp_lt_u32_e32 vcc_lo, 0xffffff, v183
	v_sub_nc_u32_e32 v114, v42, v45
	v_cndmask_b32_e64 v42, 0, 1, vcc_lo
	v_add_co_ci_u32_e32 v114, vcc_lo, 0, v114, vcc_lo
	s_delay_alu instid0(VALU_DEP_2)
	v_lshrrev_b32_e32 v183, v42, v183
; %bb.5680:                             ;   in Loop: Header=BB6_5300 Depth=3
	s_and_not1_saveexec_b32 s13, s13
; %bb.5681:                             ;   in Loop: Header=BB6_5300 Depth=3
	s_delay_alu instid0(VALU_DEP_1)
	v_bfe_u32 v114, v183, 23, 1
; %bb.5682:                             ;   in Loop: Header=BB6_5300 Depth=3
	s_or_b32 exec_lo, exec_lo, s13
	v_lshrrev_b32_e32 v183, 20, v183
	s_delay_alu instid0(VALU_DEP_2) | instskip(SKIP_2) | instid1(VALU_DEP_4)
	v_cmp_gt_i32_e32 vcc_lo, 16, v114
	v_lshrrev_b32_e32 v115, 24, v115
	v_min_i32_e32 v42, 15, v114
	v_cndmask_b32_e32 v183, 7, v183, vcc_lo
	s_delay_alu instid0(VALU_DEP_3) | instskip(NEXT) | instid1(VALU_DEP_3)
	v_and_b32_e32 v115, 0x80, v115
	v_lshlrev_b32_e32 v42, 3, v42
	s_delay_alu instid0(VALU_DEP_3) | instskip(SKIP_1) | instid1(VALU_DEP_2)
	v_and_b32_e32 v45, 7, v183
	v_or_b32_e32 v114, v114, v183
	v_or3_b32 v115, v42, v115, v45
	s_delay_alu instid0(VALU_DEP_2) | instskip(NEXT) | instid1(VALU_DEP_2)
	v_cmp_ne_u32_e32 vcc_lo, 0, v114
	v_cndmask_b32_e32 v114, 0, v115, vcc_lo
.LBB6_5683:                             ;   in Loop: Header=BB6_5300 Depth=3
	s_or_b32 exec_lo, exec_lo, s30
.LBB6_5684:                             ;   in Loop: Header=BB6_5300 Depth=3
	s_delay_alu instid0(SALU_CYCLE_1) | instskip(SKIP_3) | instid1(VALU_DEP_1)
	s_or_b32 exec_lo, exec_lo, s17
	v_and_b32_e32 v183, 0xff, v112
	s_mov_b32 s13, 0
	s_mov_b32 s30, exec_lo
                                        ; implicit-def: $sgpr17
	v_cmpx_lt_i16_e64 0x7f, v183
	s_xor_b32 s30, exec_lo, s30
	s_cbranch_execnz .LBB6_6002
; %bb.5685:                             ;   in Loop: Header=BB6_5300 Depth=3
	s_or_saveexec_b32 s30, s30
	v_mov_b32_e32 v115, s17
	s_xor_b32 exec_lo, exec_lo, s30
	s_cbranch_execnz .LBB6_6005
.LBB6_5686:                             ;   in Loop: Header=BB6_5300 Depth=3
	s_or_b32 exec_lo, exec_lo, s30
	s_and_saveexec_b32 s17, s13
	s_cbranch_execz .LBB6_5688
.LBB6_5687:                             ;   in Loop: Header=BB6_5300 Depth=3
	v_and_b32_e32 v115, 7, v112
	v_lshrrev_b16 v45, 3, v112
	s_delay_alu instid0(VALU_DEP_2) | instskip(NEXT) | instid1(VALU_DEP_2)
	v_clz_i32_u32_e32 v183, v115
	v_and_b32_e32 v45, 15, v45
	s_delay_alu instid0(VALU_DEP_2) | instskip(NEXT) | instid1(VALU_DEP_2)
	v_min_u32_e32 v183, 32, v183
	v_cmp_eq_u32_e32 vcc_lo, 0, v45
	s_delay_alu instid0(VALU_DEP_2) | instskip(SKIP_1) | instid1(VALU_DEP_1)
	v_subrev_nc_u32_e32 v42, 28, v183
	v_sub_nc_u32_e32 v183, 29, v183
	v_dual_cndmask_b32 v183, v45, v183 :: v_dual_lshlrev_b32 v42, v42, v112
	s_delay_alu instid0(VALU_DEP_1) | instskip(SKIP_1) | instid1(VALU_DEP_3)
	v_and_b32_e32 v42, 7, v42
	v_lshlrev_b32_e32 v112, 24, v112
	v_lshl_add_u32 v183, v183, 23, 0x3b800000
	s_delay_alu instid0(VALU_DEP_2) | instskip(NEXT) | instid1(VALU_DEP_1)
	v_dual_cndmask_b32 v115, v115, v42 :: v_dual_and_b32 v112, 0x80000000, v112
	v_lshlrev_b32_e32 v115, 20, v115
	s_delay_alu instid0(VALU_DEP_1)
	v_or3_b32 v115, v112, v183, v115
.LBB6_5688:                             ;   in Loop: Header=BB6_5300 Depth=3
	s_or_b32 exec_lo, exec_lo, s17
	s_waitcnt vmcnt(7) lgkmcnt(7)
	v_and_b32_e32 v183, 0xff, v102
	s_mov_b32 s13, 0
	s_mov_b32 s30, exec_lo
                                        ; implicit-def: $sgpr17
	s_delay_alu instid0(VALU_DEP_1)
	v_cmpx_lt_i16_e64 0x7f, v183
	s_xor_b32 s30, exec_lo, s30
	s_cbranch_execnz .LBB6_6006
; %bb.5689:                             ;   in Loop: Header=BB6_5300 Depth=3
	s_or_saveexec_b32 s30, s30
	v_mov_b32_e32 v112, s17
	s_xor_b32 exec_lo, exec_lo, s30
	s_cbranch_execnz .LBB6_6009
.LBB6_5690:                             ;   in Loop: Header=BB6_5300 Depth=3
	s_or_b32 exec_lo, exec_lo, s30
	s_and_saveexec_b32 s17, s13
	s_cbranch_execz .LBB6_5692
.LBB6_5691:                             ;   in Loop: Header=BB6_5300 Depth=3
	v_lshrrev_b16 v45, 3, v102
	s_delay_alu instid0(VALU_DEP_1) | instskip(NEXT) | instid1(VALU_DEP_1)
	v_and_b32_e32 v45, 15, v45
	v_cmp_eq_u32_e32 vcc_lo, 0, v45
	v_and_b32_e32 v112, 7, v102
	s_delay_alu instid0(VALU_DEP_1) | instskip(NEXT) | instid1(VALU_DEP_1)
	v_clz_i32_u32_e32 v183, v112
	v_min_u32_e32 v183, 32, v183
	s_delay_alu instid0(VALU_DEP_1) | instskip(SKIP_1) | instid1(VALU_DEP_1)
	v_subrev_nc_u32_e32 v42, 28, v183
	v_sub_nc_u32_e32 v183, 29, v183
	v_dual_cndmask_b32 v183, v45, v183 :: v_dual_lshlrev_b32 v42, v42, v102
	v_lshlrev_b32_e32 v102, 24, v102
	s_delay_alu instid0(VALU_DEP_2) | instskip(NEXT) | instid1(VALU_DEP_3)
	v_and_b32_e32 v42, 7, v42
	v_lshl_add_u32 v183, v183, 23, 0x3b800000
	s_delay_alu instid0(VALU_DEP_3) | instskip(NEXT) | instid1(VALU_DEP_3)
	v_and_b32_e32 v102, 0x80000000, v102
	v_cndmask_b32_e32 v112, v112, v42, vcc_lo
	s_delay_alu instid0(VALU_DEP_1) | instskip(NEXT) | instid1(VALU_DEP_1)
	v_lshlrev_b32_e32 v112, 20, v112
	v_or3_b32 v112, v102, v183, v112
.LBB6_5692:                             ;   in Loop: Header=BB6_5300 Depth=3
	s_or_b32 exec_lo, exec_lo, s17
	s_delay_alu instid0(VALU_DEP_1) | instskip(NEXT) | instid1(VALU_DEP_1)
	v_add_f32_e32 v112, v115, v112
	v_and_b32_e32 v102, 0x7f800000, v112
	s_delay_alu instid0(VALU_DEP_1)
	v_cmp_ne_u32_e32 vcc_lo, 0x7f800000, v102
	v_mov_b32_e32 v102, 0x80
	s_and_saveexec_b32 s17, vcc_lo
	s_cbranch_execz .LBB6_5700
; %bb.5693:                             ;   in Loop: Header=BB6_5300 Depth=3
	v_mov_b32_e32 v102, 0
	s_mov_b32 s30, exec_lo
	v_cmpx_ne_u32_e32 0, v112
	s_cbranch_execz .LBB6_5699
; %bb.5694:                             ;   in Loop: Header=BB6_5300 Depth=3
	v_bfe_u32 v102, v112, 23, 8
	v_and_b32_e32 v115, 0x7fffff, v112
	s_delay_alu instid0(VALU_DEP_2) | instskip(SKIP_1) | instid1(VALU_DEP_3)
	v_sub_nc_u32_e32 v183, 0x78, v102
	v_cmp_gt_u32_e32 vcc_lo, 0x79, v102
	v_or_b32_e32 v42, 0x800000, v115
	s_delay_alu instid0(VALU_DEP_3) | instskip(SKIP_2) | instid1(VALU_DEP_3)
	v_cndmask_b32_e32 v183, 0, v183, vcc_lo
	v_cmp_eq_u32_e32 vcc_lo, 0, v102
	v_add_nc_u32_e32 v102, 0xffffff89, v102
	v_cndmask_b32_e64 v183, v183, 0x77, vcc_lo
	v_cndmask_b32_e32 v115, v42, v115, vcc_lo
	s_delay_alu instid0(VALU_DEP_3) | instskip(NEXT) | instid1(VALU_DEP_3)
	v_cndmask_b32_e64 v102, v102, 0xffffff8a, vcc_lo
	v_lshl_add_u32 v42, 0x100000, v183, -1
	s_delay_alu instid0(VALU_DEP_3) | instskip(SKIP_1) | instid1(VALU_DEP_4)
	v_lshrrev_b32_e32 v45, v183, v115
	v_lshlrev_b32_e64 v59, v183, 0x80000
	v_add_nc_u32_e32 v183, v183, v102
	s_delay_alu instid0(VALU_DEP_4) | instskip(NEXT) | instid1(VALU_DEP_4)
	v_and_b32_e32 v115, v42, v115
	v_bfe_u32 v56, v45, 20, 1
	s_delay_alu instid0(VALU_DEP_2) | instskip(NEXT) | instid1(VALU_DEP_2)
	v_cmp_eq_u32_e64 s13, v115, v59
	v_add_nc_u32_e32 v42, -1, v56
	s_delay_alu instid0(VALU_DEP_1) | instskip(SKIP_2) | instid1(VALU_DEP_2)
	v_cndmask_b32_e64 v115, 0, v42, s13
	v_lshrrev_b32_e32 v42, 23, v45
	s_mov_b32 s13, exec_lo
	v_add_nc_u32_e32 v115, v115, v45
	s_delay_alu instid0(VALU_DEP_2) | instskip(NEXT) | instid1(VALU_DEP_2)
	v_xor_b32_e32 v42, 1, v42
	v_and_b32_e32 v102, 0xfffff, v115
	s_delay_alu instid0(VALU_DEP_1) | instskip(NEXT) | instid1(VALU_DEP_3)
	v_add_nc_u32_e32 v115, v102, v45
                                        ; implicit-def: $vgpr102
	v_cmpx_ne_u32_e64 v183, v42
	s_xor_b32 s13, exec_lo, s13
; %bb.5695:                             ;   in Loop: Header=BB6_5300 Depth=3
	s_delay_alu instid0(VALU_DEP_2) | instskip(SKIP_2) | instid1(VALU_DEP_2)
	v_cmp_lt_u32_e32 vcc_lo, 0xffffff, v115
	v_sub_nc_u32_e32 v102, v183, v42
	v_cndmask_b32_e64 v183, 0, 1, vcc_lo
	v_add_co_ci_u32_e32 v102, vcc_lo, 0, v102, vcc_lo
	s_delay_alu instid0(VALU_DEP_2)
	v_lshrrev_b32_e32 v115, v183, v115
; %bb.5696:                             ;   in Loop: Header=BB6_5300 Depth=3
	s_and_not1_saveexec_b32 s13, s13
; %bb.5697:                             ;   in Loop: Header=BB6_5300 Depth=3
	s_delay_alu instid0(VALU_DEP_1)
	v_bfe_u32 v102, v115, 23, 1
; %bb.5698:                             ;   in Loop: Header=BB6_5300 Depth=3
	s_or_b32 exec_lo, exec_lo, s13
	v_lshrrev_b32_e32 v115, 20, v115
	s_delay_alu instid0(VALU_DEP_2) | instskip(SKIP_2) | instid1(VALU_DEP_2)
	v_cmp_gt_i32_e32 vcc_lo, 16, v102
	v_lshrrev_b32_e32 v112, 24, v112
	v_min_i32_e32 v183, 15, v102
	v_dual_cndmask_b32 v115, 7, v115 :: v_dual_and_b32 v112, 0x80, v112
	s_delay_alu instid0(VALU_DEP_1) | instskip(SKIP_1) | instid1(VALU_DEP_2)
	v_or_b32_e32 v102, v102, v115
	v_and_b32_e32 v42, 7, v115
	v_cmp_ne_u32_e32 vcc_lo, 0, v102
	v_lshlrev_b32_e32 v183, 3, v183
	s_delay_alu instid0(VALU_DEP_1) | instskip(NEXT) | instid1(VALU_DEP_1)
	v_or3_b32 v112, v183, v112, v42
	v_cndmask_b32_e32 v102, 0, v112, vcc_lo
.LBB6_5699:                             ;   in Loop: Header=BB6_5300 Depth=3
	s_or_b32 exec_lo, exec_lo, s30
.LBB6_5700:                             ;   in Loop: Header=BB6_5300 Depth=3
	s_delay_alu instid0(SALU_CYCLE_1) | instskip(SKIP_3) | instid1(VALU_DEP_1)
	s_or_b32 exec_lo, exec_lo, s17
	v_and_b32_e32 v115, 0xff, v51
	s_mov_b32 s13, 0
	s_mov_b32 s30, exec_lo
                                        ; implicit-def: $sgpr17
	v_cmpx_lt_i16_e32 0x7f, v115
	s_xor_b32 s30, exec_lo, s30
	s_cbranch_execnz .LBB6_6010
; %bb.5701:                             ;   in Loop: Header=BB6_5300 Depth=3
	s_or_saveexec_b32 s30, s30
	v_mov_b32_e32 v112, s17
	s_xor_b32 exec_lo, exec_lo, s30
	s_cbranch_execnz .LBB6_6013
.LBB6_5702:                             ;   in Loop: Header=BB6_5300 Depth=3
	s_or_b32 exec_lo, exec_lo, s30
	s_and_saveexec_b32 s17, s13
	s_cbranch_execz .LBB6_5704
.LBB6_5703:                             ;   in Loop: Header=BB6_5300 Depth=3
	v_and_b32_e32 v112, 7, v51
	v_lshrrev_b16 v42, 3, v51
	s_delay_alu instid0(VALU_DEP_2) | instskip(NEXT) | instid1(VALU_DEP_2)
	v_clz_i32_u32_e32 v115, v112
	v_and_b32_e32 v42, 15, v42
	s_delay_alu instid0(VALU_DEP_2) | instskip(NEXT) | instid1(VALU_DEP_2)
	v_min_u32_e32 v115, 32, v115
	v_cmp_eq_u32_e32 vcc_lo, 0, v42
	s_delay_alu instid0(VALU_DEP_2) | instskip(SKIP_1) | instid1(VALU_DEP_2)
	v_subrev_nc_u32_e32 v183, 28, v115
	v_sub_nc_u32_e32 v115, 29, v115
	v_lshlrev_b32_e32 v183, v183, v51
	v_lshlrev_b32_e32 v51, 24, v51
	s_delay_alu instid0(VALU_DEP_2) | instskip(NEXT) | instid1(VALU_DEP_2)
	v_and_b32_e32 v183, 7, v183
	v_and_b32_e32 v51, 0x80000000, v51
	s_delay_alu instid0(VALU_DEP_2) | instskip(NEXT) | instid1(VALU_DEP_1)
	v_cndmask_b32_e32 v112, v112, v183, vcc_lo
	v_dual_cndmask_b32 v115, v42, v115 :: v_dual_lshlrev_b32 v112, 20, v112
	s_delay_alu instid0(VALU_DEP_1) | instskip(NEXT) | instid1(VALU_DEP_1)
	v_lshl_add_u32 v115, v115, 23, 0x3b800000
	v_or3_b32 v112, v51, v115, v112
.LBB6_5704:                             ;   in Loop: Header=BB6_5300 Depth=3
	s_or_b32 exec_lo, exec_lo, s17
	s_waitcnt vmcnt(6) lgkmcnt(6)
	v_and_b32_e32 v115, 0xff, v50
	s_mov_b32 s13, 0
	s_mov_b32 s30, exec_lo
                                        ; implicit-def: $sgpr17
	s_delay_alu instid0(VALU_DEP_1)
	v_cmpx_lt_i16_e32 0x7f, v115
	s_xor_b32 s30, exec_lo, s30
	s_cbranch_execnz .LBB6_6014
; %bb.5705:                             ;   in Loop: Header=BB6_5300 Depth=3
	s_or_saveexec_b32 s30, s30
	v_mov_b32_e32 v51, s17
	s_xor_b32 exec_lo, exec_lo, s30
	s_cbranch_execnz .LBB6_6017
.LBB6_5706:                             ;   in Loop: Header=BB6_5300 Depth=3
	s_or_b32 exec_lo, exec_lo, s30
	s_and_saveexec_b32 s17, s13
	s_cbranch_execz .LBB6_5708
.LBB6_5707:                             ;   in Loop: Header=BB6_5300 Depth=3
	v_and_b32_e32 v51, 7, v50
	v_lshrrev_b16 v42, 3, v50
	s_delay_alu instid0(VALU_DEP_2) | instskip(NEXT) | instid1(VALU_DEP_1)
	v_clz_i32_u32_e32 v115, v51
	v_min_u32_e32 v115, 32, v115
	s_delay_alu instid0(VALU_DEP_1) | instskip(SKIP_1) | instid1(VALU_DEP_2)
	v_subrev_nc_u32_e32 v183, 28, v115
	v_sub_nc_u32_e32 v115, 29, v115
	v_lshlrev_b32_e32 v183, v183, v50
	s_delay_alu instid0(VALU_DEP_1) | instskip(SKIP_1) | instid1(VALU_DEP_1)
	v_and_b32_e32 v183, 7, v183
	v_and_b32_e32 v42, 15, v42
	v_cmp_eq_u32_e32 vcc_lo, 0, v42
	s_delay_alu instid0(VALU_DEP_3) | instskip(SKIP_1) | instid1(VALU_DEP_2)
	v_dual_cndmask_b32 v51, v51, v183 :: v_dual_lshlrev_b32 v50, 24, v50
	v_cndmask_b32_e32 v115, v42, v115, vcc_lo
	v_lshlrev_b32_e32 v51, 20, v51
	s_delay_alu instid0(VALU_DEP_3) | instskip(NEXT) | instid1(VALU_DEP_3)
	v_and_b32_e32 v50, 0x80000000, v50
	v_lshl_add_u32 v115, v115, 23, 0x3b800000
	s_delay_alu instid0(VALU_DEP_1)
	v_or3_b32 v51, v50, v115, v51
.LBB6_5708:                             ;   in Loop: Header=BB6_5300 Depth=3
	s_or_b32 exec_lo, exec_lo, s17
	s_delay_alu instid0(VALU_DEP_1) | instskip(NEXT) | instid1(VALU_DEP_1)
	v_add_f32_e32 v51, v112, v51
	v_and_b32_e32 v50, 0x7f800000, v51
	s_delay_alu instid0(VALU_DEP_1)
	v_cmp_ne_u32_e32 vcc_lo, 0x7f800000, v50
	v_mov_b32_e32 v50, 0x80
	s_and_saveexec_b32 s17, vcc_lo
	s_cbranch_execz .LBB6_5716
; %bb.5709:                             ;   in Loop: Header=BB6_5300 Depth=3
	v_mov_b32_e32 v50, 0
	s_mov_b32 s30, exec_lo
	v_cmpx_ne_u32_e32 0, v51
	s_cbranch_execz .LBB6_5715
; %bb.5710:                             ;   in Loop: Header=BB6_5300 Depth=3
	v_bfe_u32 v50, v51, 23, 8
	v_and_b32_e32 v112, 0x7fffff, v51
	s_delay_alu instid0(VALU_DEP_2) | instskip(SKIP_1) | instid1(VALU_DEP_3)
	v_sub_nc_u32_e32 v115, 0x78, v50
	v_cmp_gt_u32_e32 vcc_lo, 0x79, v50
	v_or_b32_e32 v183, 0x800000, v112
	s_delay_alu instid0(VALU_DEP_3) | instskip(SKIP_2) | instid1(VALU_DEP_4)
	v_cndmask_b32_e32 v115, 0, v115, vcc_lo
	v_cmp_eq_u32_e32 vcc_lo, 0, v50
	v_add_nc_u32_e32 v50, 0xffffff89, v50
	v_cndmask_b32_e32 v112, v183, v112, vcc_lo
	s_delay_alu instid0(VALU_DEP_4) | instskip(NEXT) | instid1(VALU_DEP_3)
	v_cndmask_b32_e64 v115, v115, 0x77, vcc_lo
	v_cndmask_b32_e64 v50, v50, 0xffffff8a, vcc_lo
	s_delay_alu instid0(VALU_DEP_2) | instskip(SKIP_2) | instid1(VALU_DEP_4)
	v_lshrrev_b32_e32 v42, v115, v112
	v_lshl_add_u32 v183, 0x100000, v115, -1
	v_lshlrev_b32_e64 v56, v115, 0x80000
	v_add_nc_u32_e32 v115, v115, v50
	s_delay_alu instid0(VALU_DEP_4) | instskip(NEXT) | instid1(VALU_DEP_4)
	v_bfe_u32 v45, v42, 20, 1
	v_and_b32_e32 v112, v183, v112
	s_delay_alu instid0(VALU_DEP_2) | instskip(NEXT) | instid1(VALU_DEP_2)
	v_add_nc_u32_e32 v183, -1, v45
	v_cmp_eq_u32_e64 s13, v112, v56
	s_delay_alu instid0(VALU_DEP_1) | instskip(SKIP_2) | instid1(VALU_DEP_2)
	v_cndmask_b32_e64 v112, 0, v183, s13
	v_lshrrev_b32_e32 v183, 23, v42
	s_mov_b32 s13, exec_lo
	v_add_nc_u32_e32 v112, v112, v42
	s_delay_alu instid0(VALU_DEP_2) | instskip(NEXT) | instid1(VALU_DEP_2)
	v_xor_b32_e32 v183, 1, v183
	v_and_b32_e32 v50, 0xfffff, v112
	s_delay_alu instid0(VALU_DEP_1) | instskip(NEXT) | instid1(VALU_DEP_3)
	v_add_nc_u32_e32 v112, v50, v42
                                        ; implicit-def: $vgpr50
	v_cmpx_ne_u32_e64 v115, v183
	s_xor_b32 s13, exec_lo, s13
; %bb.5711:                             ;   in Loop: Header=BB6_5300 Depth=3
	s_delay_alu instid0(VALU_DEP_2) | instskip(SKIP_2) | instid1(VALU_DEP_2)
	v_cmp_lt_u32_e32 vcc_lo, 0xffffff, v112
	v_sub_nc_u32_e32 v50, v115, v183
	v_cndmask_b32_e64 v115, 0, 1, vcc_lo
	v_add_co_ci_u32_e32 v50, vcc_lo, 0, v50, vcc_lo
	s_delay_alu instid0(VALU_DEP_2)
	v_lshrrev_b32_e32 v112, v115, v112
; %bb.5712:                             ;   in Loop: Header=BB6_5300 Depth=3
	s_and_not1_saveexec_b32 s13, s13
; %bb.5713:                             ;   in Loop: Header=BB6_5300 Depth=3
	s_delay_alu instid0(VALU_DEP_1)
	v_bfe_u32 v50, v112, 23, 1
; %bb.5714:                             ;   in Loop: Header=BB6_5300 Depth=3
	s_or_b32 exec_lo, exec_lo, s13
	v_lshrrev_b32_e32 v112, 20, v112
	s_delay_alu instid0(VALU_DEP_2) | instskip(SKIP_2) | instid1(VALU_DEP_2)
	v_cmp_gt_i32_e32 vcc_lo, 16, v50
	v_lshrrev_b32_e32 v51, 24, v51
	v_min_i32_e32 v115, 15, v50
	v_dual_cndmask_b32 v112, 7, v112 :: v_dual_and_b32 v51, 0x80, v51
	s_delay_alu instid0(VALU_DEP_2) | instskip(NEXT) | instid1(VALU_DEP_2)
	v_lshlrev_b32_e32 v115, 3, v115
	v_or_b32_e32 v50, v50, v112
	s_delay_alu instid0(VALU_DEP_1) | instskip(SKIP_1) | instid1(VALU_DEP_1)
	v_cmp_ne_u32_e32 vcc_lo, 0, v50
	v_and_b32_e32 v183, 7, v112
	v_or3_b32 v51, v115, v51, v183
	s_delay_alu instid0(VALU_DEP_1)
	v_cndmask_b32_e32 v50, 0, v51, vcc_lo
.LBB6_5715:                             ;   in Loop: Header=BB6_5300 Depth=3
	s_or_b32 exec_lo, exec_lo, s30
.LBB6_5716:                             ;   in Loop: Header=BB6_5300 Depth=3
	s_delay_alu instid0(SALU_CYCLE_1) | instskip(SKIP_3) | instid1(VALU_DEP_1)
	s_or_b32 exec_lo, exec_lo, s17
	v_and_b32_e32 v112, 0xff, v48
	s_mov_b32 s13, 0
	s_mov_b32 s30, exec_lo
                                        ; implicit-def: $sgpr17
	v_cmpx_lt_i16_e32 0x7f, v112
	s_xor_b32 s30, exec_lo, s30
	s_cbranch_execnz .LBB6_6018
; %bb.5717:                             ;   in Loop: Header=BB6_5300 Depth=3
	s_or_saveexec_b32 s30, s30
	v_mov_b32_e32 v51, s17
	s_xor_b32 exec_lo, exec_lo, s30
	s_cbranch_execnz .LBB6_6021
.LBB6_5718:                             ;   in Loop: Header=BB6_5300 Depth=3
	s_or_b32 exec_lo, exec_lo, s30
	s_and_saveexec_b32 s17, s13
	s_cbranch_execz .LBB6_5720
.LBB6_5719:                             ;   in Loop: Header=BB6_5300 Depth=3
	v_and_b32_e32 v51, 7, v48
	v_lshrrev_b16 v183, 3, v48
	s_delay_alu instid0(VALU_DEP_2) | instskip(NEXT) | instid1(VALU_DEP_2)
	v_clz_i32_u32_e32 v112, v51
	v_and_b32_e32 v183, 15, v183
	s_delay_alu instid0(VALU_DEP_2) | instskip(NEXT) | instid1(VALU_DEP_2)
	v_min_u32_e32 v112, 32, v112
	v_cmp_eq_u32_e32 vcc_lo, 0, v183
	s_delay_alu instid0(VALU_DEP_2) | instskip(SKIP_1) | instid1(VALU_DEP_2)
	v_subrev_nc_u32_e32 v115, 28, v112
	v_sub_nc_u32_e32 v112, 29, v112
	v_lshlrev_b32_e32 v115, v115, v48
	s_delay_alu instid0(VALU_DEP_1) | instskip(SKIP_1) | instid1(VALU_DEP_2)
	v_dual_cndmask_b32 v112, v183, v112 :: v_dual_and_b32 v115, 7, v115
	v_lshlrev_b32_e32 v48, 24, v48
	v_lshl_add_u32 v112, v112, 23, 0x3b800000
	s_delay_alu instid0(VALU_DEP_2) | instskip(NEXT) | instid1(VALU_DEP_1)
	v_dual_cndmask_b32 v51, v51, v115 :: v_dual_and_b32 v48, 0x80000000, v48
	v_lshlrev_b32_e32 v51, 20, v51
	s_delay_alu instid0(VALU_DEP_1)
	v_or3_b32 v51, v48, v112, v51
.LBB6_5720:                             ;   in Loop: Header=BB6_5300 Depth=3
	s_or_b32 exec_lo, exec_lo, s17
	s_waitcnt vmcnt(5) lgkmcnt(5)
	v_and_b32_e32 v112, 0xff, v39
	s_mov_b32 s13, 0
	s_mov_b32 s30, exec_lo
                                        ; implicit-def: $sgpr17
	s_delay_alu instid0(VALU_DEP_1)
	v_cmpx_lt_i16_e32 0x7f, v112
	s_xor_b32 s30, exec_lo, s30
	s_cbranch_execnz .LBB6_6022
; %bb.5721:                             ;   in Loop: Header=BB6_5300 Depth=3
	s_or_saveexec_b32 s30, s30
	v_mov_b32_e32 v48, s17
	s_xor_b32 exec_lo, exec_lo, s30
	s_cbranch_execnz .LBB6_6025
.LBB6_5722:                             ;   in Loop: Header=BB6_5300 Depth=3
	s_or_b32 exec_lo, exec_lo, s30
	s_and_saveexec_b32 s17, s13
	s_cbranch_execz .LBB6_5724
.LBB6_5723:                             ;   in Loop: Header=BB6_5300 Depth=3
	v_and_b32_e32 v48, 7, v39
	v_lshrrev_b16 v183, 3, v39
	s_delay_alu instid0(VALU_DEP_2) | instskip(NEXT) | instid1(VALU_DEP_2)
	v_clz_i32_u32_e32 v112, v48
	v_and_b32_e32 v183, 15, v183
	s_delay_alu instid0(VALU_DEP_2) | instskip(NEXT) | instid1(VALU_DEP_2)
	v_min_u32_e32 v112, 32, v112
	v_cmp_eq_u32_e32 vcc_lo, 0, v183
	s_delay_alu instid0(VALU_DEP_2) | instskip(SKIP_1) | instid1(VALU_DEP_2)
	v_subrev_nc_u32_e32 v115, 28, v112
	v_sub_nc_u32_e32 v112, 29, v112
	v_lshlrev_b32_e32 v115, v115, v39
	s_delay_alu instid0(VALU_DEP_2) | instskip(NEXT) | instid1(VALU_DEP_2)
	v_dual_cndmask_b32 v112, v183, v112 :: v_dual_lshlrev_b32 v39, 24, v39
	v_and_b32_e32 v115, 7, v115
	s_delay_alu instid0(VALU_DEP_2) | instskip(NEXT) | instid1(VALU_DEP_3)
	v_and_b32_e32 v39, 0x80000000, v39
	v_lshl_add_u32 v112, v112, 23, 0x3b800000
	s_delay_alu instid0(VALU_DEP_3) | instskip(NEXT) | instid1(VALU_DEP_1)
	v_cndmask_b32_e32 v48, v48, v115, vcc_lo
	v_lshlrev_b32_e32 v48, 20, v48
	s_delay_alu instid0(VALU_DEP_1)
	v_or3_b32 v48, v39, v112, v48
.LBB6_5724:                             ;   in Loop: Header=BB6_5300 Depth=3
	s_or_b32 exec_lo, exec_lo, s17
	s_delay_alu instid0(VALU_DEP_1) | instskip(NEXT) | instid1(VALU_DEP_1)
	v_add_f32_e32 v48, v51, v48
	v_and_b32_e32 v39, 0x7f800000, v48
	s_delay_alu instid0(VALU_DEP_1)
	v_cmp_ne_u32_e32 vcc_lo, 0x7f800000, v39
	v_mov_b32_e32 v39, 0x80
	s_and_saveexec_b32 s17, vcc_lo
	s_cbranch_execz .LBB6_5732
; %bb.5725:                             ;   in Loop: Header=BB6_5300 Depth=3
	v_mov_b32_e32 v39, 0
	s_mov_b32 s30, exec_lo
	v_cmpx_ne_u32_e32 0, v48
	s_cbranch_execz .LBB6_5731
; %bb.5726:                             ;   in Loop: Header=BB6_5300 Depth=3
	v_bfe_u32 v39, v48, 23, 8
	v_and_b32_e32 v51, 0x7fffff, v48
	s_delay_alu instid0(VALU_DEP_2) | instskip(SKIP_1) | instid1(VALU_DEP_3)
	v_sub_nc_u32_e32 v112, 0x78, v39
	v_cmp_gt_u32_e32 vcc_lo, 0x79, v39
	v_or_b32_e32 v115, 0x800000, v51
	s_delay_alu instid0(VALU_DEP_3) | instskip(SKIP_2) | instid1(VALU_DEP_4)
	v_cndmask_b32_e32 v112, 0, v112, vcc_lo
	v_cmp_eq_u32_e32 vcc_lo, 0, v39
	v_add_nc_u32_e32 v39, 0xffffff89, v39
	v_cndmask_b32_e32 v51, v115, v51, vcc_lo
	s_delay_alu instid0(VALU_DEP_4) | instskip(NEXT) | instid1(VALU_DEP_3)
	v_cndmask_b32_e64 v112, v112, 0x77, vcc_lo
	v_cndmask_b32_e64 v39, v39, 0xffffff8a, vcc_lo
	s_delay_alu instid0(VALU_DEP_2) | instskip(SKIP_2) | instid1(VALU_DEP_4)
	v_lshrrev_b32_e32 v183, v112, v51
	v_lshl_add_u32 v115, 0x100000, v112, -1
	v_lshlrev_b32_e64 v45, v112, 0x80000
	v_add_nc_u32_e32 v112, v112, v39
	s_delay_alu instid0(VALU_DEP_4) | instskip(NEXT) | instid1(VALU_DEP_4)
	v_bfe_u32 v42, v183, 20, 1
	v_and_b32_e32 v51, v115, v51
	s_delay_alu instid0(VALU_DEP_2) | instskip(NEXT) | instid1(VALU_DEP_2)
	v_add_nc_u32_e32 v115, -1, v42
	v_cmp_eq_u32_e64 s13, v51, v45
	s_delay_alu instid0(VALU_DEP_1) | instskip(SKIP_2) | instid1(VALU_DEP_2)
	v_cndmask_b32_e64 v51, 0, v115, s13
	v_lshrrev_b32_e32 v115, 23, v183
	s_mov_b32 s13, exec_lo
	v_add_nc_u32_e32 v51, v51, v183
	s_delay_alu instid0(VALU_DEP_2) | instskip(NEXT) | instid1(VALU_DEP_2)
	v_xor_b32_e32 v115, 1, v115
	v_and_b32_e32 v39, 0xfffff, v51
	s_delay_alu instid0(VALU_DEP_1) | instskip(NEXT) | instid1(VALU_DEP_3)
	v_add_nc_u32_e32 v51, v39, v183
                                        ; implicit-def: $vgpr39
	v_cmpx_ne_u32_e64 v112, v115
	s_xor_b32 s13, exec_lo, s13
; %bb.5727:                             ;   in Loop: Header=BB6_5300 Depth=3
	s_delay_alu instid0(VALU_DEP_2) | instskip(SKIP_2) | instid1(VALU_DEP_2)
	v_cmp_lt_u32_e32 vcc_lo, 0xffffff, v51
	v_sub_nc_u32_e32 v39, v112, v115
	v_cndmask_b32_e64 v112, 0, 1, vcc_lo
	v_add_co_ci_u32_e32 v39, vcc_lo, 0, v39, vcc_lo
	s_delay_alu instid0(VALU_DEP_2)
	v_lshrrev_b32_e32 v51, v112, v51
; %bb.5728:                             ;   in Loop: Header=BB6_5300 Depth=3
	s_and_not1_saveexec_b32 s13, s13
; %bb.5729:                             ;   in Loop: Header=BB6_5300 Depth=3
	s_delay_alu instid0(VALU_DEP_1)
	v_bfe_u32 v39, v51, 23, 1
; %bb.5730:                             ;   in Loop: Header=BB6_5300 Depth=3
	s_or_b32 exec_lo, exec_lo, s13
	v_lshrrev_b32_e32 v51, 20, v51
	s_delay_alu instid0(VALU_DEP_2) | instskip(SKIP_2) | instid1(VALU_DEP_2)
	v_cmp_gt_i32_e32 vcc_lo, 16, v39
	v_lshrrev_b32_e32 v48, 24, v48
	v_min_i32_e32 v112, 15, v39
	v_dual_cndmask_b32 v51, 7, v51 :: v_dual_and_b32 v48, 0x80, v48
	s_delay_alu instid0(VALU_DEP_2) | instskip(NEXT) | instid1(VALU_DEP_2)
	v_lshlrev_b32_e32 v112, 3, v112
	v_and_b32_e32 v115, 7, v51
	v_or_b32_e32 v39, v39, v51
	s_delay_alu instid0(VALU_DEP_2) | instskip(NEXT) | instid1(VALU_DEP_2)
	v_or3_b32 v48, v112, v48, v115
	v_cmp_ne_u32_e32 vcc_lo, 0, v39
	s_delay_alu instid0(VALU_DEP_2)
	v_cndmask_b32_e32 v39, 0, v48, vcc_lo
.LBB6_5731:                             ;   in Loop: Header=BB6_5300 Depth=3
	s_or_b32 exec_lo, exec_lo, s30
.LBB6_5732:                             ;   in Loop: Header=BB6_5300 Depth=3
	s_delay_alu instid0(SALU_CYCLE_1) | instskip(SKIP_3) | instid1(VALU_DEP_1)
	s_or_b32 exec_lo, exec_lo, s17
	v_and_b32_e32 v51, 0xff, v37
	s_mov_b32 s13, 0
	s_mov_b32 s30, exec_lo
                                        ; implicit-def: $sgpr17
	v_cmpx_lt_i16_e32 0x7f, v51
	s_xor_b32 s30, exec_lo, s30
	s_cbranch_execnz .LBB6_6026
; %bb.5733:                             ;   in Loop: Header=BB6_5300 Depth=3
	s_or_saveexec_b32 s30, s30
	v_mov_b32_e32 v48, s17
	s_xor_b32 exec_lo, exec_lo, s30
	s_cbranch_execnz .LBB6_6029
.LBB6_5734:                             ;   in Loop: Header=BB6_5300 Depth=3
	s_or_b32 exec_lo, exec_lo, s30
	s_and_saveexec_b32 s17, s13
	s_cbranch_execz .LBB6_5736
.LBB6_5735:                             ;   in Loop: Header=BB6_5300 Depth=3
	v_lshrrev_b16 v115, 3, v37
	s_delay_alu instid0(VALU_DEP_1) | instskip(NEXT) | instid1(VALU_DEP_1)
	v_and_b32_e32 v115, 15, v115
	v_cmp_eq_u32_e32 vcc_lo, 0, v115
	v_and_b32_e32 v48, 7, v37
	s_delay_alu instid0(VALU_DEP_1) | instskip(NEXT) | instid1(VALU_DEP_1)
	v_clz_i32_u32_e32 v51, v48
	v_min_u32_e32 v51, 32, v51
	s_delay_alu instid0(VALU_DEP_1) | instskip(SKIP_1) | instid1(VALU_DEP_1)
	v_subrev_nc_u32_e32 v112, 28, v51
	v_sub_nc_u32_e32 v51, 29, v51
	v_dual_cndmask_b32 v51, v115, v51 :: v_dual_lshlrev_b32 v112, v112, v37
	v_lshlrev_b32_e32 v37, 24, v37
	s_delay_alu instid0(VALU_DEP_2) | instskip(NEXT) | instid1(VALU_DEP_3)
	v_and_b32_e32 v112, 7, v112
	v_lshl_add_u32 v51, v51, 23, 0x3b800000
	s_delay_alu instid0(VALU_DEP_2) | instskip(NEXT) | instid1(VALU_DEP_1)
	v_dual_cndmask_b32 v48, v48, v112 :: v_dual_and_b32 v37, 0x80000000, v37
	v_lshlrev_b32_e32 v48, 20, v48
	s_delay_alu instid0(VALU_DEP_1)
	v_or3_b32 v48, v37, v51, v48
.LBB6_5736:                             ;   in Loop: Header=BB6_5300 Depth=3
	s_or_b32 exec_lo, exec_lo, s17
	s_waitcnt vmcnt(4) lgkmcnt(4)
	v_and_b32_e32 v51, 0xff, v36
	s_mov_b32 s13, 0
	s_mov_b32 s30, exec_lo
                                        ; implicit-def: $sgpr17
	s_delay_alu instid0(VALU_DEP_1)
	v_cmpx_lt_i16_e32 0x7f, v51
	s_xor_b32 s30, exec_lo, s30
	s_cbranch_execnz .LBB6_6030
; %bb.5737:                             ;   in Loop: Header=BB6_5300 Depth=3
	s_or_saveexec_b32 s30, s30
	v_mov_b32_e32 v37, s17
	s_xor_b32 exec_lo, exec_lo, s30
	s_cbranch_execnz .LBB6_6033
.LBB6_5738:                             ;   in Loop: Header=BB6_5300 Depth=3
	s_or_b32 exec_lo, exec_lo, s30
	s_and_saveexec_b32 s17, s13
	s_cbranch_execz .LBB6_5740
.LBB6_5739:                             ;   in Loop: Header=BB6_5300 Depth=3
	v_and_b32_e32 v37, 7, v36
	v_lshrrev_b16 v115, 3, v36
	s_delay_alu instid0(VALU_DEP_2) | instskip(NEXT) | instid1(VALU_DEP_2)
	v_clz_i32_u32_e32 v51, v37
	v_and_b32_e32 v115, 15, v115
	s_delay_alu instid0(VALU_DEP_2) | instskip(NEXT) | instid1(VALU_DEP_2)
	v_min_u32_e32 v51, 32, v51
	v_cmp_eq_u32_e32 vcc_lo, 0, v115
	s_delay_alu instid0(VALU_DEP_2) | instskip(SKIP_1) | instid1(VALU_DEP_1)
	v_subrev_nc_u32_e32 v112, 28, v51
	v_sub_nc_u32_e32 v51, 29, v51
	v_dual_cndmask_b32 v51, v115, v51 :: v_dual_lshlrev_b32 v112, v112, v36
	v_lshlrev_b32_e32 v36, 24, v36
	s_delay_alu instid0(VALU_DEP_2) | instskip(NEXT) | instid1(VALU_DEP_3)
	v_and_b32_e32 v112, 7, v112
	v_lshl_add_u32 v51, v51, 23, 0x3b800000
	s_delay_alu instid0(VALU_DEP_3) | instskip(NEXT) | instid1(VALU_DEP_3)
	v_and_b32_e32 v36, 0x80000000, v36
	v_cndmask_b32_e32 v37, v37, v112, vcc_lo
	s_delay_alu instid0(VALU_DEP_1) | instskip(NEXT) | instid1(VALU_DEP_1)
	v_lshlrev_b32_e32 v37, 20, v37
	v_or3_b32 v37, v36, v51, v37
.LBB6_5740:                             ;   in Loop: Header=BB6_5300 Depth=3
	s_or_b32 exec_lo, exec_lo, s17
	s_delay_alu instid0(VALU_DEP_1) | instskip(NEXT) | instid1(VALU_DEP_1)
	v_add_f32_e32 v37, v48, v37
	v_and_b32_e32 v36, 0x7f800000, v37
	s_delay_alu instid0(VALU_DEP_1)
	v_cmp_ne_u32_e32 vcc_lo, 0x7f800000, v36
	v_mov_b32_e32 v36, 0x80
	s_and_saveexec_b32 s17, vcc_lo
	s_cbranch_execz .LBB6_5748
; %bb.5741:                             ;   in Loop: Header=BB6_5300 Depth=3
	v_mov_b32_e32 v36, 0
	s_mov_b32 s30, exec_lo
	v_cmpx_ne_u32_e32 0, v37
	s_cbranch_execz .LBB6_5747
; %bb.5742:                             ;   in Loop: Header=BB6_5300 Depth=3
	v_bfe_u32 v36, v37, 23, 8
	s_delay_alu instid0(VALU_DEP_1) | instskip(SKIP_1) | instid1(VALU_DEP_2)
	v_sub_nc_u32_e32 v51, 0x78, v36
	v_cmp_gt_u32_e32 vcc_lo, 0x79, v36
	v_dual_cndmask_b32 v51, 0, v51 :: v_dual_and_b32 v48, 0x7fffff, v37
	s_delay_alu instid0(VALU_DEP_1) | instskip(SKIP_2) | instid1(VALU_DEP_4)
	v_or_b32_e32 v112, 0x800000, v48
	v_cmp_eq_u32_e32 vcc_lo, 0, v36
	v_add_nc_u32_e32 v36, 0xffffff89, v36
	v_cndmask_b32_e64 v51, v51, 0x77, vcc_lo
	s_delay_alu instid0(VALU_DEP_4) | instskip(NEXT) | instid1(VALU_DEP_3)
	v_cndmask_b32_e32 v48, v112, v48, vcc_lo
	v_cndmask_b32_e64 v36, v36, 0xffffff8a, vcc_lo
	s_delay_alu instid0(VALU_DEP_3) | instskip(NEXT) | instid1(VALU_DEP_3)
	v_lshl_add_u32 v112, 0x100000, v51, -1
	v_lshrrev_b32_e32 v115, v51, v48
	v_lshlrev_b32_e64 v42, v51, 0x80000
	s_delay_alu instid0(VALU_DEP_4) | instskip(NEXT) | instid1(VALU_DEP_4)
	v_add_nc_u32_e32 v51, v51, v36
	v_and_b32_e32 v48, v112, v48
	s_delay_alu instid0(VALU_DEP_4) | instskip(NEXT) | instid1(VALU_DEP_2)
	v_bfe_u32 v183, v115, 20, 1
	v_cmp_eq_u32_e64 s13, v48, v42
	s_delay_alu instid0(VALU_DEP_2) | instskip(NEXT) | instid1(VALU_DEP_1)
	v_add_nc_u32_e32 v112, -1, v183
	v_cndmask_b32_e64 v48, 0, v112, s13
	v_lshrrev_b32_e32 v112, 23, v115
	s_mov_b32 s13, exec_lo
	s_delay_alu instid0(VALU_DEP_2) | instskip(NEXT) | instid1(VALU_DEP_2)
	v_add_nc_u32_e32 v48, v48, v115
	v_xor_b32_e32 v112, 1, v112
	s_delay_alu instid0(VALU_DEP_2) | instskip(NEXT) | instid1(VALU_DEP_1)
	v_and_b32_e32 v36, 0xfffff, v48
	v_add_nc_u32_e32 v48, v36, v115
                                        ; implicit-def: $vgpr36
	s_delay_alu instid0(VALU_DEP_3)
	v_cmpx_ne_u32_e64 v51, v112
	s_xor_b32 s13, exec_lo, s13
; %bb.5743:                             ;   in Loop: Header=BB6_5300 Depth=3
	s_delay_alu instid0(VALU_DEP_2) | instskip(SKIP_2) | instid1(VALU_DEP_2)
	v_cmp_lt_u32_e32 vcc_lo, 0xffffff, v48
	v_sub_nc_u32_e32 v36, v51, v112
	v_cndmask_b32_e64 v51, 0, 1, vcc_lo
	v_add_co_ci_u32_e32 v36, vcc_lo, 0, v36, vcc_lo
	s_delay_alu instid0(VALU_DEP_2)
	v_lshrrev_b32_e32 v48, v51, v48
; %bb.5744:                             ;   in Loop: Header=BB6_5300 Depth=3
	s_and_not1_saveexec_b32 s13, s13
; %bb.5745:                             ;   in Loop: Header=BB6_5300 Depth=3
	s_delay_alu instid0(VALU_DEP_1)
	v_bfe_u32 v36, v48, 23, 1
; %bb.5746:                             ;   in Loop: Header=BB6_5300 Depth=3
	s_or_b32 exec_lo, exec_lo, s13
	v_lshrrev_b32_e32 v48, 20, v48
	s_delay_alu instid0(VALU_DEP_2) | instskip(SKIP_2) | instid1(VALU_DEP_2)
	v_cmp_gt_i32_e32 vcc_lo, 16, v36
	v_lshrrev_b32_e32 v37, 24, v37
	v_min_i32_e32 v51, 15, v36
	v_dual_cndmask_b32 v48, 7, v48 :: v_dual_and_b32 v37, 0x80, v37
	s_delay_alu instid0(VALU_DEP_1) | instskip(SKIP_1) | instid1(VALU_DEP_2)
	v_or_b32_e32 v36, v36, v48
	v_and_b32_e32 v112, 7, v48
	v_cmp_ne_u32_e32 vcc_lo, 0, v36
	v_lshlrev_b32_e32 v51, 3, v51
	s_delay_alu instid0(VALU_DEP_1) | instskip(NEXT) | instid1(VALU_DEP_1)
	v_or3_b32 v37, v51, v37, v112
	v_cndmask_b32_e32 v36, 0, v37, vcc_lo
.LBB6_5747:                             ;   in Loop: Header=BB6_5300 Depth=3
	s_or_b32 exec_lo, exec_lo, s30
.LBB6_5748:                             ;   in Loop: Header=BB6_5300 Depth=3
	s_delay_alu instid0(SALU_CYCLE_1) | instskip(SKIP_3) | instid1(VALU_DEP_1)
	s_or_b32 exec_lo, exec_lo, s17
	v_and_b32_e32 v48, 0xff, v34
	s_mov_b32 s13, 0
	s_mov_b32 s30, exec_lo
                                        ; implicit-def: $sgpr17
	v_cmpx_lt_i16_e32 0x7f, v48
	s_xor_b32 s30, exec_lo, s30
	s_cbranch_execnz .LBB6_6034
; %bb.5749:                             ;   in Loop: Header=BB6_5300 Depth=3
	s_or_saveexec_b32 s30, s30
	v_mov_b32_e32 v37, s17
	s_xor_b32 exec_lo, exec_lo, s30
	s_cbranch_execnz .LBB6_6037
.LBB6_5750:                             ;   in Loop: Header=BB6_5300 Depth=3
	s_or_b32 exec_lo, exec_lo, s30
	s_and_saveexec_b32 s17, s13
	s_cbranch_execz .LBB6_5752
.LBB6_5751:                             ;   in Loop: Header=BB6_5300 Depth=3
	v_lshrrev_b16 v112, 3, v34
	s_delay_alu instid0(VALU_DEP_1) | instskip(NEXT) | instid1(VALU_DEP_1)
	v_and_b32_e32 v112, 15, v112
	v_cmp_eq_u32_e32 vcc_lo, 0, v112
	v_and_b32_e32 v37, 7, v34
	s_delay_alu instid0(VALU_DEP_1) | instskip(NEXT) | instid1(VALU_DEP_1)
	v_clz_i32_u32_e32 v48, v37
	v_min_u32_e32 v48, 32, v48
	s_delay_alu instid0(VALU_DEP_1) | instskip(SKIP_1) | instid1(VALU_DEP_1)
	v_subrev_nc_u32_e32 v51, 28, v48
	v_sub_nc_u32_e32 v48, 29, v48
	v_dual_cndmask_b32 v48, v112, v48 :: v_dual_lshlrev_b32 v51, v51, v34
	v_lshlrev_b32_e32 v34, 24, v34
	s_delay_alu instid0(VALU_DEP_2) | instskip(NEXT) | instid1(VALU_DEP_3)
	v_and_b32_e32 v51, 7, v51
	v_lshl_add_u32 v48, v48, 23, 0x3b800000
	s_delay_alu instid0(VALU_DEP_2) | instskip(NEXT) | instid1(VALU_DEP_1)
	v_dual_cndmask_b32 v37, v37, v51 :: v_dual_and_b32 v34, 0x80000000, v34
	v_lshlrev_b32_e32 v37, 20, v37
	s_delay_alu instid0(VALU_DEP_1)
	v_or3_b32 v37, v34, v48, v37
.LBB6_5752:                             ;   in Loop: Header=BB6_5300 Depth=3
	s_or_b32 exec_lo, exec_lo, s17
	s_waitcnt vmcnt(3) lgkmcnt(3)
	v_and_b32_e32 v48, 0xff, v33
	s_mov_b32 s13, 0
	s_mov_b32 s30, exec_lo
                                        ; implicit-def: $sgpr17
	s_delay_alu instid0(VALU_DEP_1)
	v_cmpx_lt_i16_e32 0x7f, v48
	s_xor_b32 s30, exec_lo, s30
	s_cbranch_execnz .LBB6_6038
; %bb.5753:                             ;   in Loop: Header=BB6_5300 Depth=3
	s_or_saveexec_b32 s30, s30
	v_mov_b32_e32 v34, s17
	s_xor_b32 exec_lo, exec_lo, s30
	s_cbranch_execnz .LBB6_6041
.LBB6_5754:                             ;   in Loop: Header=BB6_5300 Depth=3
	s_or_b32 exec_lo, exec_lo, s30
	s_and_saveexec_b32 s17, s13
	s_cbranch_execz .LBB6_5756
.LBB6_5755:                             ;   in Loop: Header=BB6_5300 Depth=3
	v_and_b32_e32 v34, 7, v33
	v_lshrrev_b16 v112, 3, v33
	s_delay_alu instid0(VALU_DEP_2) | instskip(NEXT) | instid1(VALU_DEP_2)
	v_clz_i32_u32_e32 v48, v34
	v_and_b32_e32 v112, 15, v112
	s_delay_alu instid0(VALU_DEP_2) | instskip(NEXT) | instid1(VALU_DEP_2)
	v_min_u32_e32 v48, 32, v48
	v_cmp_eq_u32_e32 vcc_lo, 0, v112
	s_delay_alu instid0(VALU_DEP_2) | instskip(SKIP_1) | instid1(VALU_DEP_1)
	v_subrev_nc_u32_e32 v51, 28, v48
	v_sub_nc_u32_e32 v48, 29, v48
	v_dual_cndmask_b32 v48, v112, v48 :: v_dual_lshlrev_b32 v51, v51, v33
	s_delay_alu instid0(VALU_DEP_1) | instskip(SKIP_1) | instid1(VALU_DEP_3)
	v_and_b32_e32 v51, 7, v51
	v_lshlrev_b32_e32 v33, 24, v33
	v_lshl_add_u32 v48, v48, 23, 0x3b800000
	s_delay_alu instid0(VALU_DEP_2) | instskip(NEXT) | instid1(VALU_DEP_1)
	v_dual_cndmask_b32 v34, v34, v51 :: v_dual_and_b32 v33, 0x80000000, v33
	v_lshlrev_b32_e32 v34, 20, v34
	s_delay_alu instid0(VALU_DEP_1)
	v_or3_b32 v34, v33, v48, v34
.LBB6_5756:                             ;   in Loop: Header=BB6_5300 Depth=3
	s_or_b32 exec_lo, exec_lo, s17
	s_delay_alu instid0(VALU_DEP_1) | instskip(NEXT) | instid1(VALU_DEP_1)
	v_add_f32_e32 v34, v37, v34
	v_and_b32_e32 v33, 0x7f800000, v34
	s_delay_alu instid0(VALU_DEP_1)
	v_cmp_ne_u32_e32 vcc_lo, 0x7f800000, v33
	v_mov_b32_e32 v33, 0x80
	s_and_saveexec_b32 s17, vcc_lo
	s_cbranch_execz .LBB6_5764
; %bb.5757:                             ;   in Loop: Header=BB6_5300 Depth=3
	v_mov_b32_e32 v33, 0
	s_mov_b32 s30, exec_lo
	v_cmpx_ne_u32_e32 0, v34
	s_cbranch_execz .LBB6_5763
; %bb.5758:                             ;   in Loop: Header=BB6_5300 Depth=3
	v_bfe_u32 v33, v34, 23, 8
	s_delay_alu instid0(VALU_DEP_1) | instskip(SKIP_1) | instid1(VALU_DEP_2)
	v_sub_nc_u32_e32 v48, 0x78, v33
	v_cmp_gt_u32_e32 vcc_lo, 0x79, v33
	v_dual_cndmask_b32 v48, 0, v48 :: v_dual_and_b32 v37, 0x7fffff, v34
	s_delay_alu instid0(VALU_DEP_1) | instskip(SKIP_2) | instid1(VALU_DEP_4)
	v_or_b32_e32 v51, 0x800000, v37
	v_cmp_eq_u32_e32 vcc_lo, 0, v33
	v_add_nc_u32_e32 v33, 0xffffff89, v33
	v_cndmask_b32_e64 v48, v48, 0x77, vcc_lo
	s_delay_alu instid0(VALU_DEP_4) | instskip(NEXT) | instid1(VALU_DEP_3)
	v_cndmask_b32_e32 v37, v51, v37, vcc_lo
	v_cndmask_b32_e64 v33, v33, 0xffffff8a, vcc_lo
	s_delay_alu instid0(VALU_DEP_3) | instskip(NEXT) | instid1(VALU_DEP_3)
	v_lshl_add_u32 v51, 0x100000, v48, -1
	v_lshrrev_b32_e32 v112, v48, v37
	v_lshlrev_b32_e64 v183, v48, 0x80000
	s_delay_alu instid0(VALU_DEP_4) | instskip(NEXT) | instid1(VALU_DEP_4)
	v_add_nc_u32_e32 v48, v48, v33
	v_and_b32_e32 v37, v51, v37
	s_delay_alu instid0(VALU_DEP_4) | instskip(NEXT) | instid1(VALU_DEP_2)
	v_bfe_u32 v115, v112, 20, 1
	v_cmp_eq_u32_e64 s13, v37, v183
	s_delay_alu instid0(VALU_DEP_2) | instskip(NEXT) | instid1(VALU_DEP_1)
	v_add_nc_u32_e32 v51, -1, v115
	v_cndmask_b32_e64 v37, 0, v51, s13
	v_lshrrev_b32_e32 v51, 23, v112
	s_mov_b32 s13, exec_lo
	s_delay_alu instid0(VALU_DEP_2) | instskip(NEXT) | instid1(VALU_DEP_2)
	v_add_nc_u32_e32 v37, v37, v112
	v_xor_b32_e32 v51, 1, v51
	s_delay_alu instid0(VALU_DEP_2) | instskip(NEXT) | instid1(VALU_DEP_1)
	v_and_b32_e32 v33, 0xfffff, v37
	v_add_nc_u32_e32 v37, v33, v112
                                        ; implicit-def: $vgpr33
	s_delay_alu instid0(VALU_DEP_3)
	v_cmpx_ne_u32_e64 v48, v51
	s_xor_b32 s13, exec_lo, s13
; %bb.5759:                             ;   in Loop: Header=BB6_5300 Depth=3
	s_delay_alu instid0(VALU_DEP_2) | instskip(SKIP_2) | instid1(VALU_DEP_2)
	v_cmp_lt_u32_e32 vcc_lo, 0xffffff, v37
	v_sub_nc_u32_e32 v33, v48, v51
	v_cndmask_b32_e64 v48, 0, 1, vcc_lo
	v_add_co_ci_u32_e32 v33, vcc_lo, 0, v33, vcc_lo
	s_delay_alu instid0(VALU_DEP_2)
	v_lshrrev_b32_e32 v37, v48, v37
; %bb.5760:                             ;   in Loop: Header=BB6_5300 Depth=3
	s_and_not1_saveexec_b32 s13, s13
; %bb.5761:                             ;   in Loop: Header=BB6_5300 Depth=3
	s_delay_alu instid0(VALU_DEP_1)
	v_bfe_u32 v33, v37, 23, 1
; %bb.5762:                             ;   in Loop: Header=BB6_5300 Depth=3
	s_or_b32 exec_lo, exec_lo, s13
	v_lshrrev_b32_e32 v37, 20, v37
	s_delay_alu instid0(VALU_DEP_2) | instskip(SKIP_2) | instid1(VALU_DEP_2)
	v_cmp_gt_i32_e32 vcc_lo, 16, v33
	v_lshrrev_b32_e32 v34, 24, v34
	v_min_i32_e32 v48, 15, v33
	v_dual_cndmask_b32 v37, 7, v37 :: v_dual_and_b32 v34, 0x80, v34
	s_delay_alu instid0(VALU_DEP_1) | instskip(SKIP_1) | instid1(VALU_DEP_2)
	v_or_b32_e32 v33, v33, v37
	v_and_b32_e32 v51, 7, v37
	v_cmp_ne_u32_e32 vcc_lo, 0, v33
	v_lshlrev_b32_e32 v48, 3, v48
	s_delay_alu instid0(VALU_DEP_1) | instskip(NEXT) | instid1(VALU_DEP_1)
	v_or3_b32 v34, v48, v34, v51
	v_cndmask_b32_e32 v33, 0, v34, vcc_lo
.LBB6_5763:                             ;   in Loop: Header=BB6_5300 Depth=3
	s_or_b32 exec_lo, exec_lo, s30
.LBB6_5764:                             ;   in Loop: Header=BB6_5300 Depth=3
	s_delay_alu instid0(SALU_CYCLE_1) | instskip(SKIP_3) | instid1(VALU_DEP_1)
	s_or_b32 exec_lo, exec_lo, s17
	v_and_b32_e32 v37, 0xff, v27
	s_mov_b32 s13, 0
	s_mov_b32 s30, exec_lo
                                        ; implicit-def: $sgpr17
	v_cmpx_lt_i16_e32 0x7f, v37
	s_xor_b32 s30, exec_lo, s30
	s_cbranch_execnz .LBB6_6042
; %bb.5765:                             ;   in Loop: Header=BB6_5300 Depth=3
	s_or_saveexec_b32 s30, s30
	v_mov_b32_e32 v34, s17
	s_xor_b32 exec_lo, exec_lo, s30
	s_cbranch_execnz .LBB6_6045
.LBB6_5766:                             ;   in Loop: Header=BB6_5300 Depth=3
	s_or_b32 exec_lo, exec_lo, s30
	s_and_saveexec_b32 s17, s13
	s_cbranch_execz .LBB6_5768
.LBB6_5767:                             ;   in Loop: Header=BB6_5300 Depth=3
	v_lshrrev_b16 v51, 3, v27
	s_delay_alu instid0(VALU_DEP_1) | instskip(NEXT) | instid1(VALU_DEP_1)
	v_and_b32_e32 v51, 15, v51
	v_cmp_eq_u32_e32 vcc_lo, 0, v51
	v_and_b32_e32 v34, 7, v27
	s_delay_alu instid0(VALU_DEP_1) | instskip(NEXT) | instid1(VALU_DEP_1)
	v_clz_i32_u32_e32 v37, v34
	v_min_u32_e32 v37, 32, v37
	s_delay_alu instid0(VALU_DEP_1) | instskip(SKIP_1) | instid1(VALU_DEP_1)
	v_subrev_nc_u32_e32 v48, 28, v37
	v_sub_nc_u32_e32 v37, 29, v37
	v_dual_cndmask_b32 v37, v51, v37 :: v_dual_lshlrev_b32 v48, v48, v27
	v_lshlrev_b32_e32 v27, 24, v27
	s_delay_alu instid0(VALU_DEP_2) | instskip(NEXT) | instid1(VALU_DEP_3)
	v_and_b32_e32 v48, 7, v48
	v_lshl_add_u32 v37, v37, 23, 0x3b800000
	s_delay_alu instid0(VALU_DEP_2) | instskip(NEXT) | instid1(VALU_DEP_1)
	v_dual_cndmask_b32 v34, v34, v48 :: v_dual_and_b32 v27, 0x80000000, v27
	v_lshlrev_b32_e32 v34, 20, v34
	s_delay_alu instid0(VALU_DEP_1)
	v_or3_b32 v34, v27, v37, v34
.LBB6_5768:                             ;   in Loop: Header=BB6_5300 Depth=3
	s_or_b32 exec_lo, exec_lo, s17
	s_waitcnt vmcnt(2) lgkmcnt(2)
	v_and_b32_e32 v37, 0xff, v26
	s_mov_b32 s13, 0
	s_mov_b32 s30, exec_lo
                                        ; implicit-def: $sgpr17
	s_delay_alu instid0(VALU_DEP_1)
	v_cmpx_lt_i16_e32 0x7f, v37
	s_xor_b32 s30, exec_lo, s30
	s_cbranch_execnz .LBB6_6046
; %bb.5769:                             ;   in Loop: Header=BB6_5300 Depth=3
	s_or_saveexec_b32 s30, s30
	v_mov_b32_e32 v27, s17
	s_xor_b32 exec_lo, exec_lo, s30
	s_cbranch_execnz .LBB6_6049
.LBB6_5770:                             ;   in Loop: Header=BB6_5300 Depth=3
	s_or_b32 exec_lo, exec_lo, s30
	s_and_saveexec_b32 s17, s13
	s_cbranch_execz .LBB6_5772
.LBB6_5771:                             ;   in Loop: Header=BB6_5300 Depth=3
	v_and_b32_e32 v27, 7, v26
	v_lshrrev_b16 v51, 3, v26
	s_delay_alu instid0(VALU_DEP_2) | instskip(NEXT) | instid1(VALU_DEP_2)
	v_clz_i32_u32_e32 v37, v27
	v_and_b32_e32 v51, 15, v51
	s_delay_alu instid0(VALU_DEP_2) | instskip(NEXT) | instid1(VALU_DEP_2)
	v_min_u32_e32 v37, 32, v37
	v_cmp_eq_u32_e32 vcc_lo, 0, v51
	s_delay_alu instid0(VALU_DEP_2) | instskip(SKIP_1) | instid1(VALU_DEP_1)
	v_subrev_nc_u32_e32 v48, 28, v37
	v_sub_nc_u32_e32 v37, 29, v37
	v_dual_cndmask_b32 v37, v51, v37 :: v_dual_lshlrev_b32 v48, v48, v26
	s_delay_alu instid0(VALU_DEP_1) | instskip(SKIP_1) | instid1(VALU_DEP_3)
	v_and_b32_e32 v48, 7, v48
	v_lshlrev_b32_e32 v26, 24, v26
	v_lshl_add_u32 v37, v37, 23, 0x3b800000
	s_delay_alu instid0(VALU_DEP_2) | instskip(NEXT) | instid1(VALU_DEP_1)
	v_dual_cndmask_b32 v27, v27, v48 :: v_dual_and_b32 v26, 0x80000000, v26
	v_lshlrev_b32_e32 v27, 20, v27
	s_delay_alu instid0(VALU_DEP_1)
	v_or3_b32 v27, v26, v37, v27
.LBB6_5772:                             ;   in Loop: Header=BB6_5300 Depth=3
	s_or_b32 exec_lo, exec_lo, s17
	s_delay_alu instid0(VALU_DEP_1) | instskip(NEXT) | instid1(VALU_DEP_1)
	v_add_f32_e32 v27, v34, v27
	v_and_b32_e32 v26, 0x7f800000, v27
	s_delay_alu instid0(VALU_DEP_1)
	v_cmp_ne_u32_e32 vcc_lo, 0x7f800000, v26
	v_mov_b32_e32 v26, 0x80
	s_and_saveexec_b32 s17, vcc_lo
	s_cbranch_execz .LBB6_5780
; %bb.5773:                             ;   in Loop: Header=BB6_5300 Depth=3
	v_mov_b32_e32 v26, 0
	s_mov_b32 s30, exec_lo
	v_cmpx_ne_u32_e32 0, v27
	s_cbranch_execz .LBB6_5779
; %bb.5774:                             ;   in Loop: Header=BB6_5300 Depth=3
	v_bfe_u32 v26, v27, 23, 8
	s_delay_alu instid0(VALU_DEP_1) | instskip(SKIP_1) | instid1(VALU_DEP_2)
	v_sub_nc_u32_e32 v37, 0x78, v26
	v_cmp_gt_u32_e32 vcc_lo, 0x79, v26
	v_dual_cndmask_b32 v37, 0, v37 :: v_dual_and_b32 v34, 0x7fffff, v27
	s_delay_alu instid0(VALU_DEP_1) | instskip(SKIP_2) | instid1(VALU_DEP_4)
	v_or_b32_e32 v48, 0x800000, v34
	v_cmp_eq_u32_e32 vcc_lo, 0, v26
	v_add_nc_u32_e32 v26, 0xffffff89, v26
	v_cndmask_b32_e64 v37, v37, 0x77, vcc_lo
	s_delay_alu instid0(VALU_DEP_4) | instskip(NEXT) | instid1(VALU_DEP_3)
	v_cndmask_b32_e32 v34, v48, v34, vcc_lo
	v_cndmask_b32_e64 v26, v26, 0xffffff8a, vcc_lo
	s_delay_alu instid0(VALU_DEP_3) | instskip(NEXT) | instid1(VALU_DEP_3)
	v_lshl_add_u32 v48, 0x100000, v37, -1
	v_lshrrev_b32_e32 v51, v37, v34
	v_lshlrev_b32_e64 v115, v37, 0x80000
	s_delay_alu instid0(VALU_DEP_4) | instskip(NEXT) | instid1(VALU_DEP_4)
	v_add_nc_u32_e32 v37, v37, v26
	v_and_b32_e32 v34, v48, v34
	s_delay_alu instid0(VALU_DEP_4) | instskip(NEXT) | instid1(VALU_DEP_2)
	v_bfe_u32 v112, v51, 20, 1
	v_cmp_eq_u32_e64 s13, v34, v115
	s_delay_alu instid0(VALU_DEP_2) | instskip(NEXT) | instid1(VALU_DEP_1)
	v_add_nc_u32_e32 v48, -1, v112
	v_cndmask_b32_e64 v34, 0, v48, s13
	v_lshrrev_b32_e32 v48, 23, v51
	s_mov_b32 s13, exec_lo
	s_delay_alu instid0(VALU_DEP_2) | instskip(NEXT) | instid1(VALU_DEP_2)
	v_add_nc_u32_e32 v34, v34, v51
	v_xor_b32_e32 v48, 1, v48
	s_delay_alu instid0(VALU_DEP_2) | instskip(NEXT) | instid1(VALU_DEP_1)
	v_and_b32_e32 v26, 0xfffff, v34
	v_add_nc_u32_e32 v34, v26, v51
                                        ; implicit-def: $vgpr26
	s_delay_alu instid0(VALU_DEP_3)
	v_cmpx_ne_u32_e64 v37, v48
	s_xor_b32 s13, exec_lo, s13
; %bb.5775:                             ;   in Loop: Header=BB6_5300 Depth=3
	s_delay_alu instid0(VALU_DEP_2) | instskip(SKIP_2) | instid1(VALU_DEP_2)
	v_cmp_lt_u32_e32 vcc_lo, 0xffffff, v34
	v_sub_nc_u32_e32 v26, v37, v48
	v_cndmask_b32_e64 v37, 0, 1, vcc_lo
	v_add_co_ci_u32_e32 v26, vcc_lo, 0, v26, vcc_lo
	s_delay_alu instid0(VALU_DEP_2)
	v_lshrrev_b32_e32 v34, v37, v34
; %bb.5776:                             ;   in Loop: Header=BB6_5300 Depth=3
	s_and_not1_saveexec_b32 s13, s13
; %bb.5777:                             ;   in Loop: Header=BB6_5300 Depth=3
	s_delay_alu instid0(VALU_DEP_1)
	v_bfe_u32 v26, v34, 23, 1
; %bb.5778:                             ;   in Loop: Header=BB6_5300 Depth=3
	s_or_b32 exec_lo, exec_lo, s13
	v_lshrrev_b32_e32 v34, 20, v34
	s_delay_alu instid0(VALU_DEP_2) | instskip(SKIP_2) | instid1(VALU_DEP_2)
	v_cmp_gt_i32_e32 vcc_lo, 16, v26
	v_lshrrev_b32_e32 v27, 24, v27
	v_min_i32_e32 v37, 15, v26
	v_dual_cndmask_b32 v34, 7, v34 :: v_dual_and_b32 v27, 0x80, v27
	s_delay_alu instid0(VALU_DEP_1) | instskip(SKIP_1) | instid1(VALU_DEP_2)
	v_or_b32_e32 v26, v26, v34
	v_and_b32_e32 v48, 7, v34
	v_cmp_ne_u32_e32 vcc_lo, 0, v26
	v_lshlrev_b32_e32 v37, 3, v37
	s_delay_alu instid0(VALU_DEP_1) | instskip(NEXT) | instid1(VALU_DEP_1)
	v_or3_b32 v27, v37, v27, v48
	v_cndmask_b32_e32 v26, 0, v27, vcc_lo
.LBB6_5779:                             ;   in Loop: Header=BB6_5300 Depth=3
	s_or_b32 exec_lo, exec_lo, s30
.LBB6_5780:                             ;   in Loop: Header=BB6_5300 Depth=3
	s_delay_alu instid0(SALU_CYCLE_1) | instskip(SKIP_3) | instid1(VALU_DEP_1)
	s_or_b32 exec_lo, exec_lo, s17
	v_and_b32_e32 v34, 0xff, v24
	s_mov_b32 s13, 0
	s_mov_b32 s30, exec_lo
                                        ; implicit-def: $sgpr17
	v_cmpx_lt_i16_e32 0x7f, v34
	s_xor_b32 s30, exec_lo, s30
	s_cbranch_execnz .LBB6_6050
; %bb.5781:                             ;   in Loop: Header=BB6_5300 Depth=3
	s_or_saveexec_b32 s30, s30
	v_mov_b32_e32 v27, s17
	s_xor_b32 exec_lo, exec_lo, s30
	s_cbranch_execnz .LBB6_6053
.LBB6_5782:                             ;   in Loop: Header=BB6_5300 Depth=3
	s_or_b32 exec_lo, exec_lo, s30
	s_and_saveexec_b32 s17, s13
	s_cbranch_execz .LBB6_5784
.LBB6_5783:                             ;   in Loop: Header=BB6_5300 Depth=3
	v_lshrrev_b16 v48, 3, v24
	s_delay_alu instid0(VALU_DEP_1) | instskip(NEXT) | instid1(VALU_DEP_1)
	v_and_b32_e32 v48, 15, v48
	v_cmp_eq_u32_e32 vcc_lo, 0, v48
	v_and_b32_e32 v27, 7, v24
	s_delay_alu instid0(VALU_DEP_1) | instskip(NEXT) | instid1(VALU_DEP_1)
	v_clz_i32_u32_e32 v34, v27
	v_min_u32_e32 v34, 32, v34
	s_delay_alu instid0(VALU_DEP_1) | instskip(SKIP_1) | instid1(VALU_DEP_1)
	v_subrev_nc_u32_e32 v37, 28, v34
	v_sub_nc_u32_e32 v34, 29, v34
	v_dual_cndmask_b32 v34, v48, v34 :: v_dual_lshlrev_b32 v37, v37, v24
	v_lshlrev_b32_e32 v24, 24, v24
	s_delay_alu instid0(VALU_DEP_2) | instskip(NEXT) | instid1(VALU_DEP_3)
	v_and_b32_e32 v37, 7, v37
	v_lshl_add_u32 v34, v34, 23, 0x3b800000
	s_delay_alu instid0(VALU_DEP_2) | instskip(NEXT) | instid1(VALU_DEP_1)
	v_dual_cndmask_b32 v27, v27, v37 :: v_dual_and_b32 v24, 0x80000000, v24
	v_lshlrev_b32_e32 v27, 20, v27
	s_delay_alu instid0(VALU_DEP_1)
	v_or3_b32 v27, v24, v34, v27
.LBB6_5784:                             ;   in Loop: Header=BB6_5300 Depth=3
	s_or_b32 exec_lo, exec_lo, s17
	s_waitcnt vmcnt(1) lgkmcnt(1)
	v_and_b32_e32 v34, 0xff, v23
	s_mov_b32 s13, 0
	s_mov_b32 s30, exec_lo
                                        ; implicit-def: $sgpr17
	s_delay_alu instid0(VALU_DEP_1)
	v_cmpx_lt_i16_e32 0x7f, v34
	s_xor_b32 s30, exec_lo, s30
	s_cbranch_execnz .LBB6_6054
; %bb.5785:                             ;   in Loop: Header=BB6_5300 Depth=3
	s_or_saveexec_b32 s30, s30
	v_mov_b32_e32 v24, s17
	s_xor_b32 exec_lo, exec_lo, s30
	s_cbranch_execnz .LBB6_6057
.LBB6_5786:                             ;   in Loop: Header=BB6_5300 Depth=3
	s_or_b32 exec_lo, exec_lo, s30
	s_and_saveexec_b32 s17, s13
	s_cbranch_execz .LBB6_5788
.LBB6_5787:                             ;   in Loop: Header=BB6_5300 Depth=3
	v_and_b32_e32 v24, 7, v23
	v_lshrrev_b16 v48, 3, v23
	s_delay_alu instid0(VALU_DEP_2) | instskip(NEXT) | instid1(VALU_DEP_2)
	v_clz_i32_u32_e32 v34, v24
	v_and_b32_e32 v48, 15, v48
	s_delay_alu instid0(VALU_DEP_2) | instskip(NEXT) | instid1(VALU_DEP_2)
	v_min_u32_e32 v34, 32, v34
	v_cmp_eq_u32_e32 vcc_lo, 0, v48
	s_delay_alu instid0(VALU_DEP_2) | instskip(SKIP_1) | instid1(VALU_DEP_1)
	v_subrev_nc_u32_e32 v37, 28, v34
	v_sub_nc_u32_e32 v34, 29, v34
	v_dual_cndmask_b32 v34, v48, v34 :: v_dual_lshlrev_b32 v37, v37, v23
	s_delay_alu instid0(VALU_DEP_1) | instskip(SKIP_1) | instid1(VALU_DEP_3)
	v_and_b32_e32 v37, 7, v37
	v_lshlrev_b32_e32 v23, 24, v23
	v_lshl_add_u32 v34, v34, 23, 0x3b800000
	s_delay_alu instid0(VALU_DEP_2) | instskip(NEXT) | instid1(VALU_DEP_1)
	v_dual_cndmask_b32 v24, v24, v37 :: v_dual_and_b32 v23, 0x80000000, v23
	v_lshlrev_b32_e32 v24, 20, v24
	s_delay_alu instid0(VALU_DEP_1)
	v_or3_b32 v24, v23, v34, v24
.LBB6_5788:                             ;   in Loop: Header=BB6_5300 Depth=3
	s_or_b32 exec_lo, exec_lo, s17
	s_delay_alu instid0(VALU_DEP_1) | instskip(NEXT) | instid1(VALU_DEP_1)
	v_add_f32_e32 v24, v27, v24
	v_and_b32_e32 v23, 0x7f800000, v24
	s_delay_alu instid0(VALU_DEP_1)
	v_cmp_ne_u32_e32 vcc_lo, 0x7f800000, v23
	v_mov_b32_e32 v23, 0x80
	s_and_saveexec_b32 s17, vcc_lo
	s_cbranch_execz .LBB6_5796
; %bb.5789:                             ;   in Loop: Header=BB6_5300 Depth=3
	v_mov_b32_e32 v23, 0
	s_mov_b32 s30, exec_lo
	v_cmpx_ne_u32_e32 0, v24
	s_cbranch_execz .LBB6_5795
; %bb.5790:                             ;   in Loop: Header=BB6_5300 Depth=3
	v_bfe_u32 v23, v24, 23, 8
	s_delay_alu instid0(VALU_DEP_1) | instskip(SKIP_1) | instid1(VALU_DEP_2)
	v_sub_nc_u32_e32 v34, 0x78, v23
	v_cmp_gt_u32_e32 vcc_lo, 0x79, v23
	v_dual_cndmask_b32 v34, 0, v34 :: v_dual_and_b32 v27, 0x7fffff, v24
	s_delay_alu instid0(VALU_DEP_1) | instskip(SKIP_2) | instid1(VALU_DEP_4)
	v_or_b32_e32 v37, 0x800000, v27
	v_cmp_eq_u32_e32 vcc_lo, 0, v23
	v_add_nc_u32_e32 v23, 0xffffff89, v23
	v_cndmask_b32_e64 v34, v34, 0x77, vcc_lo
	s_delay_alu instid0(VALU_DEP_4) | instskip(NEXT) | instid1(VALU_DEP_3)
	v_cndmask_b32_e32 v27, v37, v27, vcc_lo
	v_cndmask_b32_e64 v23, v23, 0xffffff8a, vcc_lo
	s_delay_alu instid0(VALU_DEP_3) | instskip(NEXT) | instid1(VALU_DEP_3)
	v_lshl_add_u32 v37, 0x100000, v34, -1
	v_lshrrev_b32_e32 v48, v34, v27
	v_lshlrev_b32_e64 v112, v34, 0x80000
	s_delay_alu instid0(VALU_DEP_4) | instskip(NEXT) | instid1(VALU_DEP_4)
	v_add_nc_u32_e32 v34, v34, v23
	v_and_b32_e32 v27, v37, v27
	s_delay_alu instid0(VALU_DEP_4) | instskip(NEXT) | instid1(VALU_DEP_2)
	v_bfe_u32 v51, v48, 20, 1
	v_cmp_eq_u32_e64 s13, v27, v112
	s_delay_alu instid0(VALU_DEP_2) | instskip(NEXT) | instid1(VALU_DEP_1)
	v_add_nc_u32_e32 v37, -1, v51
	v_cndmask_b32_e64 v27, 0, v37, s13
	v_lshrrev_b32_e32 v37, 23, v48
	s_mov_b32 s13, exec_lo
	s_delay_alu instid0(VALU_DEP_2) | instskip(NEXT) | instid1(VALU_DEP_2)
	v_add_nc_u32_e32 v27, v27, v48
	v_xor_b32_e32 v37, 1, v37
	s_delay_alu instid0(VALU_DEP_2) | instskip(NEXT) | instid1(VALU_DEP_1)
	v_and_b32_e32 v23, 0xfffff, v27
	v_add_nc_u32_e32 v27, v23, v48
                                        ; implicit-def: $vgpr23
	s_delay_alu instid0(VALU_DEP_3)
	v_cmpx_ne_u32_e64 v34, v37
	s_xor_b32 s13, exec_lo, s13
; %bb.5791:                             ;   in Loop: Header=BB6_5300 Depth=3
	s_delay_alu instid0(VALU_DEP_2) | instskip(SKIP_2) | instid1(VALU_DEP_2)
	v_cmp_lt_u32_e32 vcc_lo, 0xffffff, v27
	v_sub_nc_u32_e32 v23, v34, v37
	v_cndmask_b32_e64 v34, 0, 1, vcc_lo
	v_add_co_ci_u32_e32 v23, vcc_lo, 0, v23, vcc_lo
	s_delay_alu instid0(VALU_DEP_2)
	v_lshrrev_b32_e32 v27, v34, v27
; %bb.5792:                             ;   in Loop: Header=BB6_5300 Depth=3
	s_and_not1_saveexec_b32 s13, s13
; %bb.5793:                             ;   in Loop: Header=BB6_5300 Depth=3
	s_delay_alu instid0(VALU_DEP_1)
	v_bfe_u32 v23, v27, 23, 1
; %bb.5794:                             ;   in Loop: Header=BB6_5300 Depth=3
	s_or_b32 exec_lo, exec_lo, s13
	v_lshrrev_b32_e32 v27, 20, v27
	s_delay_alu instid0(VALU_DEP_2) | instskip(SKIP_2) | instid1(VALU_DEP_2)
	v_cmp_gt_i32_e32 vcc_lo, 16, v23
	v_lshrrev_b32_e32 v24, 24, v24
	v_min_i32_e32 v34, 15, v23
	v_dual_cndmask_b32 v27, 7, v27 :: v_dual_and_b32 v24, 0x80, v24
	s_delay_alu instid0(VALU_DEP_1) | instskip(SKIP_1) | instid1(VALU_DEP_2)
	v_or_b32_e32 v23, v23, v27
	v_and_b32_e32 v37, 7, v27
	v_cmp_ne_u32_e32 vcc_lo, 0, v23
	v_lshlrev_b32_e32 v34, 3, v34
	s_delay_alu instid0(VALU_DEP_1) | instskip(NEXT) | instid1(VALU_DEP_1)
	v_or3_b32 v24, v34, v24, v37
	v_cndmask_b32_e32 v23, 0, v24, vcc_lo
.LBB6_5795:                             ;   in Loop: Header=BB6_5300 Depth=3
	s_or_b32 exec_lo, exec_lo, s30
.LBB6_5796:                             ;   in Loop: Header=BB6_5300 Depth=3
	s_delay_alu instid0(SALU_CYCLE_1) | instskip(SKIP_3) | instid1(VALU_DEP_1)
	s_or_b32 exec_lo, exec_lo, s17
	v_and_b32_e32 v27, 0xff, v21
	s_mov_b32 s13, 0
	s_mov_b32 s30, exec_lo
                                        ; implicit-def: $sgpr17
	v_cmpx_lt_i16_e32 0x7f, v27
	s_xor_b32 s30, exec_lo, s30
	s_cbranch_execnz .LBB6_6058
; %bb.5797:                             ;   in Loop: Header=BB6_5300 Depth=3
	s_or_saveexec_b32 s30, s30
	v_mov_b32_e32 v24, s17
	s_xor_b32 exec_lo, exec_lo, s30
	s_cbranch_execnz .LBB6_6061
.LBB6_5798:                             ;   in Loop: Header=BB6_5300 Depth=3
	s_or_b32 exec_lo, exec_lo, s30
	s_and_saveexec_b32 s17, s13
	s_cbranch_execz .LBB6_5800
.LBB6_5799:                             ;   in Loop: Header=BB6_5300 Depth=3
	v_lshrrev_b16 v37, 3, v21
	s_delay_alu instid0(VALU_DEP_1) | instskip(NEXT) | instid1(VALU_DEP_1)
	v_and_b32_e32 v37, 15, v37
	v_cmp_eq_u32_e32 vcc_lo, 0, v37
	v_and_b32_e32 v24, 7, v21
	s_delay_alu instid0(VALU_DEP_1) | instskip(NEXT) | instid1(VALU_DEP_1)
	v_clz_i32_u32_e32 v27, v24
	v_min_u32_e32 v27, 32, v27
	s_delay_alu instid0(VALU_DEP_1) | instskip(SKIP_1) | instid1(VALU_DEP_1)
	v_subrev_nc_u32_e32 v34, 28, v27
	v_sub_nc_u32_e32 v27, 29, v27
	v_dual_cndmask_b32 v27, v37, v27 :: v_dual_lshlrev_b32 v34, v34, v21
	v_lshlrev_b32_e32 v21, 24, v21
	s_delay_alu instid0(VALU_DEP_2) | instskip(NEXT) | instid1(VALU_DEP_3)
	v_and_b32_e32 v34, 7, v34
	v_lshl_add_u32 v27, v27, 23, 0x3b800000
	s_delay_alu instid0(VALU_DEP_2) | instskip(NEXT) | instid1(VALU_DEP_1)
	v_dual_cndmask_b32 v24, v24, v34 :: v_dual_and_b32 v21, 0x80000000, v21
	v_lshlrev_b32_e32 v24, 20, v24
	s_delay_alu instid0(VALU_DEP_1)
	v_or3_b32 v24, v21, v27, v24
.LBB6_5800:                             ;   in Loop: Header=BB6_5300 Depth=3
	s_or_b32 exec_lo, exec_lo, s17
	s_waitcnt vmcnt(0) lgkmcnt(0)
	v_and_b32_e32 v27, 0xff, v20
	s_mov_b32 s13, 0
	s_mov_b32 s30, exec_lo
                                        ; implicit-def: $sgpr17
	s_delay_alu instid0(VALU_DEP_1)
	v_cmpx_lt_i16_e32 0x7f, v27
	s_xor_b32 s30, exec_lo, s30
	s_cbranch_execnz .LBB6_6062
; %bb.5801:                             ;   in Loop: Header=BB6_5300 Depth=3
	s_or_saveexec_b32 s30, s30
	v_mov_b32_e32 v21, s17
	s_xor_b32 exec_lo, exec_lo, s30
	s_cbranch_execnz .LBB6_6065
.LBB6_5802:                             ;   in Loop: Header=BB6_5300 Depth=3
	s_or_b32 exec_lo, exec_lo, s30
	s_and_saveexec_b32 s17, s13
	s_cbranch_execz .LBB6_5804
.LBB6_5803:                             ;   in Loop: Header=BB6_5300 Depth=3
	v_and_b32_e32 v21, 7, v20
	v_lshrrev_b16 v37, 3, v20
	s_delay_alu instid0(VALU_DEP_2) | instskip(NEXT) | instid1(VALU_DEP_2)
	v_clz_i32_u32_e32 v27, v21
	v_and_b32_e32 v37, 15, v37
	s_delay_alu instid0(VALU_DEP_2) | instskip(NEXT) | instid1(VALU_DEP_2)
	v_min_u32_e32 v27, 32, v27
	v_cmp_eq_u32_e32 vcc_lo, 0, v37
	s_delay_alu instid0(VALU_DEP_2) | instskip(SKIP_1) | instid1(VALU_DEP_1)
	v_subrev_nc_u32_e32 v34, 28, v27
	v_sub_nc_u32_e32 v27, 29, v27
	v_dual_cndmask_b32 v27, v37, v27 :: v_dual_lshlrev_b32 v34, v34, v20
	s_delay_alu instid0(VALU_DEP_1) | instskip(SKIP_1) | instid1(VALU_DEP_3)
	v_and_b32_e32 v34, 7, v34
	v_lshlrev_b32_e32 v20, 24, v20
	v_lshl_add_u32 v27, v27, 23, 0x3b800000
	s_delay_alu instid0(VALU_DEP_2) | instskip(NEXT) | instid1(VALU_DEP_1)
	v_dual_cndmask_b32 v21, v21, v34 :: v_dual_and_b32 v20, 0x80000000, v20
	v_lshlrev_b32_e32 v21, 20, v21
	s_delay_alu instid0(VALU_DEP_1)
	v_or3_b32 v21, v20, v27, v21
.LBB6_5804:                             ;   in Loop: Header=BB6_5300 Depth=3
	s_or_b32 exec_lo, exec_lo, s17
	s_delay_alu instid0(VALU_DEP_1) | instskip(NEXT) | instid1(VALU_DEP_1)
	v_add_f32_e32 v20, v24, v21
	v_and_b32_e32 v21, 0x7f800000, v20
	s_delay_alu instid0(VALU_DEP_1)
	v_cmp_ne_u32_e32 vcc_lo, 0x7f800000, v21
	v_mov_b32_e32 v21, 0x80
	s_and_saveexec_b32 s17, vcc_lo
	s_cbranch_execz .LBB6_5299
; %bb.5805:                             ;   in Loop: Header=BB6_5300 Depth=3
	v_mov_b32_e32 v21, 0
	s_mov_b32 s30, exec_lo
	v_cmpx_ne_u32_e32 0, v20
	s_cbranch_execz .LBB6_5298
; %bb.5806:                             ;   in Loop: Header=BB6_5300 Depth=3
	v_bfe_u32 v21, v20, 23, 8
	s_delay_alu instid0(VALU_DEP_1) | instskip(SKIP_1) | instid1(VALU_DEP_2)
	v_sub_nc_u32_e32 v27, 0x78, v21
	v_cmp_gt_u32_e32 vcc_lo, 0x79, v21
	v_dual_cndmask_b32 v27, 0, v27 :: v_dual_and_b32 v24, 0x7fffff, v20
	s_delay_alu instid0(VALU_DEP_1) | instskip(SKIP_2) | instid1(VALU_DEP_4)
	v_or_b32_e32 v34, 0x800000, v24
	v_cmp_eq_u32_e32 vcc_lo, 0, v21
	v_add_nc_u32_e32 v21, 0xffffff89, v21
	v_cndmask_b32_e64 v27, v27, 0x77, vcc_lo
	s_delay_alu instid0(VALU_DEP_4) | instskip(NEXT) | instid1(VALU_DEP_3)
	v_cndmask_b32_e32 v24, v34, v24, vcc_lo
	v_cndmask_b32_e64 v21, v21, 0xffffff8a, vcc_lo
	s_delay_alu instid0(VALU_DEP_3) | instskip(NEXT) | instid1(VALU_DEP_3)
	v_lshl_add_u32 v34, 0x100000, v27, -1
	v_lshrrev_b32_e32 v37, v27, v24
	v_lshlrev_b32_e64 v51, v27, 0x80000
	s_delay_alu instid0(VALU_DEP_4) | instskip(NEXT) | instid1(VALU_DEP_4)
	v_add_nc_u32_e32 v27, v27, v21
	v_and_b32_e32 v24, v34, v24
	s_delay_alu instid0(VALU_DEP_4) | instskip(NEXT) | instid1(VALU_DEP_2)
	v_bfe_u32 v48, v37, 20, 1
	v_cmp_eq_u32_e64 s13, v24, v51
	s_delay_alu instid0(VALU_DEP_2) | instskip(NEXT) | instid1(VALU_DEP_1)
	v_add_nc_u32_e32 v34, -1, v48
	v_cndmask_b32_e64 v24, 0, v34, s13
	v_lshrrev_b32_e32 v34, 23, v37
	s_mov_b32 s13, exec_lo
	s_delay_alu instid0(VALU_DEP_2) | instskip(NEXT) | instid1(VALU_DEP_2)
	v_add_nc_u32_e32 v24, v24, v37
	v_xor_b32_e32 v34, 1, v34
	s_delay_alu instid0(VALU_DEP_2) | instskip(NEXT) | instid1(VALU_DEP_1)
	v_and_b32_e32 v21, 0xfffff, v24
	v_add_nc_u32_e32 v24, v21, v37
                                        ; implicit-def: $vgpr21
	s_delay_alu instid0(VALU_DEP_3)
	v_cmpx_ne_u32_e64 v27, v34
	s_xor_b32 s13, exec_lo, s13
; %bb.5807:                             ;   in Loop: Header=BB6_5300 Depth=3
	s_delay_alu instid0(VALU_DEP_2) | instskip(SKIP_2) | instid1(VALU_DEP_2)
	v_cmp_lt_u32_e32 vcc_lo, 0xffffff, v24
	v_sub_nc_u32_e32 v21, v27, v34
	v_cndmask_b32_e64 v27, 0, 1, vcc_lo
	v_add_co_ci_u32_e32 v21, vcc_lo, 0, v21, vcc_lo
	s_delay_alu instid0(VALU_DEP_2)
	v_lshrrev_b32_e32 v24, v27, v24
; %bb.5808:                             ;   in Loop: Header=BB6_5300 Depth=3
	s_and_not1_saveexec_b32 s13, s13
	s_cbranch_execz .LBB6_5297
; %bb.5809:                             ;   in Loop: Header=BB6_5300 Depth=3
	s_delay_alu instid0(VALU_DEP_1)
	v_bfe_u32 v21, v24, 23, 1
	s_branch .LBB6_5297
.LBB6_5810:                             ;   in Loop: Header=BB6_5300 Depth=3
	s_mov_b32 s13, -1
	s_mov_b32 s31, exec_lo
                                        ; implicit-def: $sgpr17
	v_cmpx_eq_u16_e32 0x80, v106
; %bb.5811:                             ;   in Loop: Header=BB6_5300 Depth=3
	s_mov_b32 s17, 0x7f800001
	s_xor_b32 s13, exec_lo, -1
; %bb.5812:                             ;   in Loop: Header=BB6_5300 Depth=3
	s_or_b32 exec_lo, exec_lo, s31
	s_delay_alu instid0(SALU_CYCLE_1)
	s_and_b32 s13, s13, exec_lo
	s_or_saveexec_b32 s30, s30
	v_mov_b32_e32 v107, s17
	s_xor_b32 exec_lo, exec_lo, s30
	s_cbranch_execz .LBB6_5302
.LBB6_5813:                             ;   in Loop: Header=BB6_5300 Depth=3
	v_cmp_ne_u16_e32 vcc_lo, 0, v106
	v_mov_b32_e32 v107, 0
	s_and_not1_b32 s13, s13, exec_lo
	s_and_b32 s17, vcc_lo, exec_lo
	s_delay_alu instid0(SALU_CYCLE_1)
	s_or_b32 s13, s13, s17
	s_or_b32 exec_lo, exec_lo, s30
	s_and_saveexec_b32 s17, s13
	s_cbranch_execnz .LBB6_5303
	s_branch .LBB6_5304
.LBB6_5814:                             ;   in Loop: Header=BB6_5300 Depth=3
	s_mov_b32 s13, -1
	s_mov_b32 s31, exec_lo
                                        ; implicit-def: $sgpr17
	v_cmpx_eq_u16_e32 0x80, v108
; %bb.5815:                             ;   in Loop: Header=BB6_5300 Depth=3
	s_mov_b32 s17, 0x7f800001
	s_xor_b32 s13, exec_lo, -1
; %bb.5816:                             ;   in Loop: Header=BB6_5300 Depth=3
	s_or_b32 exec_lo, exec_lo, s31
	s_delay_alu instid0(SALU_CYCLE_1)
	s_and_b32 s13, s13, exec_lo
                                        ; implicit-def: $vgpr108
	s_or_saveexec_b32 s30, s30
	v_mov_b32_e32 v106, s17
	s_xor_b32 exec_lo, exec_lo, s30
	s_cbranch_execz .LBB6_5306
.LBB6_5817:                             ;   in Loop: Header=BB6_5300 Depth=3
	v_cmp_ne_u16_e32 vcc_lo, 0, v108
	v_mov_b32_e32 v106, 0
	s_and_not1_b32 s13, s13, exec_lo
	s_and_b32 s17, vcc_lo, exec_lo
	s_delay_alu instid0(SALU_CYCLE_1)
	s_or_b32 s13, s13, s17
	s_or_b32 exec_lo, exec_lo, s30
	s_and_saveexec_b32 s17, s13
	s_cbranch_execnz .LBB6_5307
	s_branch .LBB6_5308
.LBB6_5818:                             ;   in Loop: Header=BB6_5300 Depth=3
	s_mov_b32 s13, -1
	s_mov_b32 s31, exec_lo
                                        ; implicit-def: $sgpr17
	v_cmpx_eq_u16_e32 0x80, v107
; %bb.5819:                             ;   in Loop: Header=BB6_5300 Depth=3
	s_mov_b32 s17, 0x7f800001
	s_xor_b32 s13, exec_lo, -1
; %bb.5820:                             ;   in Loop: Header=BB6_5300 Depth=3
	s_or_b32 exec_lo, exec_lo, s31
	s_delay_alu instid0(SALU_CYCLE_1)
	s_and_b32 s13, s13, exec_lo
                                        ; implicit-def: $vgpr107
	s_or_saveexec_b32 s30, s30
	v_mov_b32_e32 v106, s17
	s_xor_b32 exec_lo, exec_lo, s30
	s_cbranch_execz .LBB6_5318
.LBB6_5821:                             ;   in Loop: Header=BB6_5300 Depth=3
	v_cmp_ne_u16_e32 vcc_lo, 0, v107
	v_mov_b32_e32 v106, 0
	s_and_not1_b32 s13, s13, exec_lo
	s_and_b32 s17, vcc_lo, exec_lo
	s_delay_alu instid0(SALU_CYCLE_1)
	s_or_b32 s13, s13, s17
	s_or_b32 exec_lo, exec_lo, s30
	s_and_saveexec_b32 s17, s13
	s_cbranch_execnz .LBB6_5319
	s_branch .LBB6_5320
.LBB6_5822:                             ;   in Loop: Header=BB6_5300 Depth=3
	s_mov_b32 s13, -1
	s_mov_b32 s31, exec_lo
                                        ; implicit-def: $sgpr17
	v_cmpx_eq_u16_e32 0x80, v107
; %bb.5823:                             ;   in Loop: Header=BB6_5300 Depth=3
	s_mov_b32 s17, 0x7f800001
	s_xor_b32 s13, exec_lo, -1
; %bb.5824:                             ;   in Loop: Header=BB6_5300 Depth=3
	s_or_b32 exec_lo, exec_lo, s31
	s_delay_alu instid0(SALU_CYCLE_1)
	s_and_b32 s13, s13, exec_lo
                                        ; implicit-def: $vgpr107
	s_or_saveexec_b32 s30, s30
	v_mov_b32_e32 v105, s17
	s_xor_b32 exec_lo, exec_lo, s30
	s_cbranch_execz .LBB6_5322
.LBB6_5825:                             ;   in Loop: Header=BB6_5300 Depth=3
	v_cmp_ne_u16_e32 vcc_lo, 0, v107
	v_mov_b32_e32 v105, 0
	s_and_not1_b32 s13, s13, exec_lo
	s_and_b32 s17, vcc_lo, exec_lo
	s_delay_alu instid0(SALU_CYCLE_1)
	s_or_b32 s13, s13, s17
	s_or_b32 exec_lo, exec_lo, s30
	s_and_saveexec_b32 s17, s13
	s_cbranch_execnz .LBB6_5323
	s_branch .LBB6_5324
.LBB6_5826:                             ;   in Loop: Header=BB6_5300 Depth=3
	s_mov_b32 s13, -1
	s_mov_b32 s31, exec_lo
                                        ; implicit-def: $sgpr17
	v_cmpx_eq_u16_e32 0x80, v106
; %bb.5827:                             ;   in Loop: Header=BB6_5300 Depth=3
	s_mov_b32 s17, 0x7f800001
	s_xor_b32 s13, exec_lo, -1
; %bb.5828:                             ;   in Loop: Header=BB6_5300 Depth=3
	s_or_b32 exec_lo, exec_lo, s31
	s_delay_alu instid0(SALU_CYCLE_1)
	s_and_b32 s13, s13, exec_lo
                                        ; implicit-def: $vgpr106
	s_or_saveexec_b32 s30, s30
	v_mov_b32_e32 v105, s17
	s_xor_b32 exec_lo, exec_lo, s30
	s_cbranch_execz .LBB6_5334
.LBB6_5829:                             ;   in Loop: Header=BB6_5300 Depth=3
	v_cmp_ne_u16_e32 vcc_lo, 0, v106
	v_mov_b32_e32 v105, 0
	s_and_not1_b32 s13, s13, exec_lo
	s_and_b32 s17, vcc_lo, exec_lo
	s_delay_alu instid0(SALU_CYCLE_1)
	s_or_b32 s13, s13, s17
	s_or_b32 exec_lo, exec_lo, s30
	s_and_saveexec_b32 s17, s13
	s_cbranch_execnz .LBB6_5335
	s_branch .LBB6_5336
.LBB6_5830:                             ;   in Loop: Header=BB6_5300 Depth=3
	s_mov_b32 s13, -1
	s_mov_b32 s31, exec_lo
                                        ; implicit-def: $sgpr17
	v_cmpx_eq_u16_e32 0x80, v106
; %bb.5831:                             ;   in Loop: Header=BB6_5300 Depth=3
	s_mov_b32 s17, 0x7f800001
	s_xor_b32 s13, exec_lo, -1
; %bb.5832:                             ;   in Loop: Header=BB6_5300 Depth=3
	s_or_b32 exec_lo, exec_lo, s31
	s_delay_alu instid0(SALU_CYCLE_1)
	s_and_b32 s13, s13, exec_lo
                                        ; implicit-def: $vgpr106
	s_or_saveexec_b32 s30, s30
	v_mov_b32_e32 v104, s17
	s_xor_b32 exec_lo, exec_lo, s30
	s_cbranch_execz .LBB6_5338
.LBB6_5833:                             ;   in Loop: Header=BB6_5300 Depth=3
	v_cmp_ne_u16_e32 vcc_lo, 0, v106
	v_mov_b32_e32 v104, 0
	s_and_not1_b32 s13, s13, exec_lo
	s_and_b32 s17, vcc_lo, exec_lo
	s_delay_alu instid0(SALU_CYCLE_1)
	s_or_b32 s13, s13, s17
	s_or_b32 exec_lo, exec_lo, s30
	s_and_saveexec_b32 s17, s13
	s_cbranch_execnz .LBB6_5339
	s_branch .LBB6_5340
.LBB6_5834:                             ;   in Loop: Header=BB6_5300 Depth=3
	s_mov_b32 s13, -1
	s_mov_b32 s31, exec_lo
                                        ; implicit-def: $sgpr17
	v_cmpx_eq_u16_e32 0x80, v105
; %bb.5835:                             ;   in Loop: Header=BB6_5300 Depth=3
	s_mov_b32 s17, 0x7f800001
	s_xor_b32 s13, exec_lo, -1
; %bb.5836:                             ;   in Loop: Header=BB6_5300 Depth=3
	s_or_b32 exec_lo, exec_lo, s31
	s_delay_alu instid0(SALU_CYCLE_1)
	s_and_b32 s13, s13, exec_lo
                                        ; implicit-def: $vgpr105
	s_or_saveexec_b32 s30, s30
	v_mov_b32_e32 v104, s17
	s_xor_b32 exec_lo, exec_lo, s30
	s_cbranch_execz .LBB6_5350
.LBB6_5837:                             ;   in Loop: Header=BB6_5300 Depth=3
	v_cmp_ne_u16_e32 vcc_lo, 0, v105
	v_mov_b32_e32 v104, 0
	s_and_not1_b32 s13, s13, exec_lo
	s_and_b32 s17, vcc_lo, exec_lo
	s_delay_alu instid0(SALU_CYCLE_1)
	s_or_b32 s13, s13, s17
	s_or_b32 exec_lo, exec_lo, s30
	s_and_saveexec_b32 s17, s13
	s_cbranch_execnz .LBB6_5351
	s_branch .LBB6_5352
.LBB6_5838:                             ;   in Loop: Header=BB6_5300 Depth=3
	s_mov_b32 s13, -1
	s_mov_b32 s31, exec_lo
                                        ; implicit-def: $sgpr17
	v_cmpx_eq_u16_e32 0x80, v105
; %bb.5839:                             ;   in Loop: Header=BB6_5300 Depth=3
	s_mov_b32 s17, 0x7f800001
	s_xor_b32 s13, exec_lo, -1
; %bb.5840:                             ;   in Loop: Header=BB6_5300 Depth=3
	s_or_b32 exec_lo, exec_lo, s31
	s_delay_alu instid0(SALU_CYCLE_1)
	s_and_b32 s13, s13, exec_lo
                                        ; implicit-def: $vgpr105
	s_or_saveexec_b32 s30, s30
	v_mov_b32_e32 v95, s17
	s_xor_b32 exec_lo, exec_lo, s30
	s_cbranch_execz .LBB6_5354
.LBB6_5841:                             ;   in Loop: Header=BB6_5300 Depth=3
	v_cmp_ne_u16_e32 vcc_lo, 0, v105
	v_mov_b32_e32 v95, 0
	s_and_not1_b32 s13, s13, exec_lo
	s_and_b32 s17, vcc_lo, exec_lo
	s_delay_alu instid0(SALU_CYCLE_1)
	s_or_b32 s13, s13, s17
	s_or_b32 exec_lo, exec_lo, s30
	s_and_saveexec_b32 s17, s13
	s_cbranch_execnz .LBB6_5355
	s_branch .LBB6_5356
.LBB6_5842:                             ;   in Loop: Header=BB6_5300 Depth=3
	s_mov_b32 s13, -1
	s_mov_b32 s31, exec_lo
                                        ; implicit-def: $sgpr17
	v_cmpx_eq_u16_e32 0x80, v104
; %bb.5843:                             ;   in Loop: Header=BB6_5300 Depth=3
	s_mov_b32 s17, 0x7f800001
	s_xor_b32 s13, exec_lo, -1
; %bb.5844:                             ;   in Loop: Header=BB6_5300 Depth=3
	s_or_b32 exec_lo, exec_lo, s31
	s_delay_alu instid0(SALU_CYCLE_1)
	s_and_b32 s13, s13, exec_lo
                                        ; implicit-def: $vgpr104
	s_or_saveexec_b32 s30, s30
	v_mov_b32_e32 v95, s17
	s_xor_b32 exec_lo, exec_lo, s30
	s_cbranch_execz .LBB6_5366
.LBB6_5845:                             ;   in Loop: Header=BB6_5300 Depth=3
	v_cmp_ne_u16_e32 vcc_lo, 0, v104
	v_mov_b32_e32 v95, 0
	s_and_not1_b32 s13, s13, exec_lo
	s_and_b32 s17, vcc_lo, exec_lo
	s_delay_alu instid0(SALU_CYCLE_1)
	s_or_b32 s13, s13, s17
	s_or_b32 exec_lo, exec_lo, s30
	s_and_saveexec_b32 s17, s13
	s_cbranch_execnz .LBB6_5367
	s_branch .LBB6_5368
.LBB6_5846:                             ;   in Loop: Header=BB6_5300 Depth=3
	s_mov_b32 s13, -1
	s_mov_b32 s31, exec_lo
                                        ; implicit-def: $sgpr17
	v_cmpx_eq_u16_e32 0x80, v104
; %bb.5847:                             ;   in Loop: Header=BB6_5300 Depth=3
	s_mov_b32 s17, 0x7f800001
	s_xor_b32 s13, exec_lo, -1
; %bb.5848:                             ;   in Loop: Header=BB6_5300 Depth=3
	s_or_b32 exec_lo, exec_lo, s31
	s_delay_alu instid0(SALU_CYCLE_1)
	s_and_b32 s13, s13, exec_lo
                                        ; implicit-def: $vgpr104
	s_or_saveexec_b32 s30, s30
	v_mov_b32_e32 v94, s17
	s_xor_b32 exec_lo, exec_lo, s30
	s_cbranch_execz .LBB6_5370
.LBB6_5849:                             ;   in Loop: Header=BB6_5300 Depth=3
	v_cmp_ne_u16_e32 vcc_lo, 0, v104
	v_mov_b32_e32 v94, 0
	s_and_not1_b32 s13, s13, exec_lo
	s_and_b32 s17, vcc_lo, exec_lo
	s_delay_alu instid0(SALU_CYCLE_1)
	s_or_b32 s13, s13, s17
	s_or_b32 exec_lo, exec_lo, s30
	s_and_saveexec_b32 s17, s13
	s_cbranch_execnz .LBB6_5371
	s_branch .LBB6_5372
.LBB6_5850:                             ;   in Loop: Header=BB6_5300 Depth=3
	s_mov_b32 s13, -1
	s_mov_b32 s31, exec_lo
                                        ; implicit-def: $sgpr17
	v_cmpx_eq_u16_e32 0x80, v95
; %bb.5851:                             ;   in Loop: Header=BB6_5300 Depth=3
	s_mov_b32 s17, 0x7f800001
	s_xor_b32 s13, exec_lo, -1
; %bb.5852:                             ;   in Loop: Header=BB6_5300 Depth=3
	s_or_b32 exec_lo, exec_lo, s31
	s_delay_alu instid0(SALU_CYCLE_1)
	s_and_b32 s13, s13, exec_lo
                                        ; implicit-def: $vgpr95
	s_or_saveexec_b32 s30, s30
	v_mov_b32_e32 v94, s17
	s_xor_b32 exec_lo, exec_lo, s30
	s_cbranch_execz .LBB6_5382
.LBB6_5853:                             ;   in Loop: Header=BB6_5300 Depth=3
	v_cmp_ne_u16_e32 vcc_lo, 0, v95
	v_mov_b32_e32 v94, 0
	s_and_not1_b32 s13, s13, exec_lo
	s_and_b32 s17, vcc_lo, exec_lo
	s_delay_alu instid0(SALU_CYCLE_1)
	s_or_b32 s13, s13, s17
	s_or_b32 exec_lo, exec_lo, s30
	s_and_saveexec_b32 s17, s13
	s_cbranch_execnz .LBB6_5383
	s_branch .LBB6_5384
.LBB6_5854:                             ;   in Loop: Header=BB6_5300 Depth=3
	s_mov_b32 s13, -1
	s_mov_b32 s31, exec_lo
                                        ; implicit-def: $sgpr17
	v_cmpx_eq_u16_e32 0x80, v95
; %bb.5855:                             ;   in Loop: Header=BB6_5300 Depth=3
	s_mov_b32 s17, 0x7f800001
	s_xor_b32 s13, exec_lo, -1
; %bb.5856:                             ;   in Loop: Header=BB6_5300 Depth=3
	s_or_b32 exec_lo, exec_lo, s31
	s_delay_alu instid0(SALU_CYCLE_1)
	s_and_b32 s13, s13, exec_lo
                                        ; implicit-def: $vgpr95
	s_or_saveexec_b32 s30, s30
	v_mov_b32_e32 v93, s17
	s_xor_b32 exec_lo, exec_lo, s30
	s_cbranch_execz .LBB6_5386
.LBB6_5857:                             ;   in Loop: Header=BB6_5300 Depth=3
	v_cmp_ne_u16_e32 vcc_lo, 0, v95
	v_mov_b32_e32 v93, 0
	s_and_not1_b32 s13, s13, exec_lo
	s_and_b32 s17, vcc_lo, exec_lo
	s_delay_alu instid0(SALU_CYCLE_1)
	s_or_b32 s13, s13, s17
	s_or_b32 exec_lo, exec_lo, s30
	s_and_saveexec_b32 s17, s13
	s_cbranch_execnz .LBB6_5387
	s_branch .LBB6_5388
.LBB6_5858:                             ;   in Loop: Header=BB6_5300 Depth=3
	s_mov_b32 s13, -1
	s_mov_b32 s31, exec_lo
                                        ; implicit-def: $sgpr17
	v_cmpx_eq_u16_e32 0x80, v94
; %bb.5859:                             ;   in Loop: Header=BB6_5300 Depth=3
	s_mov_b32 s17, 0x7f800001
	s_xor_b32 s13, exec_lo, -1
; %bb.5860:                             ;   in Loop: Header=BB6_5300 Depth=3
	s_or_b32 exec_lo, exec_lo, s31
	s_delay_alu instid0(SALU_CYCLE_1)
	s_and_b32 s13, s13, exec_lo
                                        ; implicit-def: $vgpr94
	s_or_saveexec_b32 s30, s30
	v_mov_b32_e32 v93, s17
	s_xor_b32 exec_lo, exec_lo, s30
	s_cbranch_execz .LBB6_5398
.LBB6_5861:                             ;   in Loop: Header=BB6_5300 Depth=3
	v_cmp_ne_u16_e32 vcc_lo, 0, v94
	v_mov_b32_e32 v93, 0
	s_and_not1_b32 s13, s13, exec_lo
	s_and_b32 s17, vcc_lo, exec_lo
	s_delay_alu instid0(SALU_CYCLE_1)
	s_or_b32 s13, s13, s17
	s_or_b32 exec_lo, exec_lo, s30
	s_and_saveexec_b32 s17, s13
	s_cbranch_execnz .LBB6_5399
	s_branch .LBB6_5400
.LBB6_5862:                             ;   in Loop: Header=BB6_5300 Depth=3
	s_mov_b32 s13, -1
	s_mov_b32 s31, exec_lo
                                        ; implicit-def: $sgpr17
	v_cmpx_eq_u16_e32 0x80, v94
; %bb.5863:                             ;   in Loop: Header=BB6_5300 Depth=3
	s_mov_b32 s17, 0x7f800001
	s_xor_b32 s13, exec_lo, -1
; %bb.5864:                             ;   in Loop: Header=BB6_5300 Depth=3
	s_or_b32 exec_lo, exec_lo, s31
	s_delay_alu instid0(SALU_CYCLE_1)
	s_and_b32 s13, s13, exec_lo
                                        ; implicit-def: $vgpr94
	s_or_saveexec_b32 s30, s30
	v_mov_b32_e32 v92, s17
	s_xor_b32 exec_lo, exec_lo, s30
	s_cbranch_execz .LBB6_5402
.LBB6_5865:                             ;   in Loop: Header=BB6_5300 Depth=3
	v_cmp_ne_u16_e32 vcc_lo, 0, v94
	v_mov_b32_e32 v92, 0
	s_and_not1_b32 s13, s13, exec_lo
	s_and_b32 s17, vcc_lo, exec_lo
	s_delay_alu instid0(SALU_CYCLE_1)
	s_or_b32 s13, s13, s17
	s_or_b32 exec_lo, exec_lo, s30
	s_and_saveexec_b32 s17, s13
	s_cbranch_execnz .LBB6_5403
	s_branch .LBB6_5404
.LBB6_5866:                             ;   in Loop: Header=BB6_5300 Depth=3
	s_mov_b32 s13, -1
	s_mov_b32 s31, exec_lo
                                        ; implicit-def: $sgpr17
	v_cmpx_eq_u16_e32 0x80, v93
; %bb.5867:                             ;   in Loop: Header=BB6_5300 Depth=3
	s_mov_b32 s17, 0x7f800001
	s_xor_b32 s13, exec_lo, -1
; %bb.5868:                             ;   in Loop: Header=BB6_5300 Depth=3
	s_or_b32 exec_lo, exec_lo, s31
	s_delay_alu instid0(SALU_CYCLE_1)
	s_and_b32 s13, s13, exec_lo
                                        ; implicit-def: $vgpr93
	s_or_saveexec_b32 s30, s30
	v_mov_b32_e32 v92, s17
	s_xor_b32 exec_lo, exec_lo, s30
	s_cbranch_execz .LBB6_5414
.LBB6_5869:                             ;   in Loop: Header=BB6_5300 Depth=3
	v_cmp_ne_u16_e32 vcc_lo, 0, v93
	v_mov_b32_e32 v92, 0
	s_and_not1_b32 s13, s13, exec_lo
	s_and_b32 s17, vcc_lo, exec_lo
	s_delay_alu instid0(SALU_CYCLE_1)
	s_or_b32 s13, s13, s17
	s_or_b32 exec_lo, exec_lo, s30
	s_and_saveexec_b32 s17, s13
	s_cbranch_execnz .LBB6_5415
	s_branch .LBB6_5416
.LBB6_5870:                             ;   in Loop: Header=BB6_5300 Depth=3
	s_mov_b32 s13, -1
	s_mov_b32 s31, exec_lo
                                        ; implicit-def: $sgpr17
	v_cmpx_eq_u16_e32 0x80, v93
; %bb.5871:                             ;   in Loop: Header=BB6_5300 Depth=3
	s_mov_b32 s17, 0x7f800001
	s_xor_b32 s13, exec_lo, -1
; %bb.5872:                             ;   in Loop: Header=BB6_5300 Depth=3
	s_or_b32 exec_lo, exec_lo, s31
	s_delay_alu instid0(SALU_CYCLE_1)
	s_and_b32 s13, s13, exec_lo
                                        ; implicit-def: $vgpr93
	s_or_saveexec_b32 s30, s30
	v_mov_b32_e32 v91, s17
	s_xor_b32 exec_lo, exec_lo, s30
	s_cbranch_execz .LBB6_5418
.LBB6_5873:                             ;   in Loop: Header=BB6_5300 Depth=3
	v_cmp_ne_u16_e32 vcc_lo, 0, v93
	v_mov_b32_e32 v91, 0
	s_and_not1_b32 s13, s13, exec_lo
	s_and_b32 s17, vcc_lo, exec_lo
	s_delay_alu instid0(SALU_CYCLE_1)
	s_or_b32 s13, s13, s17
	s_or_b32 exec_lo, exec_lo, s30
	s_and_saveexec_b32 s17, s13
	s_cbranch_execnz .LBB6_5419
	s_branch .LBB6_5420
.LBB6_5874:                             ;   in Loop: Header=BB6_5300 Depth=3
	s_mov_b32 s13, -1
	s_mov_b32 s31, exec_lo
                                        ; implicit-def: $sgpr17
	v_cmpx_eq_u16_e32 0x80, v92
; %bb.5875:                             ;   in Loop: Header=BB6_5300 Depth=3
	s_mov_b32 s17, 0x7f800001
	s_xor_b32 s13, exec_lo, -1
; %bb.5876:                             ;   in Loop: Header=BB6_5300 Depth=3
	s_or_b32 exec_lo, exec_lo, s31
	s_delay_alu instid0(SALU_CYCLE_1)
	s_and_b32 s13, s13, exec_lo
                                        ; implicit-def: $vgpr92
	s_or_saveexec_b32 s30, s30
	v_mov_b32_e32 v91, s17
	s_xor_b32 exec_lo, exec_lo, s30
	s_cbranch_execz .LBB6_5430
.LBB6_5877:                             ;   in Loop: Header=BB6_5300 Depth=3
	v_cmp_ne_u16_e32 vcc_lo, 0, v92
	v_mov_b32_e32 v91, 0
	s_and_not1_b32 s13, s13, exec_lo
	s_and_b32 s17, vcc_lo, exec_lo
	s_delay_alu instid0(SALU_CYCLE_1)
	s_or_b32 s13, s13, s17
	s_or_b32 exec_lo, exec_lo, s30
	s_and_saveexec_b32 s17, s13
	s_cbranch_execnz .LBB6_5431
	s_branch .LBB6_5432
.LBB6_5878:                             ;   in Loop: Header=BB6_5300 Depth=3
	s_mov_b32 s13, -1
	s_mov_b32 s31, exec_lo
                                        ; implicit-def: $sgpr17
	v_cmpx_eq_u16_e32 0x80, v92
; %bb.5879:                             ;   in Loop: Header=BB6_5300 Depth=3
	s_mov_b32 s17, 0x7f800001
	s_xor_b32 s13, exec_lo, -1
; %bb.5880:                             ;   in Loop: Header=BB6_5300 Depth=3
	s_or_b32 exec_lo, exec_lo, s31
	s_delay_alu instid0(SALU_CYCLE_1)
	s_and_b32 s13, s13, exec_lo
                                        ; implicit-def: $vgpr92
	s_or_saveexec_b32 s30, s30
	v_mov_b32_e32 v90, s17
	s_xor_b32 exec_lo, exec_lo, s30
	s_cbranch_execz .LBB6_5434
.LBB6_5881:                             ;   in Loop: Header=BB6_5300 Depth=3
	v_cmp_ne_u16_e32 vcc_lo, 0, v92
	v_mov_b32_e32 v90, 0
	s_and_not1_b32 s13, s13, exec_lo
	s_and_b32 s17, vcc_lo, exec_lo
	s_delay_alu instid0(SALU_CYCLE_1)
	s_or_b32 s13, s13, s17
	s_or_b32 exec_lo, exec_lo, s30
	s_and_saveexec_b32 s17, s13
	s_cbranch_execnz .LBB6_5435
	s_branch .LBB6_5436
.LBB6_5882:                             ;   in Loop: Header=BB6_5300 Depth=3
	s_mov_b32 s13, -1
	s_mov_b32 s31, exec_lo
                                        ; implicit-def: $sgpr17
	v_cmpx_eq_u16_e32 0x80, v91
; %bb.5883:                             ;   in Loop: Header=BB6_5300 Depth=3
	s_mov_b32 s17, 0x7f800001
	s_xor_b32 s13, exec_lo, -1
; %bb.5884:                             ;   in Loop: Header=BB6_5300 Depth=3
	s_or_b32 exec_lo, exec_lo, s31
	s_delay_alu instid0(SALU_CYCLE_1)
	s_and_b32 s13, s13, exec_lo
                                        ; implicit-def: $vgpr91
	s_or_saveexec_b32 s30, s30
	v_mov_b32_e32 v90, s17
	s_xor_b32 exec_lo, exec_lo, s30
	s_cbranch_execz .LBB6_5446
.LBB6_5885:                             ;   in Loop: Header=BB6_5300 Depth=3
	v_cmp_ne_u16_e32 vcc_lo, 0, v91
	v_mov_b32_e32 v90, 0
	s_and_not1_b32 s13, s13, exec_lo
	s_and_b32 s17, vcc_lo, exec_lo
	s_delay_alu instid0(SALU_CYCLE_1)
	s_or_b32 s13, s13, s17
	s_or_b32 exec_lo, exec_lo, s30
	s_and_saveexec_b32 s17, s13
	s_cbranch_execnz .LBB6_5447
	s_branch .LBB6_5448
.LBB6_5886:                             ;   in Loop: Header=BB6_5300 Depth=3
	s_mov_b32 s13, -1
	s_mov_b32 s31, exec_lo
                                        ; implicit-def: $sgpr17
	v_cmpx_eq_u16_e32 0x80, v91
; %bb.5887:                             ;   in Loop: Header=BB6_5300 Depth=3
	s_mov_b32 s17, 0x7f800001
	s_xor_b32 s13, exec_lo, -1
; %bb.5888:                             ;   in Loop: Header=BB6_5300 Depth=3
	s_or_b32 exec_lo, exec_lo, s31
	s_delay_alu instid0(SALU_CYCLE_1)
	s_and_b32 s13, s13, exec_lo
                                        ; implicit-def: $vgpr91
	s_or_saveexec_b32 s30, s30
	v_mov_b32_e32 v89, s17
	s_xor_b32 exec_lo, exec_lo, s30
	s_cbranch_execz .LBB6_5450
.LBB6_5889:                             ;   in Loop: Header=BB6_5300 Depth=3
	v_cmp_ne_u16_e32 vcc_lo, 0, v91
	v_mov_b32_e32 v89, 0
	s_and_not1_b32 s13, s13, exec_lo
	s_and_b32 s17, vcc_lo, exec_lo
	s_delay_alu instid0(SALU_CYCLE_1)
	s_or_b32 s13, s13, s17
	s_or_b32 exec_lo, exec_lo, s30
	s_and_saveexec_b32 s17, s13
	s_cbranch_execnz .LBB6_5451
	s_branch .LBB6_5452
.LBB6_5890:                             ;   in Loop: Header=BB6_5300 Depth=3
	s_mov_b32 s13, -1
	s_mov_b32 s31, exec_lo
                                        ; implicit-def: $sgpr17
	v_cmpx_eq_u16_e32 0x80, v90
; %bb.5891:                             ;   in Loop: Header=BB6_5300 Depth=3
	s_mov_b32 s17, 0x7f800001
	s_xor_b32 s13, exec_lo, -1
; %bb.5892:                             ;   in Loop: Header=BB6_5300 Depth=3
	s_or_b32 exec_lo, exec_lo, s31
	s_delay_alu instid0(SALU_CYCLE_1)
	s_and_b32 s13, s13, exec_lo
                                        ; implicit-def: $vgpr90
	s_or_saveexec_b32 s30, s30
	v_mov_b32_e32 v89, s17
	s_xor_b32 exec_lo, exec_lo, s30
	s_cbranch_execz .LBB6_5462
.LBB6_5893:                             ;   in Loop: Header=BB6_5300 Depth=3
	v_cmp_ne_u16_e32 vcc_lo, 0, v90
	v_mov_b32_e32 v89, 0
	s_and_not1_b32 s13, s13, exec_lo
	s_and_b32 s17, vcc_lo, exec_lo
	s_delay_alu instid0(SALU_CYCLE_1)
	s_or_b32 s13, s13, s17
	s_or_b32 exec_lo, exec_lo, s30
	s_and_saveexec_b32 s17, s13
	s_cbranch_execnz .LBB6_5463
	s_branch .LBB6_5464
.LBB6_5894:                             ;   in Loop: Header=BB6_5300 Depth=3
	s_mov_b32 s13, -1
	s_mov_b32 s31, exec_lo
                                        ; implicit-def: $sgpr17
	v_cmpx_eq_u16_e32 0x80, v90
; %bb.5895:                             ;   in Loop: Header=BB6_5300 Depth=3
	s_mov_b32 s17, 0x7f800001
	s_xor_b32 s13, exec_lo, -1
; %bb.5896:                             ;   in Loop: Header=BB6_5300 Depth=3
	s_or_b32 exec_lo, exec_lo, s31
	s_delay_alu instid0(SALU_CYCLE_1)
	s_and_b32 s13, s13, exec_lo
                                        ; implicit-def: $vgpr90
	s_or_saveexec_b32 s30, s30
	v_mov_b32_e32 v88, s17
	s_xor_b32 exec_lo, exec_lo, s30
	s_cbranch_execz .LBB6_5466
.LBB6_5897:                             ;   in Loop: Header=BB6_5300 Depth=3
	v_cmp_ne_u16_e32 vcc_lo, 0, v90
	v_mov_b32_e32 v88, 0
	s_and_not1_b32 s13, s13, exec_lo
	s_and_b32 s17, vcc_lo, exec_lo
	s_delay_alu instid0(SALU_CYCLE_1)
	s_or_b32 s13, s13, s17
	s_or_b32 exec_lo, exec_lo, s30
	s_and_saveexec_b32 s17, s13
	s_cbranch_execnz .LBB6_5467
	s_branch .LBB6_5468
.LBB6_5898:                             ;   in Loop: Header=BB6_5300 Depth=3
	s_mov_b32 s13, -1
	s_mov_b32 s31, exec_lo
                                        ; implicit-def: $sgpr17
	v_cmpx_eq_u16_e32 0x80, v89
; %bb.5899:                             ;   in Loop: Header=BB6_5300 Depth=3
	s_mov_b32 s17, 0x7f800001
	s_xor_b32 s13, exec_lo, -1
; %bb.5900:                             ;   in Loop: Header=BB6_5300 Depth=3
	s_or_b32 exec_lo, exec_lo, s31
	s_delay_alu instid0(SALU_CYCLE_1)
	s_and_b32 s13, s13, exec_lo
                                        ; implicit-def: $vgpr89
	s_or_saveexec_b32 s30, s30
	v_mov_b32_e32 v88, s17
	s_xor_b32 exec_lo, exec_lo, s30
	s_cbranch_execz .LBB6_5478
.LBB6_5901:                             ;   in Loop: Header=BB6_5300 Depth=3
	v_cmp_ne_u16_e32 vcc_lo, 0, v89
	v_mov_b32_e32 v88, 0
	s_and_not1_b32 s13, s13, exec_lo
	s_and_b32 s17, vcc_lo, exec_lo
	s_delay_alu instid0(SALU_CYCLE_1)
	s_or_b32 s13, s13, s17
	s_or_b32 exec_lo, exec_lo, s30
	s_and_saveexec_b32 s17, s13
	s_cbranch_execnz .LBB6_5479
	s_branch .LBB6_5480
.LBB6_5902:                             ;   in Loop: Header=BB6_5300 Depth=3
	s_mov_b32 s13, -1
	s_mov_b32 s31, exec_lo
                                        ; implicit-def: $sgpr17
	v_cmpx_eq_u16_e32 0x80, v89
; %bb.5903:                             ;   in Loop: Header=BB6_5300 Depth=3
	s_mov_b32 s17, 0x7f800001
	s_xor_b32 s13, exec_lo, -1
; %bb.5904:                             ;   in Loop: Header=BB6_5300 Depth=3
	s_or_b32 exec_lo, exec_lo, s31
	s_delay_alu instid0(SALU_CYCLE_1)
	s_and_b32 s13, s13, exec_lo
                                        ; implicit-def: $vgpr89
	s_or_saveexec_b32 s30, s30
	v_mov_b32_e32 v79, s17
	s_xor_b32 exec_lo, exec_lo, s30
	s_cbranch_execz .LBB6_5482
.LBB6_5905:                             ;   in Loop: Header=BB6_5300 Depth=3
	v_cmp_ne_u16_e32 vcc_lo, 0, v89
	v_mov_b32_e32 v79, 0
	s_and_not1_b32 s13, s13, exec_lo
	s_and_b32 s17, vcc_lo, exec_lo
	s_delay_alu instid0(SALU_CYCLE_1)
	s_or_b32 s13, s13, s17
	s_or_b32 exec_lo, exec_lo, s30
	s_and_saveexec_b32 s17, s13
	s_cbranch_execnz .LBB6_5483
	s_branch .LBB6_5484
.LBB6_5906:                             ;   in Loop: Header=BB6_5300 Depth=3
	s_mov_b32 s13, -1
	s_mov_b32 s31, exec_lo
                                        ; implicit-def: $sgpr17
	v_cmpx_eq_u16_e32 0x80, v88
; %bb.5907:                             ;   in Loop: Header=BB6_5300 Depth=3
	s_mov_b32 s17, 0x7f800001
	s_xor_b32 s13, exec_lo, -1
; %bb.5908:                             ;   in Loop: Header=BB6_5300 Depth=3
	s_or_b32 exec_lo, exec_lo, s31
	s_delay_alu instid0(SALU_CYCLE_1)
	s_and_b32 s13, s13, exec_lo
                                        ; implicit-def: $vgpr88
	s_or_saveexec_b32 s30, s30
	v_mov_b32_e32 v79, s17
	s_xor_b32 exec_lo, exec_lo, s30
	s_cbranch_execz .LBB6_5494
.LBB6_5909:                             ;   in Loop: Header=BB6_5300 Depth=3
	v_cmp_ne_u16_e32 vcc_lo, 0, v88
	v_mov_b32_e32 v79, 0
	s_and_not1_b32 s13, s13, exec_lo
	s_and_b32 s17, vcc_lo, exec_lo
	s_delay_alu instid0(SALU_CYCLE_1)
	s_or_b32 s13, s13, s17
	s_or_b32 exec_lo, exec_lo, s30
	s_and_saveexec_b32 s17, s13
	s_cbranch_execnz .LBB6_5495
	s_branch .LBB6_5496
.LBB6_5910:                             ;   in Loop: Header=BB6_5300 Depth=3
	s_mov_b32 s13, -1
	s_mov_b32 s31, exec_lo
                                        ; implicit-def: $sgpr17
	v_cmpx_eq_u16_e32 0x80, v88
; %bb.5911:                             ;   in Loop: Header=BB6_5300 Depth=3
	s_mov_b32 s17, 0x7f800001
	s_xor_b32 s13, exec_lo, -1
; %bb.5912:                             ;   in Loop: Header=BB6_5300 Depth=3
	s_or_b32 exec_lo, exec_lo, s31
	s_delay_alu instid0(SALU_CYCLE_1)
	s_and_b32 s13, s13, exec_lo
                                        ; implicit-def: $vgpr88
	s_or_saveexec_b32 s30, s30
	v_mov_b32_e32 v78, s17
	s_xor_b32 exec_lo, exec_lo, s30
	s_cbranch_execz .LBB6_5498
.LBB6_5913:                             ;   in Loop: Header=BB6_5300 Depth=3
	v_cmp_ne_u16_e32 vcc_lo, 0, v88
	v_mov_b32_e32 v78, 0
	s_and_not1_b32 s13, s13, exec_lo
	s_and_b32 s17, vcc_lo, exec_lo
	s_delay_alu instid0(SALU_CYCLE_1)
	s_or_b32 s13, s13, s17
	s_or_b32 exec_lo, exec_lo, s30
	s_and_saveexec_b32 s17, s13
	s_cbranch_execnz .LBB6_5499
	s_branch .LBB6_5500
.LBB6_5914:                             ;   in Loop: Header=BB6_5300 Depth=3
	s_mov_b32 s13, -1
	s_mov_b32 s31, exec_lo
                                        ; implicit-def: $sgpr17
	v_cmpx_eq_u16_e32 0x80, v79
; %bb.5915:                             ;   in Loop: Header=BB6_5300 Depth=3
	s_mov_b32 s17, 0x7f800001
	s_xor_b32 s13, exec_lo, -1
; %bb.5916:                             ;   in Loop: Header=BB6_5300 Depth=3
	s_or_b32 exec_lo, exec_lo, s31
	s_delay_alu instid0(SALU_CYCLE_1)
	s_and_b32 s13, s13, exec_lo
                                        ; implicit-def: $vgpr79
	s_or_saveexec_b32 s30, s30
	v_mov_b32_e32 v78, s17
	s_xor_b32 exec_lo, exec_lo, s30
	s_cbranch_execz .LBB6_5510
.LBB6_5917:                             ;   in Loop: Header=BB6_5300 Depth=3
	v_cmp_ne_u16_e32 vcc_lo, 0, v79
	v_mov_b32_e32 v78, 0
	s_and_not1_b32 s13, s13, exec_lo
	s_and_b32 s17, vcc_lo, exec_lo
	s_delay_alu instid0(SALU_CYCLE_1)
	s_or_b32 s13, s13, s17
	s_or_b32 exec_lo, exec_lo, s30
	s_and_saveexec_b32 s17, s13
	s_cbranch_execnz .LBB6_5511
	s_branch .LBB6_5512
.LBB6_5918:                             ;   in Loop: Header=BB6_5300 Depth=3
	s_mov_b32 s13, -1
	s_mov_b32 s31, exec_lo
                                        ; implicit-def: $sgpr17
	v_cmpx_eq_u16_e32 0x80, v79
; %bb.5919:                             ;   in Loop: Header=BB6_5300 Depth=3
	s_mov_b32 s17, 0x7f800001
	s_xor_b32 s13, exec_lo, -1
; %bb.5920:                             ;   in Loop: Header=BB6_5300 Depth=3
	s_or_b32 exec_lo, exec_lo, s31
	s_delay_alu instid0(SALU_CYCLE_1)
	s_and_b32 s13, s13, exec_lo
                                        ; implicit-def: $vgpr79
	s_or_saveexec_b32 s30, s30
	v_mov_b32_e32 v77, s17
	s_xor_b32 exec_lo, exec_lo, s30
	s_cbranch_execz .LBB6_5514
.LBB6_5921:                             ;   in Loop: Header=BB6_5300 Depth=3
	v_cmp_ne_u16_e32 vcc_lo, 0, v79
	v_mov_b32_e32 v77, 0
	s_and_not1_b32 s13, s13, exec_lo
	s_and_b32 s17, vcc_lo, exec_lo
	s_delay_alu instid0(SALU_CYCLE_1)
	s_or_b32 s13, s13, s17
	s_or_b32 exec_lo, exec_lo, s30
	s_and_saveexec_b32 s17, s13
	s_cbranch_execnz .LBB6_5515
	s_branch .LBB6_5516
.LBB6_5922:                             ;   in Loop: Header=BB6_5300 Depth=3
	s_mov_b32 s13, -1
	s_mov_b32 s31, exec_lo
                                        ; implicit-def: $sgpr17
	v_cmpx_eq_u16_e32 0x80, v78
; %bb.5923:                             ;   in Loop: Header=BB6_5300 Depth=3
	s_mov_b32 s17, 0x7f800001
	s_xor_b32 s13, exec_lo, -1
; %bb.5924:                             ;   in Loop: Header=BB6_5300 Depth=3
	s_or_b32 exec_lo, exec_lo, s31
	s_delay_alu instid0(SALU_CYCLE_1)
	s_and_b32 s13, s13, exec_lo
                                        ; implicit-def: $vgpr78
	s_or_saveexec_b32 s30, s30
	v_mov_b32_e32 v77, s17
	s_xor_b32 exec_lo, exec_lo, s30
	s_cbranch_execz .LBB6_5526
.LBB6_5925:                             ;   in Loop: Header=BB6_5300 Depth=3
	v_cmp_ne_u16_e32 vcc_lo, 0, v78
	v_mov_b32_e32 v77, 0
	s_and_not1_b32 s13, s13, exec_lo
	s_and_b32 s17, vcc_lo, exec_lo
	s_delay_alu instid0(SALU_CYCLE_1)
	s_or_b32 s13, s13, s17
	s_or_b32 exec_lo, exec_lo, s30
	s_and_saveexec_b32 s17, s13
	s_cbranch_execnz .LBB6_5527
	s_branch .LBB6_5528
.LBB6_5926:                             ;   in Loop: Header=BB6_5300 Depth=3
	s_mov_b32 s13, -1
	s_mov_b32 s31, exec_lo
                                        ; implicit-def: $sgpr17
	v_cmpx_eq_u16_e32 0x80, v78
; %bb.5927:                             ;   in Loop: Header=BB6_5300 Depth=3
	s_mov_b32 s17, 0x7f800001
	s_xor_b32 s13, exec_lo, -1
; %bb.5928:                             ;   in Loop: Header=BB6_5300 Depth=3
	s_or_b32 exec_lo, exec_lo, s31
	s_delay_alu instid0(SALU_CYCLE_1)
	s_and_b32 s13, s13, exec_lo
                                        ; implicit-def: $vgpr78
	s_or_saveexec_b32 s30, s30
	v_mov_b32_e32 v76, s17
	s_xor_b32 exec_lo, exec_lo, s30
	s_cbranch_execz .LBB6_5530
.LBB6_5929:                             ;   in Loop: Header=BB6_5300 Depth=3
	v_cmp_ne_u16_e32 vcc_lo, 0, v78
	v_mov_b32_e32 v76, 0
	s_and_not1_b32 s13, s13, exec_lo
	s_and_b32 s17, vcc_lo, exec_lo
	s_delay_alu instid0(SALU_CYCLE_1)
	s_or_b32 s13, s13, s17
	s_or_b32 exec_lo, exec_lo, s30
	s_and_saveexec_b32 s17, s13
	s_cbranch_execnz .LBB6_5531
	s_branch .LBB6_5532
.LBB6_5930:                             ;   in Loop: Header=BB6_5300 Depth=3
	s_mov_b32 s13, -1
	s_mov_b32 s31, exec_lo
                                        ; implicit-def: $sgpr17
	v_cmpx_eq_u16_e32 0x80, v77
; %bb.5931:                             ;   in Loop: Header=BB6_5300 Depth=3
	s_mov_b32 s17, 0x7f800001
	s_xor_b32 s13, exec_lo, -1
; %bb.5932:                             ;   in Loop: Header=BB6_5300 Depth=3
	s_or_b32 exec_lo, exec_lo, s31
	s_delay_alu instid0(SALU_CYCLE_1)
	s_and_b32 s13, s13, exec_lo
                                        ; implicit-def: $vgpr77
	s_or_saveexec_b32 s30, s30
	v_mov_b32_e32 v76, s17
	s_xor_b32 exec_lo, exec_lo, s30
	s_cbranch_execz .LBB6_5542
.LBB6_5933:                             ;   in Loop: Header=BB6_5300 Depth=3
	v_cmp_ne_u16_e32 vcc_lo, 0, v77
	v_mov_b32_e32 v76, 0
	s_and_not1_b32 s13, s13, exec_lo
	s_and_b32 s17, vcc_lo, exec_lo
	s_delay_alu instid0(SALU_CYCLE_1)
	s_or_b32 s13, s13, s17
	s_or_b32 exec_lo, exec_lo, s30
	s_and_saveexec_b32 s17, s13
	s_cbranch_execnz .LBB6_5543
	s_branch .LBB6_5544
.LBB6_5934:                             ;   in Loop: Header=BB6_5300 Depth=3
	s_mov_b32 s13, -1
	s_mov_b32 s31, exec_lo
                                        ; implicit-def: $sgpr17
	v_cmpx_eq_u16_e32 0x80, v77
; %bb.5935:                             ;   in Loop: Header=BB6_5300 Depth=3
	s_mov_b32 s17, 0x7f800001
	s_xor_b32 s13, exec_lo, -1
; %bb.5936:                             ;   in Loop: Header=BB6_5300 Depth=3
	s_or_b32 exec_lo, exec_lo, s31
	s_delay_alu instid0(SALU_CYCLE_1)
	s_and_b32 s13, s13, exec_lo
                                        ; implicit-def: $vgpr77
	s_or_saveexec_b32 s30, s30
	v_mov_b32_e32 v75, s17
	s_xor_b32 exec_lo, exec_lo, s30
	s_cbranch_execz .LBB6_5546
.LBB6_5937:                             ;   in Loop: Header=BB6_5300 Depth=3
	v_cmp_ne_u16_e32 vcc_lo, 0, v77
	v_mov_b32_e32 v75, 0
	s_and_not1_b32 s13, s13, exec_lo
	s_and_b32 s17, vcc_lo, exec_lo
	s_delay_alu instid0(SALU_CYCLE_1)
	s_or_b32 s13, s13, s17
	s_or_b32 exec_lo, exec_lo, s30
	s_and_saveexec_b32 s17, s13
	s_cbranch_execnz .LBB6_5547
	s_branch .LBB6_5548
.LBB6_5938:                             ;   in Loop: Header=BB6_5300 Depth=3
	s_mov_b32 s13, -1
	s_mov_b32 s31, exec_lo
                                        ; implicit-def: $sgpr17
	v_cmpx_eq_u16_e32 0x80, v76
; %bb.5939:                             ;   in Loop: Header=BB6_5300 Depth=3
	s_mov_b32 s17, 0x7f800001
	s_xor_b32 s13, exec_lo, -1
; %bb.5940:                             ;   in Loop: Header=BB6_5300 Depth=3
	s_or_b32 exec_lo, exec_lo, s31
	s_delay_alu instid0(SALU_CYCLE_1)
	s_and_b32 s13, s13, exec_lo
                                        ; implicit-def: $vgpr76
	s_or_saveexec_b32 s30, s30
	v_mov_b32_e32 v75, s17
	s_xor_b32 exec_lo, exec_lo, s30
	s_cbranch_execz .LBB6_5558
.LBB6_5941:                             ;   in Loop: Header=BB6_5300 Depth=3
	v_cmp_ne_u16_e32 vcc_lo, 0, v76
	v_mov_b32_e32 v75, 0
	s_and_not1_b32 s13, s13, exec_lo
	s_and_b32 s17, vcc_lo, exec_lo
	s_delay_alu instid0(SALU_CYCLE_1)
	s_or_b32 s13, s13, s17
	s_or_b32 exec_lo, exec_lo, s30
	s_and_saveexec_b32 s17, s13
	s_cbranch_execnz .LBB6_5559
	s_branch .LBB6_5560
.LBB6_5942:                             ;   in Loop: Header=BB6_5300 Depth=3
	s_mov_b32 s13, -1
	s_mov_b32 s31, exec_lo
                                        ; implicit-def: $sgpr17
	v_cmpx_eq_u16_e32 0x80, v76
; %bb.5943:                             ;   in Loop: Header=BB6_5300 Depth=3
	s_mov_b32 s17, 0x7f800001
	s_xor_b32 s13, exec_lo, -1
; %bb.5944:                             ;   in Loop: Header=BB6_5300 Depth=3
	s_or_b32 exec_lo, exec_lo, s31
	s_delay_alu instid0(SALU_CYCLE_1)
	s_and_b32 s13, s13, exec_lo
                                        ; implicit-def: $vgpr76
	s_or_saveexec_b32 s30, s30
	v_mov_b32_e32 v73, s17
	s_xor_b32 exec_lo, exec_lo, s30
	s_cbranch_execz .LBB6_5562
.LBB6_5945:                             ;   in Loop: Header=BB6_5300 Depth=3
	v_cmp_ne_u16_e32 vcc_lo, 0, v76
	v_mov_b32_e32 v73, 0
	s_and_not1_b32 s13, s13, exec_lo
	s_and_b32 s17, vcc_lo, exec_lo
	s_delay_alu instid0(SALU_CYCLE_1)
	s_or_b32 s13, s13, s17
	s_or_b32 exec_lo, exec_lo, s30
	s_and_saveexec_b32 s17, s13
	s_cbranch_execnz .LBB6_5563
	s_branch .LBB6_5564
.LBB6_5946:                             ;   in Loop: Header=BB6_5300 Depth=3
	s_mov_b32 s13, -1
	s_mov_b32 s31, exec_lo
                                        ; implicit-def: $sgpr17
	v_cmpx_eq_u16_e32 0x80, v75
; %bb.5947:                             ;   in Loop: Header=BB6_5300 Depth=3
	s_mov_b32 s17, 0x7f800001
	s_xor_b32 s13, exec_lo, -1
; %bb.5948:                             ;   in Loop: Header=BB6_5300 Depth=3
	s_or_b32 exec_lo, exec_lo, s31
	s_delay_alu instid0(SALU_CYCLE_1)
	s_and_b32 s13, s13, exec_lo
                                        ; implicit-def: $vgpr75
	s_or_saveexec_b32 s30, s30
	v_mov_b32_e32 v73, s17
	s_xor_b32 exec_lo, exec_lo, s30
	s_cbranch_execz .LBB6_5574
.LBB6_5949:                             ;   in Loop: Header=BB6_5300 Depth=3
	v_cmp_ne_u16_e32 vcc_lo, 0, v75
	v_mov_b32_e32 v73, 0
	s_and_not1_b32 s13, s13, exec_lo
	s_and_b32 s17, vcc_lo, exec_lo
	s_delay_alu instid0(SALU_CYCLE_1)
	s_or_b32 s13, s13, s17
	s_or_b32 exec_lo, exec_lo, s30
	s_and_saveexec_b32 s17, s13
	s_cbranch_execnz .LBB6_5575
	s_branch .LBB6_5576
.LBB6_5950:                             ;   in Loop: Header=BB6_5300 Depth=3
	s_mov_b32 s13, -1
	s_mov_b32 s31, exec_lo
                                        ; implicit-def: $sgpr17
	v_cmpx_eq_u16_e32 0x80, v75
; %bb.5951:                             ;   in Loop: Header=BB6_5300 Depth=3
	s_mov_b32 s17, 0x7f800001
	s_xor_b32 s13, exec_lo, -1
; %bb.5952:                             ;   in Loop: Header=BB6_5300 Depth=3
	s_or_b32 exec_lo, exec_lo, s31
	s_delay_alu instid0(SALU_CYCLE_1)
	s_and_b32 s13, s13, exec_lo
                                        ; implicit-def: $vgpr75
	s_or_saveexec_b32 s30, s30
	v_mov_b32_e32 v62, s17
	s_xor_b32 exec_lo, exec_lo, s30
	s_cbranch_execz .LBB6_5578
.LBB6_5953:                             ;   in Loop: Header=BB6_5300 Depth=3
	v_cmp_ne_u16_e32 vcc_lo, 0, v75
	v_mov_b32_e32 v62, 0
	s_and_not1_b32 s13, s13, exec_lo
	s_and_b32 s17, vcc_lo, exec_lo
	s_delay_alu instid0(SALU_CYCLE_1)
	s_or_b32 s13, s13, s17
	s_or_b32 exec_lo, exec_lo, s30
	s_and_saveexec_b32 s17, s13
	s_cbranch_execnz .LBB6_5579
	s_branch .LBB6_5580
.LBB6_5954:                             ;   in Loop: Header=BB6_5300 Depth=3
	s_mov_b32 s13, -1
	s_mov_b32 s31, exec_lo
                                        ; implicit-def: $sgpr17
	v_cmpx_eq_u16_e32 0x80, v73
; %bb.5955:                             ;   in Loop: Header=BB6_5300 Depth=3
	s_mov_b32 s17, 0x7f800001
	s_xor_b32 s13, exec_lo, -1
; %bb.5956:                             ;   in Loop: Header=BB6_5300 Depth=3
	s_or_b32 exec_lo, exec_lo, s31
	s_delay_alu instid0(SALU_CYCLE_1)
	s_and_b32 s13, s13, exec_lo
                                        ; implicit-def: $vgpr73
	s_or_saveexec_b32 s30, s30
	v_mov_b32_e32 v62, s17
	s_xor_b32 exec_lo, exec_lo, s30
	s_cbranch_execz .LBB6_5590
.LBB6_5957:                             ;   in Loop: Header=BB6_5300 Depth=3
	v_cmp_ne_u16_e32 vcc_lo, 0, v73
	v_mov_b32_e32 v62, 0
	s_and_not1_b32 s13, s13, exec_lo
	s_and_b32 s17, vcc_lo, exec_lo
	s_delay_alu instid0(SALU_CYCLE_1)
	s_or_b32 s13, s13, s17
	s_or_b32 exec_lo, exec_lo, s30
	s_and_saveexec_b32 s17, s13
	s_cbranch_execnz .LBB6_5591
	s_branch .LBB6_5592
.LBB6_5958:                             ;   in Loop: Header=BB6_5300 Depth=3
	s_mov_b32 s13, -1
	s_mov_b32 s31, exec_lo
                                        ; implicit-def: $sgpr17
	v_cmpx_eq_u16_e32 0x80, v73
; %bb.5959:                             ;   in Loop: Header=BB6_5300 Depth=3
	s_mov_b32 s17, 0x7f800001
	s_xor_b32 s13, exec_lo, -1
; %bb.5960:                             ;   in Loop: Header=BB6_5300 Depth=3
	s_or_b32 exec_lo, exec_lo, s31
	s_delay_alu instid0(SALU_CYCLE_1)
	s_and_b32 s13, s13, exec_lo
                                        ; implicit-def: $vgpr73
	s_or_saveexec_b32 s30, s30
	v_mov_b32_e32 v59, s17
	s_xor_b32 exec_lo, exec_lo, s30
	s_cbranch_execz .LBB6_5594
.LBB6_5961:                             ;   in Loop: Header=BB6_5300 Depth=3
	v_cmp_ne_u16_e32 vcc_lo, 0, v73
	v_mov_b32_e32 v59, 0
	s_and_not1_b32 s13, s13, exec_lo
	s_and_b32 s17, vcc_lo, exec_lo
	s_delay_alu instid0(SALU_CYCLE_1)
	s_or_b32 s13, s13, s17
	s_or_b32 exec_lo, exec_lo, s30
	s_and_saveexec_b32 s17, s13
	s_cbranch_execnz .LBB6_5595
	s_branch .LBB6_5596
.LBB6_5962:                             ;   in Loop: Header=BB6_5300 Depth=3
	s_mov_b32 s13, -1
	s_mov_b32 s31, exec_lo
                                        ; implicit-def: $sgpr17
	v_cmpx_eq_u16_e32 0x80, v62
; %bb.5963:                             ;   in Loop: Header=BB6_5300 Depth=3
	s_mov_b32 s17, 0x7f800001
	s_xor_b32 s13, exec_lo, -1
; %bb.5964:                             ;   in Loop: Header=BB6_5300 Depth=3
	s_or_b32 exec_lo, exec_lo, s31
	s_delay_alu instid0(SALU_CYCLE_1)
	s_and_b32 s13, s13, exec_lo
                                        ; implicit-def: $vgpr62
	s_or_saveexec_b32 s30, s30
	v_mov_b32_e32 v59, s17
	s_xor_b32 exec_lo, exec_lo, s30
	s_cbranch_execz .LBB6_5606
.LBB6_5965:                             ;   in Loop: Header=BB6_5300 Depth=3
	v_cmp_ne_u16_e32 vcc_lo, 0, v62
	v_mov_b32_e32 v59, 0
	s_and_not1_b32 s13, s13, exec_lo
	s_and_b32 s17, vcc_lo, exec_lo
	s_delay_alu instid0(SALU_CYCLE_1)
	s_or_b32 s13, s13, s17
	s_or_b32 exec_lo, exec_lo, s30
	s_and_saveexec_b32 s17, s13
	s_cbranch_execnz .LBB6_5607
	s_branch .LBB6_5608
.LBB6_5966:                             ;   in Loop: Header=BB6_5300 Depth=3
	s_mov_b32 s13, -1
	s_mov_b32 s31, exec_lo
                                        ; implicit-def: $sgpr17
	v_cmpx_eq_u16_e32 0x80, v62
; %bb.5967:                             ;   in Loop: Header=BB6_5300 Depth=3
	s_mov_b32 s17, 0x7f800001
	s_xor_b32 s13, exec_lo, -1
; %bb.5968:                             ;   in Loop: Header=BB6_5300 Depth=3
	s_or_b32 exec_lo, exec_lo, s31
	s_delay_alu instid0(SALU_CYCLE_1)
	s_and_b32 s13, s13, exec_lo
                                        ; implicit-def: $vgpr62
	s_or_saveexec_b32 s30, s30
	v_mov_b32_e32 v56, s17
	s_xor_b32 exec_lo, exec_lo, s30
	s_cbranch_execz .LBB6_5610
.LBB6_5969:                             ;   in Loop: Header=BB6_5300 Depth=3
	v_cmp_ne_u16_e32 vcc_lo, 0, v62
	v_mov_b32_e32 v56, 0
	s_and_not1_b32 s13, s13, exec_lo
	s_and_b32 s17, vcc_lo, exec_lo
	s_delay_alu instid0(SALU_CYCLE_1)
	s_or_b32 s13, s13, s17
	s_or_b32 exec_lo, exec_lo, s30
	s_and_saveexec_b32 s17, s13
	s_cbranch_execnz .LBB6_5611
	s_branch .LBB6_5612
.LBB6_5970:                             ;   in Loop: Header=BB6_5300 Depth=3
	s_mov_b32 s13, -1
	s_mov_b32 s31, exec_lo
                                        ; implicit-def: $sgpr17
	v_cmpx_eq_u16_e32 0x80, v59
; %bb.5971:                             ;   in Loop: Header=BB6_5300 Depth=3
	s_mov_b32 s17, 0x7f800001
	s_xor_b32 s13, exec_lo, -1
; %bb.5972:                             ;   in Loop: Header=BB6_5300 Depth=3
	s_or_b32 exec_lo, exec_lo, s31
	s_delay_alu instid0(SALU_CYCLE_1)
	s_and_b32 s13, s13, exec_lo
                                        ; implicit-def: $vgpr59
	s_or_saveexec_b32 s30, s30
	v_mov_b32_e32 v56, s17
	s_xor_b32 exec_lo, exec_lo, s30
	s_cbranch_execz .LBB6_5622
.LBB6_5973:                             ;   in Loop: Header=BB6_5300 Depth=3
	v_cmp_ne_u16_e32 vcc_lo, 0, v59
	v_mov_b32_e32 v56, 0
	s_and_not1_b32 s13, s13, exec_lo
	s_and_b32 s17, vcc_lo, exec_lo
	s_delay_alu instid0(SALU_CYCLE_1)
	s_or_b32 s13, s13, s17
	s_or_b32 exec_lo, exec_lo, s30
	s_and_saveexec_b32 s17, s13
	s_cbranch_execnz .LBB6_5623
	s_branch .LBB6_5624
.LBB6_5974:                             ;   in Loop: Header=BB6_5300 Depth=3
	s_mov_b32 s13, -1
	s_mov_b32 s31, exec_lo
                                        ; implicit-def: $sgpr17
	v_cmpx_eq_u16_e32 0x80, v59
; %bb.5975:                             ;   in Loop: Header=BB6_5300 Depth=3
	s_mov_b32 s17, 0x7f800001
	s_xor_b32 s13, exec_lo, -1
; %bb.5976:                             ;   in Loop: Header=BB6_5300 Depth=3
	s_or_b32 exec_lo, exec_lo, s31
	s_delay_alu instid0(SALU_CYCLE_1)
	s_and_b32 s13, s13, exec_lo
                                        ; implicit-def: $vgpr59
	s_or_saveexec_b32 s30, s30
	v_mov_b32_e32 v45, s17
	s_xor_b32 exec_lo, exec_lo, s30
	s_cbranch_execz .LBB6_5626
.LBB6_5977:                             ;   in Loop: Header=BB6_5300 Depth=3
	v_cmp_ne_u16_e32 vcc_lo, 0, v59
	v_mov_b32_e32 v45, 0
	s_and_not1_b32 s13, s13, exec_lo
	s_and_b32 s17, vcc_lo, exec_lo
	s_delay_alu instid0(SALU_CYCLE_1)
	s_or_b32 s13, s13, s17
	s_or_b32 exec_lo, exec_lo, s30
	s_and_saveexec_b32 s17, s13
	s_cbranch_execnz .LBB6_5627
	s_branch .LBB6_5628
.LBB6_5978:                             ;   in Loop: Header=BB6_5300 Depth=3
	s_mov_b32 s13, -1
	s_mov_b32 s31, exec_lo
                                        ; implicit-def: $sgpr17
	v_cmpx_eq_u16_e32 0x80, v56
; %bb.5979:                             ;   in Loop: Header=BB6_5300 Depth=3
	s_mov_b32 s17, 0x7f800001
	s_xor_b32 s13, exec_lo, -1
; %bb.5980:                             ;   in Loop: Header=BB6_5300 Depth=3
	s_or_b32 exec_lo, exec_lo, s31
	s_delay_alu instid0(SALU_CYCLE_1)
	s_and_b32 s13, s13, exec_lo
                                        ; implicit-def: $vgpr56
	s_or_saveexec_b32 s30, s30
	v_mov_b32_e32 v45, s17
	s_xor_b32 exec_lo, exec_lo, s30
	s_cbranch_execz .LBB6_5638
.LBB6_5981:                             ;   in Loop: Header=BB6_5300 Depth=3
	v_cmp_ne_u16_e32 vcc_lo, 0, v56
	v_mov_b32_e32 v45, 0
	s_and_not1_b32 s13, s13, exec_lo
	s_and_b32 s17, vcc_lo, exec_lo
	s_delay_alu instid0(SALU_CYCLE_1)
	s_or_b32 s13, s13, s17
	s_or_b32 exec_lo, exec_lo, s30
	s_and_saveexec_b32 s17, s13
	s_cbranch_execnz .LBB6_5639
	s_branch .LBB6_5640
.LBB6_5982:                             ;   in Loop: Header=BB6_5300 Depth=3
	s_mov_b32 s13, -1
	s_mov_b32 s31, exec_lo
                                        ; implicit-def: $sgpr17
	v_cmpx_eq_u16_e32 0x80, v56
; %bb.5983:                             ;   in Loop: Header=BB6_5300 Depth=3
	s_mov_b32 s17, 0x7f800001
	s_xor_b32 s13, exec_lo, -1
; %bb.5984:                             ;   in Loop: Header=BB6_5300 Depth=3
	s_or_b32 exec_lo, exec_lo, s31
	s_delay_alu instid0(SALU_CYCLE_1)
	s_and_b32 s13, s13, exec_lo
                                        ; implicit-def: $vgpr56
	s_or_saveexec_b32 s30, s30
	v_mov_b32_e32 v42, s17
	s_xor_b32 exec_lo, exec_lo, s30
	s_cbranch_execz .LBB6_5642
.LBB6_5985:                             ;   in Loop: Header=BB6_5300 Depth=3
	v_cmp_ne_u16_e32 vcc_lo, 0, v56
	v_mov_b32_e32 v42, 0
	s_and_not1_b32 s13, s13, exec_lo
	s_and_b32 s17, vcc_lo, exec_lo
	s_delay_alu instid0(SALU_CYCLE_1)
	s_or_b32 s13, s13, s17
	s_or_b32 exec_lo, exec_lo, s30
	s_and_saveexec_b32 s17, s13
	s_cbranch_execnz .LBB6_5643
	s_branch .LBB6_5644
.LBB6_5986:                             ;   in Loop: Header=BB6_5300 Depth=3
	s_mov_b32 s13, -1
	s_mov_b32 s31, exec_lo
                                        ; implicit-def: $sgpr17
	v_cmpx_eq_u16_e32 0x80, v45
; %bb.5987:                             ;   in Loop: Header=BB6_5300 Depth=3
	s_mov_b32 s17, 0x7f800001
	s_xor_b32 s13, exec_lo, -1
; %bb.5988:                             ;   in Loop: Header=BB6_5300 Depth=3
	s_or_b32 exec_lo, exec_lo, s31
	s_delay_alu instid0(SALU_CYCLE_1)
	s_and_b32 s13, s13, exec_lo
                                        ; implicit-def: $vgpr45
	s_or_saveexec_b32 s30, s30
	v_mov_b32_e32 v42, s17
	s_xor_b32 exec_lo, exec_lo, s30
	s_cbranch_execz .LBB6_5654
.LBB6_5989:                             ;   in Loop: Header=BB6_5300 Depth=3
	v_cmp_ne_u16_e32 vcc_lo, 0, v45
	v_mov_b32_e32 v42, 0
	s_and_not1_b32 s13, s13, exec_lo
	s_and_b32 s17, vcc_lo, exec_lo
	s_delay_alu instid0(SALU_CYCLE_1)
	s_or_b32 s13, s13, s17
	s_or_b32 exec_lo, exec_lo, s30
	s_and_saveexec_b32 s17, s13
	s_cbranch_execnz .LBB6_5655
	s_branch .LBB6_5656
.LBB6_5990:                             ;   in Loop: Header=BB6_5300 Depth=3
	s_mov_b32 s13, -1
	s_mov_b32 s31, exec_lo
                                        ; implicit-def: $sgpr17
	v_cmpx_eq_u16_e32 0x80, v45
; %bb.5991:                             ;   in Loop: Header=BB6_5300 Depth=3
	s_mov_b32 s17, 0x7f800001
	s_xor_b32 s13, exec_lo, -1
; %bb.5992:                             ;   in Loop: Header=BB6_5300 Depth=3
	s_or_b32 exec_lo, exec_lo, s31
	s_delay_alu instid0(SALU_CYCLE_1)
	s_and_b32 s13, s13, exec_lo
                                        ; implicit-def: $vgpr45
	s_or_saveexec_b32 s30, s30
	v_mov_b32_e32 v183, s17
	s_xor_b32 exec_lo, exec_lo, s30
	s_cbranch_execz .LBB6_5658
.LBB6_5993:                             ;   in Loop: Header=BB6_5300 Depth=3
	v_cmp_ne_u16_e32 vcc_lo, 0, v45
	v_mov_b32_e32 v183, 0
	s_and_not1_b32 s13, s13, exec_lo
	s_and_b32 s17, vcc_lo, exec_lo
	s_delay_alu instid0(SALU_CYCLE_1)
	s_or_b32 s13, s13, s17
	s_or_b32 exec_lo, exec_lo, s30
	s_and_saveexec_b32 s17, s13
	s_cbranch_execnz .LBB6_5659
	s_branch .LBB6_5660
.LBB6_5994:                             ;   in Loop: Header=BB6_5300 Depth=3
	s_mov_b32 s13, -1
	s_mov_b32 s31, exec_lo
                                        ; implicit-def: $sgpr17
	v_cmpx_eq_u16_e32 0x80, v42
; %bb.5995:                             ;   in Loop: Header=BB6_5300 Depth=3
	s_mov_b32 s17, 0x7f800001
	s_xor_b32 s13, exec_lo, -1
; %bb.5996:                             ;   in Loop: Header=BB6_5300 Depth=3
	s_or_b32 exec_lo, exec_lo, s31
	s_delay_alu instid0(SALU_CYCLE_1)
	s_and_b32 s13, s13, exec_lo
                                        ; implicit-def: $vgpr42
	s_or_saveexec_b32 s30, s30
	v_mov_b32_e32 v183, s17
	s_xor_b32 exec_lo, exec_lo, s30
	s_cbranch_execz .LBB6_5670
.LBB6_5997:                             ;   in Loop: Header=BB6_5300 Depth=3
	v_cmp_ne_u16_e32 vcc_lo, 0, v42
	v_mov_b32_e32 v183, 0
	s_and_not1_b32 s13, s13, exec_lo
	s_and_b32 s17, vcc_lo, exec_lo
	s_delay_alu instid0(SALU_CYCLE_1)
	s_or_b32 s13, s13, s17
	s_or_b32 exec_lo, exec_lo, s30
	s_and_saveexec_b32 s17, s13
	s_cbranch_execnz .LBB6_5671
	s_branch .LBB6_5672
.LBB6_5998:                             ;   in Loop: Header=BB6_5300 Depth=3
	s_mov_b32 s13, -1
	s_mov_b32 s31, exec_lo
                                        ; implicit-def: $sgpr17
	v_cmpx_eq_u16_e32 0x80, v42
; %bb.5999:                             ;   in Loop: Header=BB6_5300 Depth=3
	s_mov_b32 s17, 0x7f800001
	s_xor_b32 s13, exec_lo, -1
; %bb.6000:                             ;   in Loop: Header=BB6_5300 Depth=3
	s_or_b32 exec_lo, exec_lo, s31
	s_delay_alu instid0(SALU_CYCLE_1)
	s_and_b32 s13, s13, exec_lo
                                        ; implicit-def: $vgpr42
	s_or_saveexec_b32 s30, s30
	v_mov_b32_e32 v115, s17
	s_xor_b32 exec_lo, exec_lo, s30
	s_cbranch_execz .LBB6_5674
.LBB6_6001:                             ;   in Loop: Header=BB6_5300 Depth=3
	v_cmp_ne_u16_e32 vcc_lo, 0, v42
	v_mov_b32_e32 v115, 0
	s_and_not1_b32 s13, s13, exec_lo
	s_and_b32 s17, vcc_lo, exec_lo
	s_delay_alu instid0(SALU_CYCLE_1)
	s_or_b32 s13, s13, s17
	s_or_b32 exec_lo, exec_lo, s30
	s_and_saveexec_b32 s17, s13
	s_cbranch_execnz .LBB6_5675
	s_branch .LBB6_5676
.LBB6_6002:                             ;   in Loop: Header=BB6_5300 Depth=3
	s_mov_b32 s13, -1
	s_mov_b32 s31, exec_lo
                                        ; implicit-def: $sgpr17
	v_cmpx_eq_u16_e64 0x80, v183
; %bb.6003:                             ;   in Loop: Header=BB6_5300 Depth=3
	s_mov_b32 s17, 0x7f800001
	s_xor_b32 s13, exec_lo, -1
; %bb.6004:                             ;   in Loop: Header=BB6_5300 Depth=3
	s_or_b32 exec_lo, exec_lo, s31
	s_delay_alu instid0(SALU_CYCLE_1)
	s_and_b32 s13, s13, exec_lo
                                        ; implicit-def: $vgpr183
	s_or_saveexec_b32 s30, s30
	v_mov_b32_e32 v115, s17
	s_xor_b32 exec_lo, exec_lo, s30
	s_cbranch_execz .LBB6_5686
.LBB6_6005:                             ;   in Loop: Header=BB6_5300 Depth=3
	v_cmp_ne_u16_e64 vcc_lo, 0, v183
	v_mov_b32_e32 v115, 0
	s_and_not1_b32 s13, s13, exec_lo
	s_delay_alu instid0(VALU_DEP_2) | instskip(NEXT) | instid1(SALU_CYCLE_1)
	s_and_b32 s17, vcc_lo, exec_lo
	s_or_b32 s13, s13, s17
	s_or_b32 exec_lo, exec_lo, s30
	s_and_saveexec_b32 s17, s13
	s_cbranch_execnz .LBB6_5687
	s_branch .LBB6_5688
.LBB6_6006:                             ;   in Loop: Header=BB6_5300 Depth=3
	s_mov_b32 s13, -1
	s_mov_b32 s31, exec_lo
                                        ; implicit-def: $sgpr17
	v_cmpx_eq_u16_e64 0x80, v183
; %bb.6007:                             ;   in Loop: Header=BB6_5300 Depth=3
	s_mov_b32 s17, 0x7f800001
	s_xor_b32 s13, exec_lo, -1
; %bb.6008:                             ;   in Loop: Header=BB6_5300 Depth=3
	s_or_b32 exec_lo, exec_lo, s31
	s_delay_alu instid0(SALU_CYCLE_1)
	s_and_b32 s13, s13, exec_lo
                                        ; implicit-def: $vgpr183
	s_or_saveexec_b32 s30, s30
	v_mov_b32_e32 v112, s17
	s_xor_b32 exec_lo, exec_lo, s30
	s_cbranch_execz .LBB6_5690
.LBB6_6009:                             ;   in Loop: Header=BB6_5300 Depth=3
	v_cmp_ne_u16_e64 vcc_lo, 0, v183
	v_mov_b32_e32 v112, 0
	s_and_not1_b32 s13, s13, exec_lo
	s_delay_alu instid0(VALU_DEP_2) | instskip(NEXT) | instid1(SALU_CYCLE_1)
	s_and_b32 s17, vcc_lo, exec_lo
	s_or_b32 s13, s13, s17
	s_or_b32 exec_lo, exec_lo, s30
	s_and_saveexec_b32 s17, s13
	s_cbranch_execnz .LBB6_5691
	s_branch .LBB6_5692
.LBB6_6010:                             ;   in Loop: Header=BB6_5300 Depth=3
	s_mov_b32 s13, -1
	s_mov_b32 s31, exec_lo
                                        ; implicit-def: $sgpr17
	v_cmpx_eq_u16_e32 0x80, v115
; %bb.6011:                             ;   in Loop: Header=BB6_5300 Depth=3
	s_mov_b32 s17, 0x7f800001
	s_xor_b32 s13, exec_lo, -1
; %bb.6012:                             ;   in Loop: Header=BB6_5300 Depth=3
	s_or_b32 exec_lo, exec_lo, s31
	s_delay_alu instid0(SALU_CYCLE_1)
	s_and_b32 s13, s13, exec_lo
                                        ; implicit-def: $vgpr115
	s_or_saveexec_b32 s30, s30
	v_mov_b32_e32 v112, s17
	s_xor_b32 exec_lo, exec_lo, s30
	s_cbranch_execz .LBB6_5702
.LBB6_6013:                             ;   in Loop: Header=BB6_5300 Depth=3
	v_cmp_ne_u16_e32 vcc_lo, 0, v115
	v_mov_b32_e32 v112, 0
	s_and_not1_b32 s13, s13, exec_lo
	s_and_b32 s17, vcc_lo, exec_lo
	s_delay_alu instid0(SALU_CYCLE_1)
	s_or_b32 s13, s13, s17
	s_or_b32 exec_lo, exec_lo, s30
	s_and_saveexec_b32 s17, s13
	s_cbranch_execnz .LBB6_5703
	s_branch .LBB6_5704
.LBB6_6014:                             ;   in Loop: Header=BB6_5300 Depth=3
	s_mov_b32 s13, -1
	s_mov_b32 s31, exec_lo
                                        ; implicit-def: $sgpr17
	v_cmpx_eq_u16_e32 0x80, v115
; %bb.6015:                             ;   in Loop: Header=BB6_5300 Depth=3
	s_mov_b32 s17, 0x7f800001
	s_xor_b32 s13, exec_lo, -1
; %bb.6016:                             ;   in Loop: Header=BB6_5300 Depth=3
	s_or_b32 exec_lo, exec_lo, s31
	s_delay_alu instid0(SALU_CYCLE_1)
	s_and_b32 s13, s13, exec_lo
                                        ; implicit-def: $vgpr115
	s_or_saveexec_b32 s30, s30
	v_mov_b32_e32 v51, s17
	s_xor_b32 exec_lo, exec_lo, s30
	s_cbranch_execz .LBB6_5706
.LBB6_6017:                             ;   in Loop: Header=BB6_5300 Depth=3
	v_cmp_ne_u16_e32 vcc_lo, 0, v115
	v_mov_b32_e32 v51, 0
	s_and_not1_b32 s13, s13, exec_lo
	s_and_b32 s17, vcc_lo, exec_lo
	s_delay_alu instid0(SALU_CYCLE_1)
	s_or_b32 s13, s13, s17
	s_or_b32 exec_lo, exec_lo, s30
	s_and_saveexec_b32 s17, s13
	s_cbranch_execnz .LBB6_5707
	s_branch .LBB6_5708
.LBB6_6018:                             ;   in Loop: Header=BB6_5300 Depth=3
	s_mov_b32 s13, -1
	s_mov_b32 s31, exec_lo
                                        ; implicit-def: $sgpr17
	v_cmpx_eq_u16_e32 0x80, v112
; %bb.6019:                             ;   in Loop: Header=BB6_5300 Depth=3
	s_mov_b32 s17, 0x7f800001
	s_xor_b32 s13, exec_lo, -1
; %bb.6020:                             ;   in Loop: Header=BB6_5300 Depth=3
	s_or_b32 exec_lo, exec_lo, s31
	s_delay_alu instid0(SALU_CYCLE_1)
	s_and_b32 s13, s13, exec_lo
                                        ; implicit-def: $vgpr112
	s_or_saveexec_b32 s30, s30
	v_mov_b32_e32 v51, s17
	s_xor_b32 exec_lo, exec_lo, s30
	s_cbranch_execz .LBB6_5718
.LBB6_6021:                             ;   in Loop: Header=BB6_5300 Depth=3
	v_cmp_ne_u16_e32 vcc_lo, 0, v112
	v_mov_b32_e32 v51, 0
	s_and_not1_b32 s13, s13, exec_lo
	s_and_b32 s17, vcc_lo, exec_lo
	s_delay_alu instid0(SALU_CYCLE_1)
	s_or_b32 s13, s13, s17
	s_or_b32 exec_lo, exec_lo, s30
	s_and_saveexec_b32 s17, s13
	s_cbranch_execnz .LBB6_5719
	s_branch .LBB6_5720
.LBB6_6022:                             ;   in Loop: Header=BB6_5300 Depth=3
	s_mov_b32 s13, -1
	s_mov_b32 s31, exec_lo
                                        ; implicit-def: $sgpr17
	v_cmpx_eq_u16_e32 0x80, v112
; %bb.6023:                             ;   in Loop: Header=BB6_5300 Depth=3
	s_mov_b32 s17, 0x7f800001
	s_xor_b32 s13, exec_lo, -1
; %bb.6024:                             ;   in Loop: Header=BB6_5300 Depth=3
	s_or_b32 exec_lo, exec_lo, s31
	s_delay_alu instid0(SALU_CYCLE_1)
	s_and_b32 s13, s13, exec_lo
                                        ; implicit-def: $vgpr112
	s_or_saveexec_b32 s30, s30
	v_mov_b32_e32 v48, s17
	s_xor_b32 exec_lo, exec_lo, s30
	s_cbranch_execz .LBB6_5722
.LBB6_6025:                             ;   in Loop: Header=BB6_5300 Depth=3
	v_cmp_ne_u16_e32 vcc_lo, 0, v112
	v_mov_b32_e32 v48, 0
	s_and_not1_b32 s13, s13, exec_lo
	s_and_b32 s17, vcc_lo, exec_lo
	s_delay_alu instid0(SALU_CYCLE_1)
	s_or_b32 s13, s13, s17
	s_or_b32 exec_lo, exec_lo, s30
	s_and_saveexec_b32 s17, s13
	s_cbranch_execnz .LBB6_5723
	s_branch .LBB6_5724
.LBB6_6026:                             ;   in Loop: Header=BB6_5300 Depth=3
	s_mov_b32 s13, -1
	s_mov_b32 s31, exec_lo
                                        ; implicit-def: $sgpr17
	v_cmpx_eq_u16_e32 0x80, v51
; %bb.6027:                             ;   in Loop: Header=BB6_5300 Depth=3
	s_mov_b32 s17, 0x7f800001
	s_xor_b32 s13, exec_lo, -1
; %bb.6028:                             ;   in Loop: Header=BB6_5300 Depth=3
	s_or_b32 exec_lo, exec_lo, s31
	s_delay_alu instid0(SALU_CYCLE_1)
	s_and_b32 s13, s13, exec_lo
                                        ; implicit-def: $vgpr51
	s_or_saveexec_b32 s30, s30
	v_mov_b32_e32 v48, s17
	s_xor_b32 exec_lo, exec_lo, s30
	s_cbranch_execz .LBB6_5734
.LBB6_6029:                             ;   in Loop: Header=BB6_5300 Depth=3
	v_cmp_ne_u16_e32 vcc_lo, 0, v51
	v_mov_b32_e32 v48, 0
	s_and_not1_b32 s13, s13, exec_lo
	s_and_b32 s17, vcc_lo, exec_lo
	s_delay_alu instid0(SALU_CYCLE_1)
	s_or_b32 s13, s13, s17
	s_or_b32 exec_lo, exec_lo, s30
	s_and_saveexec_b32 s17, s13
	s_cbranch_execnz .LBB6_5735
	s_branch .LBB6_5736
.LBB6_6030:                             ;   in Loop: Header=BB6_5300 Depth=3
	s_mov_b32 s13, -1
	s_mov_b32 s31, exec_lo
                                        ; implicit-def: $sgpr17
	v_cmpx_eq_u16_e32 0x80, v51
; %bb.6031:                             ;   in Loop: Header=BB6_5300 Depth=3
	s_mov_b32 s17, 0x7f800001
	s_xor_b32 s13, exec_lo, -1
; %bb.6032:                             ;   in Loop: Header=BB6_5300 Depth=3
	s_or_b32 exec_lo, exec_lo, s31
	s_delay_alu instid0(SALU_CYCLE_1)
	s_and_b32 s13, s13, exec_lo
                                        ; implicit-def: $vgpr51
	s_or_saveexec_b32 s30, s30
	v_mov_b32_e32 v37, s17
	s_xor_b32 exec_lo, exec_lo, s30
	s_cbranch_execz .LBB6_5738
.LBB6_6033:                             ;   in Loop: Header=BB6_5300 Depth=3
	v_cmp_ne_u16_e32 vcc_lo, 0, v51
	v_mov_b32_e32 v37, 0
	s_and_not1_b32 s13, s13, exec_lo
	s_and_b32 s17, vcc_lo, exec_lo
	s_delay_alu instid0(SALU_CYCLE_1)
	s_or_b32 s13, s13, s17
	s_or_b32 exec_lo, exec_lo, s30
	s_and_saveexec_b32 s17, s13
	s_cbranch_execnz .LBB6_5739
	s_branch .LBB6_5740
.LBB6_6034:                             ;   in Loop: Header=BB6_5300 Depth=3
	s_mov_b32 s13, -1
	s_mov_b32 s31, exec_lo
                                        ; implicit-def: $sgpr17
	v_cmpx_eq_u16_e32 0x80, v48
; %bb.6035:                             ;   in Loop: Header=BB6_5300 Depth=3
	s_mov_b32 s17, 0x7f800001
	s_xor_b32 s13, exec_lo, -1
; %bb.6036:                             ;   in Loop: Header=BB6_5300 Depth=3
	s_or_b32 exec_lo, exec_lo, s31
	s_delay_alu instid0(SALU_CYCLE_1)
	s_and_b32 s13, s13, exec_lo
                                        ; implicit-def: $vgpr48
	s_or_saveexec_b32 s30, s30
	v_mov_b32_e32 v37, s17
	s_xor_b32 exec_lo, exec_lo, s30
	s_cbranch_execz .LBB6_5750
.LBB6_6037:                             ;   in Loop: Header=BB6_5300 Depth=3
	v_cmp_ne_u16_e32 vcc_lo, 0, v48
	v_mov_b32_e32 v37, 0
	s_and_not1_b32 s13, s13, exec_lo
	s_and_b32 s17, vcc_lo, exec_lo
	s_delay_alu instid0(SALU_CYCLE_1)
	s_or_b32 s13, s13, s17
	s_or_b32 exec_lo, exec_lo, s30
	s_and_saveexec_b32 s17, s13
	s_cbranch_execnz .LBB6_5751
	s_branch .LBB6_5752
.LBB6_6038:                             ;   in Loop: Header=BB6_5300 Depth=3
	s_mov_b32 s13, -1
	s_mov_b32 s31, exec_lo
                                        ; implicit-def: $sgpr17
	v_cmpx_eq_u16_e32 0x80, v48
; %bb.6039:                             ;   in Loop: Header=BB6_5300 Depth=3
	s_mov_b32 s17, 0x7f800001
	s_xor_b32 s13, exec_lo, -1
; %bb.6040:                             ;   in Loop: Header=BB6_5300 Depth=3
	s_or_b32 exec_lo, exec_lo, s31
	s_delay_alu instid0(SALU_CYCLE_1)
	s_and_b32 s13, s13, exec_lo
                                        ; implicit-def: $vgpr48
	s_or_saveexec_b32 s30, s30
	v_mov_b32_e32 v34, s17
	s_xor_b32 exec_lo, exec_lo, s30
	s_cbranch_execz .LBB6_5754
.LBB6_6041:                             ;   in Loop: Header=BB6_5300 Depth=3
	v_cmp_ne_u16_e32 vcc_lo, 0, v48
	v_mov_b32_e32 v34, 0
	s_and_not1_b32 s13, s13, exec_lo
	s_and_b32 s17, vcc_lo, exec_lo
	s_delay_alu instid0(SALU_CYCLE_1)
	s_or_b32 s13, s13, s17
	s_or_b32 exec_lo, exec_lo, s30
	s_and_saveexec_b32 s17, s13
	s_cbranch_execnz .LBB6_5755
	s_branch .LBB6_5756
.LBB6_6042:                             ;   in Loop: Header=BB6_5300 Depth=3
	s_mov_b32 s13, -1
	s_mov_b32 s31, exec_lo
                                        ; implicit-def: $sgpr17
	v_cmpx_eq_u16_e32 0x80, v37
; %bb.6043:                             ;   in Loop: Header=BB6_5300 Depth=3
	s_mov_b32 s17, 0x7f800001
	s_xor_b32 s13, exec_lo, -1
; %bb.6044:                             ;   in Loop: Header=BB6_5300 Depth=3
	s_or_b32 exec_lo, exec_lo, s31
	s_delay_alu instid0(SALU_CYCLE_1)
	s_and_b32 s13, s13, exec_lo
                                        ; implicit-def: $vgpr37
	s_or_saveexec_b32 s30, s30
	v_mov_b32_e32 v34, s17
	s_xor_b32 exec_lo, exec_lo, s30
	s_cbranch_execz .LBB6_5766
.LBB6_6045:                             ;   in Loop: Header=BB6_5300 Depth=3
	v_cmp_ne_u16_e32 vcc_lo, 0, v37
	v_mov_b32_e32 v34, 0
	s_and_not1_b32 s13, s13, exec_lo
	s_and_b32 s17, vcc_lo, exec_lo
	s_delay_alu instid0(SALU_CYCLE_1)
	s_or_b32 s13, s13, s17
	s_or_b32 exec_lo, exec_lo, s30
	s_and_saveexec_b32 s17, s13
	s_cbranch_execnz .LBB6_5767
	s_branch .LBB6_5768
.LBB6_6046:                             ;   in Loop: Header=BB6_5300 Depth=3
	s_mov_b32 s13, -1
	s_mov_b32 s31, exec_lo
                                        ; implicit-def: $sgpr17
	v_cmpx_eq_u16_e32 0x80, v37
; %bb.6047:                             ;   in Loop: Header=BB6_5300 Depth=3
	s_mov_b32 s17, 0x7f800001
	s_xor_b32 s13, exec_lo, -1
; %bb.6048:                             ;   in Loop: Header=BB6_5300 Depth=3
	s_or_b32 exec_lo, exec_lo, s31
	s_delay_alu instid0(SALU_CYCLE_1)
	s_and_b32 s13, s13, exec_lo
                                        ; implicit-def: $vgpr37
	s_or_saveexec_b32 s30, s30
	v_mov_b32_e32 v27, s17
	s_xor_b32 exec_lo, exec_lo, s30
	s_cbranch_execz .LBB6_5770
.LBB6_6049:                             ;   in Loop: Header=BB6_5300 Depth=3
	v_cmp_ne_u16_e32 vcc_lo, 0, v37
	v_mov_b32_e32 v27, 0
	s_and_not1_b32 s13, s13, exec_lo
	s_and_b32 s17, vcc_lo, exec_lo
	s_delay_alu instid0(SALU_CYCLE_1)
	s_or_b32 s13, s13, s17
	s_or_b32 exec_lo, exec_lo, s30
	s_and_saveexec_b32 s17, s13
	s_cbranch_execnz .LBB6_5771
	s_branch .LBB6_5772
.LBB6_6050:                             ;   in Loop: Header=BB6_5300 Depth=3
	s_mov_b32 s13, -1
	s_mov_b32 s31, exec_lo
                                        ; implicit-def: $sgpr17
	v_cmpx_eq_u16_e32 0x80, v34
; %bb.6051:                             ;   in Loop: Header=BB6_5300 Depth=3
	s_mov_b32 s17, 0x7f800001
	s_xor_b32 s13, exec_lo, -1
; %bb.6052:                             ;   in Loop: Header=BB6_5300 Depth=3
	s_or_b32 exec_lo, exec_lo, s31
	s_delay_alu instid0(SALU_CYCLE_1)
	s_and_b32 s13, s13, exec_lo
                                        ; implicit-def: $vgpr34
	s_or_saveexec_b32 s30, s30
	v_mov_b32_e32 v27, s17
	s_xor_b32 exec_lo, exec_lo, s30
	s_cbranch_execz .LBB6_5782
.LBB6_6053:                             ;   in Loop: Header=BB6_5300 Depth=3
	v_cmp_ne_u16_e32 vcc_lo, 0, v34
	v_mov_b32_e32 v27, 0
	s_and_not1_b32 s13, s13, exec_lo
	s_and_b32 s17, vcc_lo, exec_lo
	s_delay_alu instid0(SALU_CYCLE_1)
	s_or_b32 s13, s13, s17
	s_or_b32 exec_lo, exec_lo, s30
	s_and_saveexec_b32 s17, s13
	s_cbranch_execnz .LBB6_5783
	s_branch .LBB6_5784
.LBB6_6054:                             ;   in Loop: Header=BB6_5300 Depth=3
	s_mov_b32 s13, -1
	s_mov_b32 s31, exec_lo
                                        ; implicit-def: $sgpr17
	v_cmpx_eq_u16_e32 0x80, v34
; %bb.6055:                             ;   in Loop: Header=BB6_5300 Depth=3
	s_mov_b32 s17, 0x7f800001
	s_xor_b32 s13, exec_lo, -1
; %bb.6056:                             ;   in Loop: Header=BB6_5300 Depth=3
	s_or_b32 exec_lo, exec_lo, s31
	s_delay_alu instid0(SALU_CYCLE_1)
	s_and_b32 s13, s13, exec_lo
                                        ; implicit-def: $vgpr34
	s_or_saveexec_b32 s30, s30
	v_mov_b32_e32 v24, s17
	s_xor_b32 exec_lo, exec_lo, s30
	s_cbranch_execz .LBB6_5786
.LBB6_6057:                             ;   in Loop: Header=BB6_5300 Depth=3
	v_cmp_ne_u16_e32 vcc_lo, 0, v34
	v_mov_b32_e32 v24, 0
	s_and_not1_b32 s13, s13, exec_lo
	s_and_b32 s17, vcc_lo, exec_lo
	s_delay_alu instid0(SALU_CYCLE_1)
	s_or_b32 s13, s13, s17
	s_or_b32 exec_lo, exec_lo, s30
	s_and_saveexec_b32 s17, s13
	s_cbranch_execnz .LBB6_5787
	s_branch .LBB6_5788
.LBB6_6058:                             ;   in Loop: Header=BB6_5300 Depth=3
	s_mov_b32 s13, -1
	s_mov_b32 s31, exec_lo
                                        ; implicit-def: $sgpr17
	v_cmpx_eq_u16_e32 0x80, v27
; %bb.6059:                             ;   in Loop: Header=BB6_5300 Depth=3
	s_mov_b32 s17, 0x7f800001
	s_xor_b32 s13, exec_lo, -1
; %bb.6060:                             ;   in Loop: Header=BB6_5300 Depth=3
	s_or_b32 exec_lo, exec_lo, s31
	s_delay_alu instid0(SALU_CYCLE_1)
	s_and_b32 s13, s13, exec_lo
                                        ; implicit-def: $vgpr27
	s_or_saveexec_b32 s30, s30
	v_mov_b32_e32 v24, s17
	s_xor_b32 exec_lo, exec_lo, s30
	s_cbranch_execz .LBB6_5798
.LBB6_6061:                             ;   in Loop: Header=BB6_5300 Depth=3
	v_cmp_ne_u16_e32 vcc_lo, 0, v27
	v_mov_b32_e32 v24, 0
	s_and_not1_b32 s13, s13, exec_lo
	s_and_b32 s17, vcc_lo, exec_lo
	s_delay_alu instid0(SALU_CYCLE_1)
	s_or_b32 s13, s13, s17
	s_or_b32 exec_lo, exec_lo, s30
	s_and_saveexec_b32 s17, s13
	s_cbranch_execnz .LBB6_5799
	s_branch .LBB6_5800
.LBB6_6062:                             ;   in Loop: Header=BB6_5300 Depth=3
	s_mov_b32 s13, -1
	s_mov_b32 s31, exec_lo
                                        ; implicit-def: $sgpr17
	v_cmpx_eq_u16_e32 0x80, v27
; %bb.6063:                             ;   in Loop: Header=BB6_5300 Depth=3
	s_mov_b32 s17, 0x7f800001
	s_xor_b32 s13, exec_lo, -1
; %bb.6064:                             ;   in Loop: Header=BB6_5300 Depth=3
	s_or_b32 exec_lo, exec_lo, s31
	s_delay_alu instid0(SALU_CYCLE_1)
	s_and_b32 s13, s13, exec_lo
                                        ; implicit-def: $vgpr27
	s_or_saveexec_b32 s30, s30
	v_mov_b32_e32 v21, s17
	s_xor_b32 exec_lo, exec_lo, s30
	s_cbranch_execz .LBB6_5802
.LBB6_6065:                             ;   in Loop: Header=BB6_5300 Depth=3
	v_cmp_ne_u16_e32 vcc_lo, 0, v27
	v_mov_b32_e32 v21, 0
	s_and_not1_b32 s13, s13, exec_lo
	s_and_b32 s17, vcc_lo, exec_lo
	s_delay_alu instid0(SALU_CYCLE_1)
	s_or_b32 s13, s13, s17
	s_or_b32 exec_lo, exec_lo, s30
	s_and_saveexec_b32 s17, s13
	s_cbranch_execnz .LBB6_5803
	s_branch .LBB6_5804
.LBB6_6066:                             ;   in Loop: Header=BB6_3271 Depth=2
	s_or_b32 exec_lo, exec_lo, s16
.LBB6_6067:                             ;   in Loop: Header=BB6_3271 Depth=2
	s_delay_alu instid0(SALU_CYCLE_1) | instskip(SKIP_2) | instid1(VALU_DEP_1)
	s_or_b32 exec_lo, exec_lo, s14
	v_lshlrev_b32_e32 v8, 10, v19
	s_mov_b32 s30, exec_lo
	v_cmpx_ne_u32_e64 v17, v8
	s_cbranch_execz .LBB6_6098
; %bb.6068:                             ;   in Loop: Header=BB6_3271 Depth=2
	v_ashrrev_i32_e32 v9, 31, v18
	v_lshlrev_b32_e32 v2, 5, v2
	s_delay_alu instid0(VALU_DEP_2) | instskip(NEXT) | instid1(VALU_DEP_1)
	v_lshrrev_b32_e32 v9, 27, v9
	v_add_nc_u32_e32 v9, v18, v9
	s_delay_alu instid0(VALU_DEP_1) | instskip(NEXT) | instid1(VALU_DEP_1)
	v_and_b32_e32 v9, 0xffffffe0, v9
	v_sub_nc_u32_e32 v9, v18, v9
	s_delay_alu instid0(VALU_DEP_1) | instskip(NEXT) | instid1(VALU_DEP_1)
	v_sub_nc_u32_e32 v2, v9, v2
	v_add_nc_u32_e32 v8, v8, v2
	s_delay_alu instid0(VALU_DEP_1) | instskip(NEXT) | instid1(VALU_DEP_1)
	v_sub_nc_u32_e32 v2, v17, v8
	v_cmp_lt_i32_e32 vcc_lo, 0, v2
	s_and_b32 exec_lo, exec_lo, vcc_lo
	s_cbranch_execz .LBB6_6098
; %bb.6069:                             ;   in Loop: Header=BB6_3271 Depth=2
	s_cbranch_execz .LBB6_6070
; %bb.10323:
	s_getpc_b64 s[48:49]
.Lpost_getpc337:
	s_add_u32 s48, s48, (.LBB6_9949-.Lpost_getpc337)&4294967295
	s_addc_u32 s49, s49, (.LBB6_9949-.Lpost_getpc337)>>32
	s_setpc_b64 s[48:49]
.LBB6_6070:                             ;   in Loop: Header=BB6_3271 Depth=2
	ds_load_b128 v[9:12], v0
	v_add_nc_u32_e32 v13, v8, v16
	s_mov_b32 s31, 0
	s_delay_alu instid0(VALU_DEP_1) | instskip(SKIP_2) | instid1(VALU_DEP_2)
	v_ashrrev_i32_e32 v14, 31, v13
	s_waitcnt lgkmcnt(0)
	v_add_co_u32 v8, vcc_lo, v9, v13
	v_add_co_ci_u32_e32 v9, vcc_lo, v10, v14, vcc_lo
	v_add_co_u32 v10, vcc_lo, v11, v13
	v_add_co_ci_u32_e32 v11, vcc_lo, v12, v14, vcc_lo
	s_delay_alu instid0(VALU_DEP_3) | instskip(NEXT) | instid1(VALU_DEP_2)
	v_dual_mov_b32 v13, v9 :: v_dual_mov_b32 v12, v8
	v_dual_mov_b32 v15, v11 :: v_dual_mov_b32 v14, v10
.LBB6_6071:                             ;   Parent Loop BB6_51 Depth=1
                                        ;     Parent Loop BB6_3271 Depth=2
                                        ; =>    This Loop Header: Depth=3
                                        ;         Child Loop BB6_6088 Depth 4
	flat_load_u8 v18, v[12:13] slc dlc
	flat_load_u8 v16, v[14:15] slc dlc
	s_mov_b32 s13, 0
	s_mov_b32 s16, exec_lo
                                        ; implicit-def: $sgpr14
	s_waitcnt vmcnt(1) lgkmcnt(1)
	v_cmpx_lt_i16_e32 0x7f, v18
	s_xor_b32 s16, exec_lo, s16
	s_cbranch_execnz .LBB6_6090
; %bb.6072:                             ;   in Loop: Header=BB6_6071 Depth=3
	s_or_saveexec_b32 s16, s16
	v_mov_b32_e32 v17, s14
	s_xor_b32 exec_lo, exec_lo, s16
	s_cbranch_execnz .LBB6_6093
.LBB6_6073:                             ;   in Loop: Header=BB6_6071 Depth=3
	s_or_b32 exec_lo, exec_lo, s16
	s_and_saveexec_b32 s14, s13
	s_cbranch_execz .LBB6_6075
.LBB6_6074:                             ;   in Loop: Header=BB6_6071 Depth=3
	v_and_b32_e32 v17, 0xffff, v18
	s_delay_alu instid0(VALU_DEP_1) | instskip(NEXT) | instid1(VALU_DEP_1)
	v_and_b32_e32 v19, 7, v17
	v_clz_i32_u32_e32 v20, v19
	s_delay_alu instid0(VALU_DEP_1) | instskip(NEXT) | instid1(VALU_DEP_1)
	v_min_u32_e32 v20, 32, v20
	v_subrev_nc_u32_e32 v21, 28, v20
	v_sub_nc_u32_e32 v20, 29, v20
	s_delay_alu instid0(VALU_DEP_2) | instskip(SKIP_1) | instid1(VALU_DEP_2)
	v_lshlrev_b32_e32 v21, v21, v17
	v_bfe_u32 v17, v17, 3, 4
	v_and_b32_e32 v21, 7, v21
	s_delay_alu instid0(VALU_DEP_2) | instskip(SKIP_1) | instid1(VALU_DEP_1)
	v_cmp_eq_u32_e32 vcc_lo, 0, v17
	v_dual_cndmask_b32 v17, v17, v20 :: v_dual_lshlrev_b32 v18, 24, v18
	v_dual_cndmask_b32 v19, v19, v21 :: v_dual_and_b32 v18, 0x80000000, v18
	s_delay_alu instid0(VALU_DEP_2) | instskip(NEXT) | instid1(VALU_DEP_2)
	v_lshl_add_u32 v17, v17, 23, 0x3b800000
	v_lshlrev_b32_e32 v19, 20, v19
	s_delay_alu instid0(VALU_DEP_1)
	v_or3_b32 v17, v18, v17, v19
.LBB6_6075:                             ;   in Loop: Header=BB6_6071 Depth=3
	s_or_b32 exec_lo, exec_lo, s14
	s_waitcnt vmcnt(0) lgkmcnt(0)
	v_and_b32_e32 v19, 0xff, v16
	s_mov_b32 s13, 0
	s_mov_b32 s16, exec_lo
                                        ; implicit-def: $sgpr14
	s_delay_alu instid0(VALU_DEP_1)
	v_cmpx_lt_i16_e32 0x7f, v19
	s_xor_b32 s16, exec_lo, s16
	s_cbranch_execnz .LBB6_6094
; %bb.6076:                             ;   in Loop: Header=BB6_6071 Depth=3
	s_or_saveexec_b32 s16, s16
	v_mov_b32_e32 v18, s14
	s_xor_b32 exec_lo, exec_lo, s16
	s_cbranch_execnz .LBB6_6097
.LBB6_6077:                             ;   in Loop: Header=BB6_6071 Depth=3
	s_or_b32 exec_lo, exec_lo, s16
	s_and_saveexec_b32 s14, s13
	s_cbranch_execz .LBB6_6079
.LBB6_6078:                             ;   in Loop: Header=BB6_6071 Depth=3
	v_lshrrev_b16 v21, 3, v16
	s_delay_alu instid0(VALU_DEP_1) | instskip(NEXT) | instid1(VALU_DEP_1)
	v_and_b32_e32 v21, 15, v21
	v_cmp_eq_u32_e32 vcc_lo, 0, v21
	v_and_b32_e32 v18, 7, v16
	s_delay_alu instid0(VALU_DEP_1) | instskip(NEXT) | instid1(VALU_DEP_1)
	v_clz_i32_u32_e32 v19, v18
	v_min_u32_e32 v19, 32, v19
	s_delay_alu instid0(VALU_DEP_1) | instskip(SKIP_1) | instid1(VALU_DEP_1)
	v_subrev_nc_u32_e32 v20, 28, v19
	v_sub_nc_u32_e32 v19, 29, v19
	v_dual_cndmask_b32 v19, v21, v19 :: v_dual_lshlrev_b32 v20, v20, v16
	v_lshlrev_b32_e32 v16, 24, v16
	s_delay_alu instid0(VALU_DEP_2) | instskip(NEXT) | instid1(VALU_DEP_3)
	v_and_b32_e32 v20, 7, v20
	v_lshl_add_u32 v19, v19, 23, 0x3b800000
	s_delay_alu instid0(VALU_DEP_3) | instskip(NEXT) | instid1(VALU_DEP_3)
	v_and_b32_e32 v16, 0x80000000, v16
	v_cndmask_b32_e32 v18, v18, v20, vcc_lo
	s_delay_alu instid0(VALU_DEP_1) | instskip(NEXT) | instid1(VALU_DEP_1)
	v_lshlrev_b32_e32 v18, 20, v18
	v_or3_b32 v18, v16, v19, v18
.LBB6_6079:                             ;   in Loop: Header=BB6_6071 Depth=3
	s_or_b32 exec_lo, exec_lo, s14
	s_delay_alu instid0(VALU_DEP_1) | instskip(NEXT) | instid1(VALU_DEP_1)
	v_add_f32_e32 v16, v17, v18
	v_and_b32_e32 v17, 0x7f800000, v16
	s_delay_alu instid0(VALU_DEP_1)
	v_cmp_ne_u32_e32 vcc_lo, 0x7f800000, v17
	v_mov_b32_e32 v17, 0x80
	s_and_saveexec_b32 s14, vcc_lo
	s_cbranch_execz .LBB6_6087
; %bb.6080:                             ;   in Loop: Header=BB6_6071 Depth=3
	v_mov_b32_e32 v17, 0
	s_mov_b32 s16, exec_lo
	v_cmpx_ne_u32_e32 0, v16
	s_cbranch_execz .LBB6_6086
; %bb.6081:                             ;   in Loop: Header=BB6_6071 Depth=3
	v_bfe_u32 v17, v16, 23, 8
	s_delay_alu instid0(VALU_DEP_1) | instskip(SKIP_1) | instid1(VALU_DEP_2)
	v_sub_nc_u32_e32 v19, 0x78, v17
	v_cmp_gt_u32_e32 vcc_lo, 0x79, v17
	v_dual_cndmask_b32 v19, 0, v19 :: v_dual_and_b32 v18, 0x7fffff, v16
	s_delay_alu instid0(VALU_DEP_1) | instskip(SKIP_2) | instid1(VALU_DEP_4)
	v_or_b32_e32 v20, 0x800000, v18
	v_cmp_eq_u32_e32 vcc_lo, 0, v17
	v_add_nc_u32_e32 v17, 0xffffff89, v17
	v_cndmask_b32_e64 v19, v19, 0x77, vcc_lo
	s_delay_alu instid0(VALU_DEP_4) | instskip(NEXT) | instid1(VALU_DEP_3)
	v_cndmask_b32_e32 v18, v20, v18, vcc_lo
	v_cndmask_b32_e64 v17, v17, 0xffffff8a, vcc_lo
	s_delay_alu instid0(VALU_DEP_3) | instskip(NEXT) | instid1(VALU_DEP_3)
	v_lshl_add_u32 v20, 0x100000, v19, -1
	v_lshrrev_b32_e32 v21, v19, v18
	v_lshlrev_b32_e64 v23, v19, 0x80000
	s_delay_alu instid0(VALU_DEP_4) | instskip(NEXT) | instid1(VALU_DEP_4)
	v_add_nc_u32_e32 v19, v19, v17
	v_and_b32_e32 v18, v20, v18
	s_delay_alu instid0(VALU_DEP_4) | instskip(NEXT) | instid1(VALU_DEP_2)
	v_bfe_u32 v22, v21, 20, 1
	v_cmp_eq_u32_e64 s13, v18, v23
	s_delay_alu instid0(VALU_DEP_2) | instskip(NEXT) | instid1(VALU_DEP_1)
	v_add_nc_u32_e32 v20, -1, v22
	v_cndmask_b32_e64 v18, 0, v20, s13
	v_lshrrev_b32_e32 v20, 23, v21
	s_mov_b32 s13, exec_lo
	s_delay_alu instid0(VALU_DEP_2) | instskip(NEXT) | instid1(VALU_DEP_2)
	v_add_nc_u32_e32 v18, v18, v21
	v_xor_b32_e32 v20, 1, v20
	s_delay_alu instid0(VALU_DEP_2) | instskip(NEXT) | instid1(VALU_DEP_1)
	v_and_b32_e32 v17, 0xfffff, v18
	v_add_nc_u32_e32 v18, v17, v21
                                        ; implicit-def: $vgpr17
	s_delay_alu instid0(VALU_DEP_3)
	v_cmpx_ne_u32_e64 v19, v20
	s_xor_b32 s13, exec_lo, s13
; %bb.6082:                             ;   in Loop: Header=BB6_6071 Depth=3
	s_delay_alu instid0(VALU_DEP_2) | instskip(SKIP_2) | instid1(VALU_DEP_2)
	v_cmp_lt_u32_e32 vcc_lo, 0xffffff, v18
	v_sub_nc_u32_e32 v17, v19, v20
	v_cndmask_b32_e64 v19, 0, 1, vcc_lo
	v_add_co_ci_u32_e32 v17, vcc_lo, 0, v17, vcc_lo
	s_delay_alu instid0(VALU_DEP_2)
	v_lshrrev_b32_e32 v18, v19, v18
; %bb.6083:                             ;   in Loop: Header=BB6_6071 Depth=3
	s_and_not1_saveexec_b32 s13, s13
; %bb.6084:                             ;   in Loop: Header=BB6_6071 Depth=3
	s_delay_alu instid0(VALU_DEP_1)
	v_bfe_u32 v17, v18, 23, 1
; %bb.6085:                             ;   in Loop: Header=BB6_6071 Depth=3
	s_or_b32 exec_lo, exec_lo, s13
	v_lshrrev_b32_e32 v18, 20, v18
	s_delay_alu instid0(VALU_DEP_2) | instskip(SKIP_2) | instid1(VALU_DEP_2)
	v_cmp_gt_i32_e32 vcc_lo, 16, v17
	v_min_i32_e32 v19, 15, v17
	v_lshrrev_b32_e32 v16, 24, v16
	v_dual_cndmask_b32 v18, 7, v18 :: v_dual_lshlrev_b32 v19, 3, v19
	s_delay_alu instid0(VALU_DEP_2) | instskip(NEXT) | instid1(VALU_DEP_2)
	v_and_b32_e32 v16, 0x80, v16
	v_or_b32_e32 v17, v17, v18
	s_delay_alu instid0(VALU_DEP_1) | instskip(SKIP_1) | instid1(VALU_DEP_1)
	v_cmp_ne_u32_e32 vcc_lo, 0, v17
	v_and_b32_e32 v20, 7, v18
	v_or3_b32 v16, v19, v16, v20
	s_delay_alu instid0(VALU_DEP_1)
	v_cndmask_b32_e32 v17, 0, v16, vcc_lo
.LBB6_6086:                             ;   in Loop: Header=BB6_6071 Depth=3
	s_or_b32 exec_lo, exec_lo, s16
.LBB6_6087:                             ;   in Loop: Header=BB6_6071 Depth=3
	s_delay_alu instid0(SALU_CYCLE_1)
	s_or_b32 exec_lo, exec_lo, s14
	s_mov_b64 s[16:17], 0
	s_mov_b32 s34, -1
.LBB6_6088:                             ;   Parent Loop BB6_51 Depth=1
                                        ;     Parent Loop BB6_3271 Depth=2
                                        ;       Parent Loop BB6_6071 Depth=3
                                        ; =>      This Inner Loop Header: Depth=4
	s_cmp_eq_u32 s16, 1
	s_cselect_b32 vcc_lo, -1, 0
	s_cmp_eq_u32 s16, 0
	v_dual_cndmask_b32 v19, v9, v11 :: v_dual_cndmask_b32 v18, v8, v10
	s_mov_b64 s[16:17], 1
	s_delay_alu instid0(VALU_DEP_1) | instskip(NEXT) | instid1(VALU_DEP_1)
	v_add_co_u32 v16, s13, v18, 32
	v_add_co_ci_u32_e64 v20, s13, 0, v19, s13
	s_cselect_b32 s13, -1, 0
	s_delay_alu instid0(VALU_DEP_2) | instskip(SKIP_1) | instid1(VALU_DEP_3)
	v_cndmask_b32_e32 v10, v10, v16, vcc_lo
	v_cndmask_b32_e64 v8, v8, v16, s13
	v_cndmask_b32_e32 v11, v11, v20, vcc_lo
	v_cndmask_b32_e64 v9, v9, v20, s13
	s_and_b32 s14, exec_lo, s34
	s_mov_b32 s34, 0
	s_mov_b32 vcc_lo, s14
	flat_store_b8 v[18:19], v17 glc slc dlc
	s_cbranch_vccnz .LBB6_6088
; %bb.6089:                             ;   in Loop: Header=BB6_6071 Depth=3
	v_add_co_u32 v12, vcc_lo, v12, v162
	v_add_co_ci_u32_e32 v13, vcc_lo, v13, v163, vcc_lo
	v_add_co_u32 v14, vcc_lo, v14, v162
	v_sub_nc_u32_e32 v2, v2, v147
	v_add_co_ci_u32_e32 v15, vcc_lo, v15, v163, vcc_lo
	v_add_co_u32 v8, vcc_lo, v8, v150
	v_add_co_ci_u32_e32 v9, vcc_lo, v9, v161, vcc_lo
	s_delay_alu instid0(VALU_DEP_4) | instskip(SKIP_1) | instid1(VALU_DEP_1)
	v_cmp_gt_i32_e32 vcc_lo, 1, v2
	v_add_co_u32 v10, s13, v10, v150
	v_add_co_ci_u32_e64 v11, s13, v11, v161, s13
	s_or_b32 s31, vcc_lo, s31
	s_delay_alu instid0(SALU_CYCLE_1)
	s_and_not1_b32 exec_lo, exec_lo, s31
	s_cbranch_execnz .LBB6_6071
	s_branch .LBB6_6098
.LBB6_6090:                             ;   in Loop: Header=BB6_6071 Depth=3
	s_mov_b32 s13, -1
	s_mov_b32 s17, exec_lo
                                        ; implicit-def: $sgpr14
	v_cmpx_eq_u16_e32 0x80, v18
; %bb.6091:                             ;   in Loop: Header=BB6_6071 Depth=3
	s_mov_b32 s14, 0x7f800001
	s_xor_b32 s13, exec_lo, -1
; %bb.6092:                             ;   in Loop: Header=BB6_6071 Depth=3
	s_or_b32 exec_lo, exec_lo, s17
	s_delay_alu instid0(SALU_CYCLE_1)
	s_and_b32 s13, s13, exec_lo
	s_or_saveexec_b32 s16, s16
	v_mov_b32_e32 v17, s14
	s_xor_b32 exec_lo, exec_lo, s16
	s_cbranch_execz .LBB6_6073
.LBB6_6093:                             ;   in Loop: Header=BB6_6071 Depth=3
	v_cmp_ne_u16_e32 vcc_lo, 0, v18
	v_mov_b32_e32 v17, 0
	s_and_not1_b32 s13, s13, exec_lo
	s_and_b32 s14, vcc_lo, exec_lo
	s_delay_alu instid0(SALU_CYCLE_1)
	s_or_b32 s13, s13, s14
	s_or_b32 exec_lo, exec_lo, s16
	s_and_saveexec_b32 s14, s13
	s_cbranch_execnz .LBB6_6074
	s_branch .LBB6_6075
.LBB6_6094:                             ;   in Loop: Header=BB6_6071 Depth=3
	s_mov_b32 s13, -1
	s_mov_b32 s17, exec_lo
                                        ; implicit-def: $sgpr14
	v_cmpx_eq_u16_e32 0x80, v19
; %bb.6095:                             ;   in Loop: Header=BB6_6071 Depth=3
	s_mov_b32 s14, 0x7f800001
	s_xor_b32 s13, exec_lo, -1
; %bb.6096:                             ;   in Loop: Header=BB6_6071 Depth=3
	s_or_b32 exec_lo, exec_lo, s17
	s_delay_alu instid0(SALU_CYCLE_1)
	s_and_b32 s13, s13, exec_lo
                                        ; implicit-def: $vgpr19
	s_or_saveexec_b32 s16, s16
	v_mov_b32_e32 v18, s14
	s_xor_b32 exec_lo, exec_lo, s16
	s_cbranch_execz .LBB6_6077
.LBB6_6097:                             ;   in Loop: Header=BB6_6071 Depth=3
	v_cmp_ne_u16_e32 vcc_lo, 0, v19
	v_mov_b32_e32 v18, 0
	s_and_not1_b32 s13, s13, exec_lo
	s_and_b32 s14, vcc_lo, exec_lo
	s_delay_alu instid0(SALU_CYCLE_1)
	s_or_b32 s13, s13, s14
	s_or_b32 exec_lo, exec_lo, s16
	s_and_saveexec_b32 s14, s13
	s_cbranch_execnz .LBB6_6078
	s_branch .LBB6_6079
.LBB6_6098:                             ;   in Loop: Header=BB6_3271 Depth=2
	s_or_b32 exec_lo, exec_lo, s30
.LBB6_6099:                             ;   in Loop: Header=BB6_3271 Depth=2
	s_delay_alu instid0(SALU_CYCLE_1)
	s_or_b32 exec_lo, exec_lo, s15
	s_mov_b32 s13, 0
.LBB6_6100:                             ;   in Loop: Header=BB6_3271 Depth=2
	s_delay_alu instid0(SALU_CYCLE_1)
	s_and_b32 vcc_lo, exec_lo, s13
	s_cbranch_vccz .LBB6_8846
; %bb.6101:                             ;   in Loop: Header=BB6_3271 Depth=2
	s_mov_b32 s13, -1
	s_and_saveexec_b32 s14, s12
	s_cbranch_execz .LBB6_6103
; %bb.6102:                             ;   in Loop: Header=BB6_3271 Depth=2
	ds_load_b32 v2, v0 offset:720
	s_waitcnt lgkmcnt(0)
	v_and_b32_e32 v2, 15, v2
	s_delay_alu instid0(VALU_DEP_1)
	v_cmp_eq_u32_e32 vcc_lo, 0, v2
	s_or_not1_b32 s13, vcc_lo, exec_lo
.LBB6_6103:                             ;   in Loop: Header=BB6_3271 Depth=2
	s_or_b32 exec_lo, exec_lo, s14
	s_and_saveexec_b32 s14, s5
	s_cbranch_execz .LBB6_6105
; %bb.6104:                             ;   in Loop: Header=BB6_3271 Depth=2
	ds_load_b32 v2, v0 offset:784
	s_waitcnt lgkmcnt(0)
	v_and_b32_e32 v2, 15, v2
	s_delay_alu instid0(VALU_DEP_1) | instskip(SKIP_3) | instid1(SALU_CYCLE_1)
	v_cmp_eq_u32_e32 vcc_lo, 0, v2
	s_and_b32 s15, s13, vcc_lo
	s_and_not1_b32 s13, s13, exec_lo
	s_and_b32 s15, s15, exec_lo
	s_or_b32 s13, s13, s15
.LBB6_6105:                             ;   in Loop: Header=BB6_3271 Depth=2
	s_or_b32 exec_lo, exec_lo, s14
	s_xor_b32 s13, s13, -1
	v_dual_mov_b32 v14, 0 :: v_dual_mov_b32 v15, v182
	v_cndmask_b32_e64 v2, 0, 1, s13
	;;#ASMSTART
	;;#ASMEND
	s_delay_alu instid0(VALU_DEP_1)
	v_cmp_ne_u32_e32 vcc_lo, 0, v2
	v_mov_b32_e32 v16, v0
	v_mov_b32_e32 v8, v130
	s_mov_b32 s13, -1
	s_cbranch_vccnz .LBB6_8041
; %bb.6106:                             ;   in Loop: Header=BB6_3271 Depth=2
	v_ashrrev_i32_e32 v2, 31, v182
	s_mov_b32 s14, exec_lo
	s_delay_alu instid0(VALU_DEP_1) | instskip(NEXT) | instid1(VALU_DEP_1)
	v_lshrrev_b32_e32 v2, 21, v2
	v_add_nc_u32_e32 v2, v182, v2
	s_delay_alu instid0(VALU_DEP_1) | instskip(NEXT) | instid1(VALU_DEP_1)
	v_ashrrev_i32_e32 v116, 11, v2
	v_sub_nc_u32_e32 v2, v116, v130
	s_delay_alu instid0(VALU_DEP_1)
	v_cmpx_lt_i32_e32 0, v2
	s_cbranch_execz .LBB6_7647
; %bb.6107:                             ;   in Loop: Header=BB6_3271 Depth=2
	s_cbranch_execz .LBB6_6108
; %bb.10325:
	s_getpc_b64 s[48:49]
.Lpost_getpc338:
	s_add_u32 s48, s48, (.LBB6_9919-.Lpost_getpc338)&4294967295
	s_addc_u32 s49, s49, (.LBB6_9919-.Lpost_getpc338)>>32
	s_setpc_b64 s[48:49]
.LBB6_6108:                             ;   in Loop: Header=BB6_3271 Depth=2
	ds_load_b128 v[8:11], v0
	ds_load_b64 v[12:13], v0
	s_mov_b32 s15, 0
	s_waitcnt lgkmcnt(1)
	v_add_co_u32 v101, vcc_lo, v8, v164
	v_add_co_ci_u32_e32 v102, vcc_lo, v9, v165, vcc_lo
	v_add_co_u32 v112, vcc_lo, v10, v164
	v_add_co_ci_u32_e32 v113, vcc_lo, v11, v165, vcc_lo
	s_waitcnt lgkmcnt(0)
	v_add_co_u32 v114, vcc_lo, v12, v164
	v_add_co_ci_u32_e32 v115, vcc_lo, v13, v165, vcc_lo
	s_branch .LBB6_6112
.LBB6_6109:                             ;   in Loop: Header=BB6_6112 Depth=3
	s_or_b32 exec_lo, exec_lo, s13
	s_delay_alu instid0(VALU_DEP_1) | instskip(NEXT) | instid1(VALU_DEP_2)
	v_lshrrev_b32_e32 v95, 20, v95
	v_cmp_gt_i32_e32 vcc_lo, 16, v11
	v_min_i32_e32 v104, 15, v11
	v_lshrrev_b32_e32 v15, 24, v15
	s_delay_alu instid0(VALU_DEP_2) | instskip(NEXT) | instid1(VALU_DEP_2)
	v_dual_cndmask_b32 v95, 7, v95 :: v_dual_lshlrev_b32 v104, 3, v104
	v_and_b32_e32 v15, 0x80, v15
	s_delay_alu instid0(VALU_DEP_2) | instskip(SKIP_1) | instid1(VALU_DEP_2)
	v_or_b32_e32 v11, v11, v95
	v_and_b32_e32 v105, 7, v95
	v_cmp_ne_u32_e32 vcc_lo, 0, v11
	v_and_b32_e32 v104, 0xf8, v104
	s_delay_alu instid0(VALU_DEP_1) | instskip(NEXT) | instid1(VALU_DEP_1)
	v_or3_b32 v15, v15, v104, v105
	v_lshlrev_b32_e32 v15, 8, v15
	s_delay_alu instid0(VALU_DEP_1)
	v_cndmask_b32_e32 v11, 0, v15, vcc_lo
.LBB6_6110:                             ;   in Loop: Header=BB6_6112 Depth=3
	s_or_b32 exec_lo, exec_lo, s17
.LBB6_6111:                             ;   in Loop: Header=BB6_6112 Depth=3
	s_delay_alu instid0(SALU_CYCLE_1)
	s_or_b32 exec_lo, exec_lo, s16
	v_or_b32_e32 v15, v17, v74
	v_and_b32_e32 v17, 0xff, v72
	v_lshlrev_b32_e32 v72, 24, v16
	v_lshlrev_b32_e32 v16, 8, v63
	v_and_b32_e32 v63, 0xff, v76
	v_lshlrev_b32_e32 v74, 8, v75
	v_and_b32_e32 v20, 0xff, v20
	v_lshlrev_b32_e32 v15, 16, v15
	v_perm_b32 v35, v16, v35, 0xc0c0500
	v_or_b32_e32 v16, v19, v78
	v_lshlrev_b32_e32 v17, 16, v17
	v_lshlrev_b32_e32 v18, 24, v18
	;; [unrolled: 1-line block ×3, first 2 shown]
	v_perm_b32 v21, v74, v21, 0xc0c0500
	v_and_b32_e32 v22, 0xff, v22
	v_lshlrev_b32_e32 v63, 16, v16
	v_or3_b32 v16, v73, v20, v15
	v_or_b32_e32 v20, v25, v58
	v_or3_b32 v15, v72, v17, v35
	v_or3_b32 v17, v18, v19, v21
	;; [unrolled: 1-line block ×3, first 2 shown]
	v_and_b32_e32 v21, 0xff, v56
	v_lshlrev_b32_e32 v22, 8, v47
	v_and_b32_e32 v19, 0xff, v32
	v_lshlrev_b32_e32 v20, 16, v20
	v_lshlrev_b32_e32 v24, 24, v24
	v_and_b32_e32 v25, 0xff, v60
	v_lshlrev_b32_e32 v32, 8, v59
	v_lshlrev_b32_e32 v21, 16, v21
	v_perm_b32 v22, v22, v51, 0xc0c0500
	v_lshlrev_b32_e32 v26, 24, v26
	v_lshlrev_b32_e32 v25, 16, v25
	v_perm_b32 v32, v32, v33, 0xc0c0500
	v_or3_b32 v20, v57, v19, v20
	v_or_b32_e32 v27, v27, v62
	v_or3_b32 v19, v24, v21, v22
	v_or_b32_e32 v22, v37, v42
	v_or3_b32 v21, v26, v25, v32
	v_and_b32_e32 v24, 0xff, v34
	v_lshlrev_b32_e32 v25, 16, v27
	v_lshlrev_b32_e32 v32, 8, v183
	;; [unrolled: 1-line block ×3, first 2 shown]
	v_and_b32_e32 v22, 0xff, v40
	v_and_b32_e32 v34, 0xff, v44
	v_lshlrev_b32_e32 v35, 8, v43
	v_and_b32_e32 v26, 0xff, v48
	v_lshlrev_b32_e32 v33, 24, v36
	v_lshlrev_b32_e32 v36, 16, v22
	v_perm_b32 v32, v32, v117, 0xc0c0500
	v_lshlrev_b32_e32 v37, 24, v38
	v_lshlrev_b32_e32 v34, 16, v34
	v_perm_b32 v35, v35, v49, 0xc0c0500
	v_or3_b32 v22, v61, v24, v25
	v_or3_b32 v25, v41, v26, v27
	v_or_b32_e32 v27, v39, v46
	v_or3_b32 v24, v33, v36, v32
	v_or3_b32 v26, v37, v34, v35
	v_or_b32_e32 v9, v9, v90
	v_and_b32_e32 v33, 0xff, v88
	v_lshlrev_b32_e32 v34, 8, v79
	v_and_b32_e32 v35, 0xff, v92
	v_lshlrev_b32_e32 v36, 8, v91
	v_or_b32_e32 v11, v11, v94
	v_and_b32_e32 v32, 0xff, v50
	v_lshlrev_b32_e32 v27, 16, v27
	v_and_b32_e32 v12, 0xff, v12
	v_lshlrev_b32_e32 v9, 16, v9
	v_lshlrev_b32_e32 v8, 24, v8
	;; [unrolled: 1-line block ×3, first 2 shown]
	v_perm_b32 v23, v34, v23, 0xc0c0500
	v_lshlrev_b32_e32 v10, 24, v10
	v_lshlrev_b32_e32 v34, 16, v35
	v_perm_b32 v13, v36, v13, 0xc0c0500
	v_and_b32_e32 v14, 0xff, v14
	v_lshlrev_b32_e32 v11, 16, v11
	v_add_co_u32 v101, vcc_lo, v101, v166
	v_or3_b32 v27, v45, v32, v27
	v_sub_nc_u32_e32 v2, v2, v129
	v_add_co_ci_u32_e32 v102, vcc_lo, v102, v167, vcc_lo
	v_add_co_u32 v112, vcc_lo, v112, v166
	v_or3_b32 v9, v89, v12, v9
	v_or3_b32 v8, v8, v33, v23
	;; [unrolled: 1-line block ×4, first 2 shown]
	v_add_co_ci_u32_e32 v113, vcc_lo, v113, v167, vcc_lo
	s_clause 0x3
	global_store_b128 v[114:115], v[24:27], off glc slc dlc
	global_store_b128 v[114:115], v[19:22], off offset:512 glc slc dlc
	global_store_b128 v[114:115], v[15:18], off offset:1024 glc slc dlc
	;; [unrolled: 1-line block ×3, first 2 shown]
	v_cmp_gt_i32_e32 vcc_lo, 1, v2
	v_add_co_u32 v114, s13, v114, v166
	s_delay_alu instid0(VALU_DEP_1) | instskip(SKIP_1) | instid1(SALU_CYCLE_1)
	v_add_co_ci_u32_e64 v115, s13, v115, v167, s13
	s_or_b32 s15, vcc_lo, s15
	s_and_not1_b32 exec_lo, exec_lo, s15
	s_cbranch_execz .LBB6_7646
.LBB6_6112:                             ;   Parent Loop BB6_51 Depth=1
                                        ;     Parent Loop BB6_3271 Depth=2
                                        ; =>    This Inner Loop Header: Depth=3
	s_clause 0x3
	global_load_b128 v[48:51], v[101:102], off slc dlc
	global_load_b128 v[32:35], v[101:102], off offset:512 slc dlc
	global_load_b128 v[20:23], v[101:102], off offset:1024 slc dlc
	;; [unrolled: 1-line block ×3, first 2 shown]
	s_clause 0x3
	global_load_b128 v[36:39], v[112:113], off slc dlc
	global_load_b128 v[24:27], v[112:113], off offset:512 slc dlc
	global_load_b128 v[16:19], v[112:113], off offset:1024 slc dlc
	;; [unrolled: 1-line block ×3, first 2 shown]
	s_mov_b32 s13, 0
	s_mov_b32 s17, exec_lo
                                        ; implicit-def: $sgpr16
	s_waitcnt vmcnt(7)
	v_and_b32_e32 v183, 0xff, v48
	s_delay_alu instid0(VALU_DEP_1)
	v_cmpx_lt_i16_e64 0x7f, v183
	s_xor_b32 s17, exec_lo, s17
	s_cbranch_execnz .LBB6_7134
; %bb.6113:                             ;   in Loop: Header=BB6_6112 Depth=3
	s_or_saveexec_b32 s17, s17
	v_mov_b32_e32 v117, s16
	s_xor_b32 exec_lo, exec_lo, s17
	s_cbranch_execnz .LBB6_7137
.LBB6_6114:                             ;   in Loop: Header=BB6_6112 Depth=3
	s_or_b32 exec_lo, exec_lo, s17
	s_and_saveexec_b32 s16, s13
	s_cbranch_execz .LBB6_6116
.LBB6_6115:                             ;   in Loop: Header=BB6_6112 Depth=3
	v_and_b32_e32 v117, 7, v48
	v_bfe_u32 v41, v48, 3, 4
	v_lshlrev_b32_e32 v42, 24, v48
	s_delay_alu instid0(VALU_DEP_3) | instskip(NEXT) | instid1(VALU_DEP_3)
	v_clz_i32_u32_e32 v183, v117
	v_cmp_eq_u32_e32 vcc_lo, 0, v41
	s_delay_alu instid0(VALU_DEP_2) | instskip(NEXT) | instid1(VALU_DEP_1)
	v_min_u32_e32 v183, 32, v183
	v_subrev_nc_u32_e32 v40, 28, v183
	v_sub_nc_u32_e32 v183, 29, v183
	s_delay_alu instid0(VALU_DEP_1) | instskip(NEXT) | instid1(VALU_DEP_1)
	v_dual_cndmask_b32 v183, v41, v183 :: v_dual_lshlrev_b32 v40, v40, v48
	v_and_b32_e32 v40, 7, v40
	s_delay_alu instid0(VALU_DEP_2) | instskip(NEXT) | instid1(VALU_DEP_2)
	v_lshl_add_u32 v183, v183, 23, 0x3b800000
	v_dual_cndmask_b32 v117, v117, v40 :: v_dual_and_b32 v40, 0x80000000, v42
	s_delay_alu instid0(VALU_DEP_1) | instskip(NEXT) | instid1(VALU_DEP_1)
	v_lshlrev_b32_e32 v117, 20, v117
	v_or3_b32 v117, v40, v183, v117
.LBB6_6116:                             ;   in Loop: Header=BB6_6112 Depth=3
	s_or_b32 exec_lo, exec_lo, s16
	s_waitcnt vmcnt(3)
	v_and_b32_e32 v40, 0xff, v36
	s_mov_b32 s13, 0
	s_mov_b32 s17, exec_lo
                                        ; implicit-def: $sgpr16
	s_delay_alu instid0(VALU_DEP_1)
	v_cmpx_lt_i16_e32 0x7f, v40
	s_xor_b32 s17, exec_lo, s17
	s_cbranch_execnz .LBB6_7138
; %bb.6117:                             ;   in Loop: Header=BB6_6112 Depth=3
	s_or_saveexec_b32 s17, s17
	v_mov_b32_e32 v183, s16
	s_xor_b32 exec_lo, exec_lo, s17
	s_cbranch_execnz .LBB6_7141
.LBB6_6118:                             ;   in Loop: Header=BB6_6112 Depth=3
	s_or_b32 exec_lo, exec_lo, s17
	s_and_saveexec_b32 s16, s13
	s_cbranch_execz .LBB6_6120
.LBB6_6119:                             ;   in Loop: Header=BB6_6112 Depth=3
	v_and_b32_e32 v183, 7, v36
	v_bfe_u32 v42, v36, 3, 4
	v_lshlrev_b32_e32 v43, 24, v36
	s_delay_alu instid0(VALU_DEP_3) | instskip(NEXT) | instid1(VALU_DEP_3)
	v_clz_i32_u32_e32 v40, v183
	v_cmp_eq_u32_e32 vcc_lo, 0, v42
	s_delay_alu instid0(VALU_DEP_2) | instskip(NEXT) | instid1(VALU_DEP_1)
	v_min_u32_e32 v40, 32, v40
	v_subrev_nc_u32_e32 v41, 28, v40
	v_sub_nc_u32_e32 v40, 29, v40
	s_delay_alu instid0(VALU_DEP_2) | instskip(NEXT) | instid1(VALU_DEP_1)
	v_lshlrev_b32_e32 v41, v41, v36
	v_dual_cndmask_b32 v40, v42, v40 :: v_dual_and_b32 v41, 7, v41
	s_delay_alu instid0(VALU_DEP_1) | instskip(NEXT) | instid1(VALU_DEP_2)
	v_lshl_add_u32 v40, v40, 23, 0x3b800000
	v_cndmask_b32_e32 v183, v183, v41, vcc_lo
	v_and_b32_e32 v41, 0x80000000, v43
	s_delay_alu instid0(VALU_DEP_2) | instskip(NEXT) | instid1(VALU_DEP_1)
	v_lshlrev_b32_e32 v183, 20, v183
	v_or3_b32 v183, v41, v40, v183
.LBB6_6120:                             ;   in Loop: Header=BB6_6112 Depth=3
	s_or_b32 exec_lo, exec_lo, s16
	s_delay_alu instid0(VALU_DEP_1) | instskip(NEXT) | instid1(VALU_DEP_1)
	v_add_f32_e32 v183, v117, v183
	v_and_b32_e32 v117, 0x7f800000, v183
	s_delay_alu instid0(VALU_DEP_1)
	v_cmp_ne_u32_e32 vcc_lo, 0x7f800000, v117
	v_mov_b32_e32 v117, 0x80
	s_and_saveexec_b32 s16, vcc_lo
	s_cbranch_execz .LBB6_6128
; %bb.6121:                             ;   in Loop: Header=BB6_6112 Depth=3
	v_mov_b32_e32 v117, 0
	s_mov_b32 s17, exec_lo
	v_cmpx_ne_u32_e32 0, v183
	s_cbranch_execz .LBB6_6127
; %bb.6122:                             ;   in Loop: Header=BB6_6112 Depth=3
	v_bfe_u32 v117, v183, 23, 8
	s_delay_alu instid0(VALU_DEP_1) | instskip(SKIP_1) | instid1(VALU_DEP_2)
	v_sub_nc_u32_e32 v41, 0x78, v117
	v_cmp_gt_u32_e32 vcc_lo, 0x79, v117
	v_dual_cndmask_b32 v41, 0, v41 :: v_dual_and_b32 v40, 0x7fffff, v183
	s_delay_alu instid0(VALU_DEP_1) | instskip(SKIP_2) | instid1(VALU_DEP_4)
	v_or_b32_e32 v42, 0x800000, v40
	v_cmp_eq_u32_e32 vcc_lo, 0, v117
	v_add_nc_u32_e32 v117, 0xffffff89, v117
	v_cndmask_b32_e64 v41, v41, 0x77, vcc_lo
	s_delay_alu instid0(VALU_DEP_4) | instskip(NEXT) | instid1(VALU_DEP_3)
	v_cndmask_b32_e32 v40, v42, v40, vcc_lo
	v_cndmask_b32_e64 v117, v117, 0xffffff8a, vcc_lo
	s_delay_alu instid0(VALU_DEP_3) | instskip(NEXT) | instid1(VALU_DEP_3)
	v_lshl_add_u32 v42, 0x100000, v41, -1
	v_lshrrev_b32_e32 v43, v41, v40
	v_lshlrev_b32_e64 v45, v41, 0x80000
	s_delay_alu instid0(VALU_DEP_4) | instskip(NEXT) | instid1(VALU_DEP_4)
	v_add_nc_u32_e32 v41, v41, v117
	v_and_b32_e32 v40, v42, v40
	s_delay_alu instid0(VALU_DEP_4) | instskip(NEXT) | instid1(VALU_DEP_2)
	v_bfe_u32 v44, v43, 20, 1
	v_cmp_eq_u32_e64 s13, v40, v45
	s_delay_alu instid0(VALU_DEP_2) | instskip(NEXT) | instid1(VALU_DEP_1)
	v_add_nc_u32_e32 v42, -1, v44
	v_cndmask_b32_e64 v40, 0, v42, s13
	v_lshrrev_b32_e32 v42, 23, v43
	s_mov_b32 s13, exec_lo
	s_delay_alu instid0(VALU_DEP_2) | instskip(NEXT) | instid1(VALU_DEP_2)
	v_add_nc_u32_e32 v40, v40, v43
	v_xor_b32_e32 v42, 1, v42
	s_delay_alu instid0(VALU_DEP_2) | instskip(NEXT) | instid1(VALU_DEP_1)
	v_and_b32_e32 v117, 0xfffff, v40
	v_add_nc_u32_e32 v40, v117, v43
                                        ; implicit-def: $vgpr117
	s_delay_alu instid0(VALU_DEP_3)
	v_cmpx_ne_u32_e64 v41, v42
	s_xor_b32 s13, exec_lo, s13
; %bb.6123:                             ;   in Loop: Header=BB6_6112 Depth=3
	s_delay_alu instid0(VALU_DEP_2) | instskip(SKIP_2) | instid1(VALU_DEP_2)
	v_cmp_lt_u32_e32 vcc_lo, 0xffffff, v40
	v_sub_nc_u32_e32 v117, v41, v42
	v_cndmask_b32_e64 v41, 0, 1, vcc_lo
	v_add_co_ci_u32_e32 v117, vcc_lo, 0, v117, vcc_lo
	s_delay_alu instid0(VALU_DEP_2)
	v_lshrrev_b32_e32 v40, v41, v40
; %bb.6124:                             ;   in Loop: Header=BB6_6112 Depth=3
	s_and_not1_saveexec_b32 s13, s13
; %bb.6125:                             ;   in Loop: Header=BB6_6112 Depth=3
	s_delay_alu instid0(VALU_DEP_1)
	v_bfe_u32 v117, v40, 23, 1
; %bb.6126:                             ;   in Loop: Header=BB6_6112 Depth=3
	s_or_b32 exec_lo, exec_lo, s13
	v_lshrrev_b32_e32 v40, 20, v40
	s_delay_alu instid0(VALU_DEP_2) | instskip(SKIP_2) | instid1(VALU_DEP_2)
	v_cmp_gt_i32_e32 vcc_lo, 16, v117
	v_lshrrev_b32_e32 v183, 24, v183
	v_min_i32_e32 v41, 15, v117
	v_dual_cndmask_b32 v40, 7, v40 :: v_dual_and_b32 v183, 0x80, v183
	s_delay_alu instid0(VALU_DEP_2) | instskip(NEXT) | instid1(VALU_DEP_2)
	v_lshlrev_b32_e32 v41, 3, v41
	v_or_b32_e32 v117, v117, v40
	s_delay_alu instid0(VALU_DEP_1) | instskip(SKIP_1) | instid1(VALU_DEP_1)
	v_cmp_ne_u32_e32 vcc_lo, 0, v117
	v_and_b32_e32 v42, 7, v40
	v_or3_b32 v183, v41, v183, v42
	s_delay_alu instid0(VALU_DEP_1)
	v_cndmask_b32_e32 v117, 0, v183, vcc_lo
.LBB6_6127:                             ;   in Loop: Header=BB6_6112 Depth=3
	s_or_b32 exec_lo, exec_lo, s17
.LBB6_6128:                             ;   in Loop: Header=BB6_6112 Depth=3
	s_delay_alu instid0(SALU_CYCLE_1) | instskip(SKIP_3) | instid1(VALU_DEP_1)
	s_or_b32 exec_lo, exec_lo, s16
	v_lshrrev_b16 v40, 8, v48
	s_mov_b32 s13, 0
	s_mov_b32 s17, exec_lo
                                        ; implicit-def: $sgpr16
	v_cmpx_lt_i16_e32 0x7f, v40
	s_xor_b32 s17, exec_lo, s17
	s_cbranch_execnz .LBB6_7142
; %bb.6129:                             ;   in Loop: Header=BB6_6112 Depth=3
	s_or_saveexec_b32 s17, s17
	v_mov_b32_e32 v183, s16
	s_xor_b32 exec_lo, exec_lo, s17
	s_cbranch_execnz .LBB6_7145
.LBB6_6130:                             ;   in Loop: Header=BB6_6112 Depth=3
	s_or_b32 exec_lo, exec_lo, s17
	s_and_saveexec_b32 s16, s13
	s_cbranch_execz .LBB6_6132
.LBB6_6131:                             ;   in Loop: Header=BB6_6112 Depth=3
	v_and_b32_e32 v183, 0xffff, v40
	s_delay_alu instid0(VALU_DEP_1) | instskip(NEXT) | instid1(VALU_DEP_1)
	v_and_b32_e32 v41, 7, v183
	v_clz_i32_u32_e32 v42, v41
	s_delay_alu instid0(VALU_DEP_1) | instskip(NEXT) | instid1(VALU_DEP_1)
	v_min_u32_e32 v42, 32, v42
	v_subrev_nc_u32_e32 v43, 28, v42
	v_sub_nc_u32_e32 v42, 29, v42
	s_delay_alu instid0(VALU_DEP_2) | instskip(SKIP_1) | instid1(VALU_DEP_2)
	v_lshlrev_b32_e32 v43, v43, v183
	v_bfe_u32 v183, v183, 3, 4
	v_and_b32_e32 v43, 7, v43
	s_delay_alu instid0(VALU_DEP_2) | instskip(SKIP_1) | instid1(VALU_DEP_1)
	v_cmp_eq_u32_e32 vcc_lo, 0, v183
	v_dual_cndmask_b32 v183, v183, v42 :: v_dual_lshlrev_b32 v40, 24, v40
	v_dual_cndmask_b32 v41, v41, v43 :: v_dual_and_b32 v40, 0x80000000, v40
	s_delay_alu instid0(VALU_DEP_2) | instskip(NEXT) | instid1(VALU_DEP_2)
	v_lshl_add_u32 v183, v183, 23, 0x3b800000
	v_lshlrev_b32_e32 v41, 20, v41
	s_delay_alu instid0(VALU_DEP_1)
	v_or3_b32 v183, v40, v183, v41
.LBB6_6132:                             ;   in Loop: Header=BB6_6112 Depth=3
	s_or_b32 exec_lo, exec_lo, s16
	v_lshrrev_b16 v40, 8, v36
	s_mov_b32 s13, 0
	s_mov_b32 s17, exec_lo
                                        ; implicit-def: $sgpr16
	s_delay_alu instid0(VALU_DEP_1)
	v_cmpx_lt_i16_e32 0x7f, v40
	s_xor_b32 s17, exec_lo, s17
	s_cbranch_execnz .LBB6_7146
; %bb.6133:                             ;   in Loop: Header=BB6_6112 Depth=3
	s_or_saveexec_b32 s17, s17
	v_mov_b32_e32 v41, s16
	s_xor_b32 exec_lo, exec_lo, s17
	s_cbranch_execnz .LBB6_7149
.LBB6_6134:                             ;   in Loop: Header=BB6_6112 Depth=3
	s_or_b32 exec_lo, exec_lo, s17
	s_and_saveexec_b32 s16, s13
	s_cbranch_execz .LBB6_6136
.LBB6_6135:                             ;   in Loop: Header=BB6_6112 Depth=3
	v_and_b32_e32 v41, 0xffff, v40
	v_lshlrev_b32_e32 v40, 24, v40
	s_delay_alu instid0(VALU_DEP_2) | instskip(NEXT) | instid1(VALU_DEP_2)
	v_and_b32_e32 v42, 7, v41
	v_and_b32_e32 v40, 0x80000000, v40
	s_delay_alu instid0(VALU_DEP_2) | instskip(NEXT) | instid1(VALU_DEP_1)
	v_clz_i32_u32_e32 v43, v42
	v_min_u32_e32 v43, 32, v43
	s_delay_alu instid0(VALU_DEP_1) | instskip(SKIP_1) | instid1(VALU_DEP_2)
	v_subrev_nc_u32_e32 v44, 28, v43
	v_sub_nc_u32_e32 v43, 29, v43
	v_lshlrev_b32_e32 v44, v44, v41
	v_bfe_u32 v41, v41, 3, 4
	s_delay_alu instid0(VALU_DEP_2) | instskip(NEXT) | instid1(VALU_DEP_2)
	v_and_b32_e32 v44, 7, v44
	v_cmp_eq_u32_e32 vcc_lo, 0, v41
	s_delay_alu instid0(VALU_DEP_2) | instskip(NEXT) | instid1(VALU_DEP_1)
	v_dual_cndmask_b32 v41, v41, v43 :: v_dual_cndmask_b32 v42, v42, v44
	v_lshl_add_u32 v41, v41, 23, 0x3b800000
	s_delay_alu instid0(VALU_DEP_2) | instskip(NEXT) | instid1(VALU_DEP_1)
	v_lshlrev_b32_e32 v42, 20, v42
	v_or3_b32 v41, v40, v41, v42
.LBB6_6136:                             ;   in Loop: Header=BB6_6112 Depth=3
	s_or_b32 exec_lo, exec_lo, s16
	s_delay_alu instid0(VALU_DEP_1) | instskip(NEXT) | instid1(VALU_DEP_1)
	v_add_f32_e32 v40, v183, v41
	v_and_b32_e32 v183, 0x7f800000, v40
	s_delay_alu instid0(VALU_DEP_1)
	v_cmp_ne_u32_e32 vcc_lo, 0x7f800000, v183
	v_mov_b32_e32 v183, 0x80
	s_and_saveexec_b32 s16, vcc_lo
	s_cbranch_execz .LBB6_6144
; %bb.6137:                             ;   in Loop: Header=BB6_6112 Depth=3
	v_mov_b32_e32 v183, 0
	s_mov_b32 s17, exec_lo
	v_cmpx_ne_u32_e32 0, v40
	s_cbranch_execz .LBB6_6143
; %bb.6138:                             ;   in Loop: Header=BB6_6112 Depth=3
	v_bfe_u32 v183, v40, 23, 8
	s_delay_alu instid0(VALU_DEP_1) | instskip(SKIP_1) | instid1(VALU_DEP_2)
	v_sub_nc_u32_e32 v42, 0x78, v183
	v_cmp_gt_u32_e32 vcc_lo, 0x79, v183
	v_dual_cndmask_b32 v42, 0, v42 :: v_dual_and_b32 v41, 0x7fffff, v40
	s_delay_alu instid0(VALU_DEP_1) | instskip(SKIP_2) | instid1(VALU_DEP_4)
	v_or_b32_e32 v43, 0x800000, v41
	v_cmp_eq_u32_e32 vcc_lo, 0, v183
	v_add_nc_u32_e32 v183, 0xffffff89, v183
	v_cndmask_b32_e64 v42, v42, 0x77, vcc_lo
	s_delay_alu instid0(VALU_DEP_2) | instskip(SKIP_1) | instid1(VALU_DEP_3)
	v_cndmask_b32_e64 v183, v183, 0xffffff8a, vcc_lo
	v_cndmask_b32_e32 v41, v43, v41, vcc_lo
	v_lshl_add_u32 v43, 0x100000, v42, -1
	v_lshlrev_b32_e64 v46, v42, 0x80000
	s_delay_alu instid0(VALU_DEP_3) | instskip(SKIP_1) | instid1(VALU_DEP_4)
	v_lshrrev_b32_e32 v44, v42, v41
	v_add_nc_u32_e32 v42, v42, v183
	v_and_b32_e32 v41, v43, v41
	s_delay_alu instid0(VALU_DEP_3) | instskip(NEXT) | instid1(VALU_DEP_2)
	v_bfe_u32 v45, v44, 20, 1
	v_cmp_eq_u32_e64 s13, v41, v46
	s_delay_alu instid0(VALU_DEP_2) | instskip(NEXT) | instid1(VALU_DEP_1)
	v_add_nc_u32_e32 v43, -1, v45
	v_cndmask_b32_e64 v41, 0, v43, s13
	v_lshrrev_b32_e32 v43, 23, v44
	s_mov_b32 s13, exec_lo
	s_delay_alu instid0(VALU_DEP_2) | instskip(NEXT) | instid1(VALU_DEP_2)
	v_add_nc_u32_e32 v41, v41, v44
	v_xor_b32_e32 v43, 1, v43
	s_delay_alu instid0(VALU_DEP_2) | instskip(NEXT) | instid1(VALU_DEP_1)
	v_and_b32_e32 v183, 0xfffff, v41
	v_add_nc_u32_e32 v41, v183, v44
                                        ; implicit-def: $vgpr183
	s_delay_alu instid0(VALU_DEP_3)
	v_cmpx_ne_u32_e64 v42, v43
	s_xor_b32 s13, exec_lo, s13
; %bb.6139:                             ;   in Loop: Header=BB6_6112 Depth=3
	s_delay_alu instid0(VALU_DEP_2) | instskip(SKIP_2) | instid1(VALU_DEP_2)
	v_cmp_lt_u32_e32 vcc_lo, 0xffffff, v41
	v_sub_nc_u32_e32 v183, v42, v43
	v_cndmask_b32_e64 v42, 0, 1, vcc_lo
	v_add_co_ci_u32_e32 v183, vcc_lo, 0, v183, vcc_lo
	s_delay_alu instid0(VALU_DEP_2)
	v_lshrrev_b32_e32 v41, v42, v41
; %bb.6140:                             ;   in Loop: Header=BB6_6112 Depth=3
	s_and_not1_saveexec_b32 s13, s13
; %bb.6141:                             ;   in Loop: Header=BB6_6112 Depth=3
	s_delay_alu instid0(VALU_DEP_1)
	v_bfe_u32 v183, v41, 23, 1
; %bb.6142:                             ;   in Loop: Header=BB6_6112 Depth=3
	s_or_b32 exec_lo, exec_lo, s13
	v_lshrrev_b32_e32 v41, 20, v41
	s_delay_alu instid0(VALU_DEP_2) | instskip(SKIP_2) | instid1(VALU_DEP_2)
	v_cmp_gt_i32_e32 vcc_lo, 16, v183
	v_lshrrev_b32_e32 v40, 24, v40
	v_min_i32_e32 v42, 15, v183
	v_dual_cndmask_b32 v41, 7, v41 :: v_dual_and_b32 v40, 0x80, v40
	s_delay_alu instid0(VALU_DEP_1) | instskip(SKIP_1) | instid1(VALU_DEP_2)
	v_or_b32_e32 v183, v183, v41
	v_and_b32_e32 v43, 7, v41
	v_cmp_ne_u32_e32 vcc_lo, 0, v183
	v_lshlrev_b32_e32 v42, 3, v42
	s_delay_alu instid0(VALU_DEP_1) | instskip(NEXT) | instid1(VALU_DEP_1)
	v_or3_b32 v40, v42, v40, v43
	v_cndmask_b32_e32 v183, 0, v40, vcc_lo
.LBB6_6143:                             ;   in Loop: Header=BB6_6112 Depth=3
	s_or_b32 exec_lo, exec_lo, s17
.LBB6_6144:                             ;   in Loop: Header=BB6_6112 Depth=3
	s_delay_alu instid0(SALU_CYCLE_1) | instskip(SKIP_3) | instid1(VALU_DEP_1)
	s_or_b32 exec_lo, exec_lo, s16
	v_lshrrev_b32_e32 v41, 16, v48
	s_mov_b32 s13, 0
	s_mov_b32 s17, exec_lo
                                        ; implicit-def: $sgpr16
	v_and_b32_e32 v42, 0xff, v41
	s_delay_alu instid0(VALU_DEP_1)
	v_cmpx_lt_i16_e32 0x7f, v42
	s_xor_b32 s17, exec_lo, s17
	s_cbranch_execnz .LBB6_7150
; %bb.6145:                             ;   in Loop: Header=BB6_6112 Depth=3
	s_or_saveexec_b32 s17, s17
	v_mov_b32_e32 v40, s16
	s_xor_b32 exec_lo, exec_lo, s17
	s_cbranch_execnz .LBB6_7153
.LBB6_6146:                             ;   in Loop: Header=BB6_6112 Depth=3
	s_or_b32 exec_lo, exec_lo, s17
	s_and_saveexec_b32 s16, s13
	s_cbranch_execz .LBB6_6148
.LBB6_6147:                             ;   in Loop: Header=BB6_6112 Depth=3
	v_bfe_u32 v40, v48, 16, 3
	v_lshlrev_b32_e32 v44, 8, v48
	s_delay_alu instid0(VALU_DEP_2) | instskip(NEXT) | instid1(VALU_DEP_1)
	v_clz_i32_u32_e32 v42, v40
	v_min_u32_e32 v42, 32, v42
	s_delay_alu instid0(VALU_DEP_1) | instskip(SKIP_1) | instid1(VALU_DEP_2)
	v_subrev_nc_u32_e32 v43, 28, v42
	v_sub_nc_u32_e32 v42, 29, v42
	v_lshlrev_b32_e32 v41, v43, v41
	v_bfe_u32 v43, v48, 19, 4
	s_delay_alu instid0(VALU_DEP_1) | instskip(NEXT) | instid1(VALU_DEP_3)
	v_cmp_eq_u32_e32 vcc_lo, 0, v43
	v_dual_cndmask_b32 v42, v43, v42 :: v_dual_and_b32 v41, 7, v41
	s_delay_alu instid0(VALU_DEP_1) | instskip(NEXT) | instid1(VALU_DEP_2)
	v_dual_cndmask_b32 v40, v40, v41 :: v_dual_and_b32 v41, 0x80000000, v44
	v_lshl_add_u32 v42, v42, 23, 0x3b800000
	s_delay_alu instid0(VALU_DEP_2) | instskip(NEXT) | instid1(VALU_DEP_1)
	v_lshlrev_b32_e32 v40, 20, v40
	v_or3_b32 v40, v41, v42, v40
.LBB6_6148:                             ;   in Loop: Header=BB6_6112 Depth=3
	s_or_b32 exec_lo, exec_lo, s16
	v_lshrrev_b32_e32 v41, 16, v36
	s_mov_b32 s13, 0
	s_mov_b32 s17, exec_lo
                                        ; implicit-def: $sgpr16
	s_delay_alu instid0(VALU_DEP_1) | instskip(NEXT) | instid1(VALU_DEP_1)
	v_and_b32_e32 v43, 0xff, v41
	v_cmpx_lt_i16_e32 0x7f, v43
	s_xor_b32 s17, exec_lo, s17
	s_cbranch_execnz .LBB6_7154
; %bb.6149:                             ;   in Loop: Header=BB6_6112 Depth=3
	s_or_saveexec_b32 s17, s17
	v_mov_b32_e32 v42, s16
	s_xor_b32 exec_lo, exec_lo, s17
	s_cbranch_execnz .LBB6_7157
.LBB6_6150:                             ;   in Loop: Header=BB6_6112 Depth=3
	s_or_b32 exec_lo, exec_lo, s17
	s_and_saveexec_b32 s16, s13
	s_cbranch_execz .LBB6_6152
.LBB6_6151:                             ;   in Loop: Header=BB6_6112 Depth=3
	v_bfe_u32 v42, v36, 16, 3
	v_lshlrev_b32_e32 v45, 8, v36
	s_delay_alu instid0(VALU_DEP_2) | instskip(NEXT) | instid1(VALU_DEP_1)
	v_clz_i32_u32_e32 v43, v42
	v_min_u32_e32 v43, 32, v43
	s_delay_alu instid0(VALU_DEP_1) | instskip(SKIP_1) | instid1(VALU_DEP_2)
	v_subrev_nc_u32_e32 v44, 28, v43
	v_sub_nc_u32_e32 v43, 29, v43
	v_lshlrev_b32_e32 v41, v44, v41
	v_bfe_u32 v44, v36, 19, 4
	s_delay_alu instid0(VALU_DEP_2) | instskip(NEXT) | instid1(VALU_DEP_2)
	v_and_b32_e32 v41, 7, v41
	v_cmp_eq_u32_e32 vcc_lo, 0, v44
	v_cndmask_b32_e32 v43, v44, v43, vcc_lo
	s_delay_alu instid0(VALU_DEP_3) | instskip(SKIP_1) | instid1(VALU_DEP_3)
	v_cndmask_b32_e32 v41, v42, v41, vcc_lo
	v_and_b32_e32 v42, 0x80000000, v45
	v_lshl_add_u32 v43, v43, 23, 0x3b800000
	s_delay_alu instid0(VALU_DEP_3) | instskip(NEXT) | instid1(VALU_DEP_1)
	v_lshlrev_b32_e32 v41, 20, v41
	v_or3_b32 v42, v42, v43, v41
.LBB6_6152:                             ;   in Loop: Header=BB6_6112 Depth=3
	s_or_b32 exec_lo, exec_lo, s16
	s_delay_alu instid0(VALU_DEP_1) | instskip(NEXT) | instid1(VALU_DEP_1)
	v_add_f32_e32 v41, v40, v42
	v_and_b32_e32 v40, 0x7f800000, v41
	s_delay_alu instid0(VALU_DEP_1)
	v_cmp_ne_u32_e32 vcc_lo, 0x7f800000, v40
	v_mov_b32_e32 v40, 0x80
	s_and_saveexec_b32 s16, vcc_lo
	s_cbranch_execz .LBB6_6160
; %bb.6153:                             ;   in Loop: Header=BB6_6112 Depth=3
	v_mov_b32_e32 v40, 0
	s_mov_b32 s17, exec_lo
	v_cmpx_ne_u32_e32 0, v41
	s_cbranch_execz .LBB6_6159
; %bb.6154:                             ;   in Loop: Header=BB6_6112 Depth=3
	v_bfe_u32 v40, v41, 23, 8
	s_delay_alu instid0(VALU_DEP_1) | instskip(SKIP_1) | instid1(VALU_DEP_2)
	v_sub_nc_u32_e32 v43, 0x78, v40
	v_cmp_gt_u32_e32 vcc_lo, 0x79, v40
	v_dual_cndmask_b32 v43, 0, v43 :: v_dual_and_b32 v42, 0x7fffff, v41
	s_delay_alu instid0(VALU_DEP_1) | instskip(SKIP_2) | instid1(VALU_DEP_4)
	v_or_b32_e32 v44, 0x800000, v42
	v_cmp_eq_u32_e32 vcc_lo, 0, v40
	v_add_nc_u32_e32 v40, 0xffffff89, v40
	v_cndmask_b32_e64 v43, v43, 0x77, vcc_lo
	s_delay_alu instid0(VALU_DEP_2) | instskip(SKIP_1) | instid1(VALU_DEP_3)
	v_cndmask_b32_e64 v40, v40, 0xffffff8a, vcc_lo
	v_cndmask_b32_e32 v42, v44, v42, vcc_lo
	v_lshl_add_u32 v44, 0x100000, v43, -1
	v_lshlrev_b32_e64 v47, v43, 0x80000
	s_delay_alu instid0(VALU_DEP_3) | instskip(SKIP_1) | instid1(VALU_DEP_4)
	v_lshrrev_b32_e32 v45, v43, v42
	v_add_nc_u32_e32 v43, v43, v40
	v_and_b32_e32 v42, v44, v42
	s_delay_alu instid0(VALU_DEP_3) | instskip(NEXT) | instid1(VALU_DEP_2)
	v_bfe_u32 v46, v45, 20, 1
	v_cmp_eq_u32_e64 s13, v42, v47
	s_delay_alu instid0(VALU_DEP_2) | instskip(NEXT) | instid1(VALU_DEP_1)
	v_add_nc_u32_e32 v44, -1, v46
	v_cndmask_b32_e64 v42, 0, v44, s13
	v_lshrrev_b32_e32 v44, 23, v45
	s_mov_b32 s13, exec_lo
	s_delay_alu instid0(VALU_DEP_2) | instskip(NEXT) | instid1(VALU_DEP_2)
	v_add_nc_u32_e32 v42, v42, v45
	v_xor_b32_e32 v44, 1, v44
	s_delay_alu instid0(VALU_DEP_2) | instskip(NEXT) | instid1(VALU_DEP_1)
	v_and_b32_e32 v40, 0xfffff, v42
	v_add_nc_u32_e32 v42, v40, v45
                                        ; implicit-def: $vgpr40
	s_delay_alu instid0(VALU_DEP_3)
	v_cmpx_ne_u32_e64 v43, v44
	s_xor_b32 s13, exec_lo, s13
; %bb.6155:                             ;   in Loop: Header=BB6_6112 Depth=3
	s_delay_alu instid0(VALU_DEP_2) | instskip(SKIP_2) | instid1(VALU_DEP_2)
	v_cmp_lt_u32_e32 vcc_lo, 0xffffff, v42
	v_sub_nc_u32_e32 v40, v43, v44
	v_cndmask_b32_e64 v43, 0, 1, vcc_lo
	v_add_co_ci_u32_e32 v40, vcc_lo, 0, v40, vcc_lo
	s_delay_alu instid0(VALU_DEP_2)
	v_lshrrev_b32_e32 v42, v43, v42
; %bb.6156:                             ;   in Loop: Header=BB6_6112 Depth=3
	s_and_not1_saveexec_b32 s13, s13
; %bb.6157:                             ;   in Loop: Header=BB6_6112 Depth=3
	s_delay_alu instid0(VALU_DEP_1)
	v_bfe_u32 v40, v42, 23, 1
; %bb.6158:                             ;   in Loop: Header=BB6_6112 Depth=3
	s_or_b32 exec_lo, exec_lo, s13
	v_lshrrev_b32_e32 v42, 20, v42
	s_delay_alu instid0(VALU_DEP_2) | instskip(SKIP_2) | instid1(VALU_DEP_2)
	v_cmp_gt_i32_e32 vcc_lo, 16, v40
	v_lshrrev_b32_e32 v41, 24, v41
	v_min_i32_e32 v43, 15, v40
	v_dual_cndmask_b32 v42, 7, v42 :: v_dual_and_b32 v41, 0x80, v41
	s_delay_alu instid0(VALU_DEP_1) | instskip(SKIP_1) | instid1(VALU_DEP_2)
	v_or_b32_e32 v40, v40, v42
	v_and_b32_e32 v44, 7, v42
	v_cmp_ne_u32_e32 vcc_lo, 0, v40
	v_lshlrev_b32_e32 v43, 3, v43
	s_delay_alu instid0(VALU_DEP_1) | instskip(NEXT) | instid1(VALU_DEP_1)
	v_or3_b32 v41, v43, v41, v44
	v_cndmask_b32_e32 v40, 0, v41, vcc_lo
.LBB6_6159:                             ;   in Loop: Header=BB6_6112 Depth=3
	s_or_b32 exec_lo, exec_lo, s17
.LBB6_6160:                             ;   in Loop: Header=BB6_6112 Depth=3
	s_delay_alu instid0(SALU_CYCLE_1) | instskip(SKIP_3) | instid1(VALU_DEP_1)
	s_or_b32 exec_lo, exec_lo, s16
	v_lshrrev_b32_e32 v42, 24, v48
	s_mov_b32 s13, 0
	s_mov_b32 s17, exec_lo
                                        ; implicit-def: $sgpr16
	v_cmpx_lt_i16_e32 0x7f, v42
	s_xor_b32 s17, exec_lo, s17
	s_cbranch_execnz .LBB6_7158
; %bb.6161:                             ;   in Loop: Header=BB6_6112 Depth=3
	s_or_saveexec_b32 s17, s17
	v_mov_b32_e32 v41, s16
	s_xor_b32 exec_lo, exec_lo, s17
	s_cbranch_execnz .LBB6_7161
.LBB6_6162:                             ;   in Loop: Header=BB6_6112 Depth=3
	s_or_b32 exec_lo, exec_lo, s17
	s_and_saveexec_b32 s16, s13
	s_cbranch_execz .LBB6_6164
.LBB6_6163:                             ;   in Loop: Header=BB6_6112 Depth=3
	v_bfe_u32 v41, v48, 24, 3
	s_delay_alu instid0(VALU_DEP_1) | instskip(NEXT) | instid1(VALU_DEP_1)
	v_clz_i32_u32_e32 v43, v41
	v_min_u32_e32 v43, 32, v43
	s_delay_alu instid0(VALU_DEP_1) | instskip(SKIP_1) | instid1(VALU_DEP_2)
	v_subrev_nc_u32_e32 v44, 28, v43
	v_sub_nc_u32_e32 v43, 29, v43
	v_lshlrev_b32_e32 v42, v44, v42
	v_bfe_u32 v44, v48, 27, 4
	v_and_b32_e32 v48, 0x80000000, v48
	s_delay_alu instid0(VALU_DEP_2) | instskip(NEXT) | instid1(VALU_DEP_4)
	v_cmp_eq_u32_e32 vcc_lo, 0, v44
	v_dual_cndmask_b32 v43, v44, v43 :: v_dual_and_b32 v42, 7, v42
	s_delay_alu instid0(VALU_DEP_1) | instskip(NEXT) | instid1(VALU_DEP_2)
	v_cndmask_b32_e32 v41, v41, v42, vcc_lo
	v_lshl_add_u32 v42, v43, 23, 0x3b800000
	s_delay_alu instid0(VALU_DEP_2) | instskip(NEXT) | instid1(VALU_DEP_1)
	v_lshlrev_b32_e32 v41, 20, v41
	v_or3_b32 v41, v48, v42, v41
.LBB6_6164:                             ;   in Loop: Header=BB6_6112 Depth=3
	s_or_b32 exec_lo, exec_lo, s16
	v_lshrrev_b32_e32 v48, 24, v36
	s_mov_b32 s13, 0
	s_mov_b32 s17, exec_lo
                                        ; implicit-def: $sgpr16
	s_delay_alu instid0(VALU_DEP_1)
	v_cmpx_lt_i16_e32 0x7f, v48
	s_xor_b32 s17, exec_lo, s17
	s_cbranch_execnz .LBB6_7162
; %bb.6165:                             ;   in Loop: Header=BB6_6112 Depth=3
	s_or_saveexec_b32 s17, s17
	v_mov_b32_e32 v42, s16
	s_xor_b32 exec_lo, exec_lo, s17
	s_cbranch_execnz .LBB6_7165
.LBB6_6166:                             ;   in Loop: Header=BB6_6112 Depth=3
	s_or_b32 exec_lo, exec_lo, s17
	s_and_saveexec_b32 s16, s13
	s_cbranch_execz .LBB6_6168
.LBB6_6167:                             ;   in Loop: Header=BB6_6112 Depth=3
	v_bfe_u32 v42, v36, 24, 3
	s_delay_alu instid0(VALU_DEP_1) | instskip(NEXT) | instid1(VALU_DEP_1)
	v_clz_i32_u32_e32 v43, v42
	v_min_u32_e32 v43, 32, v43
	s_delay_alu instid0(VALU_DEP_1) | instskip(SKIP_1) | instid1(VALU_DEP_2)
	v_subrev_nc_u32_e32 v44, 28, v43
	v_sub_nc_u32_e32 v43, 29, v43
	v_lshlrev_b32_e32 v48, v44, v48
	v_bfe_u32 v44, v36, 27, 4
	v_and_b32_e32 v36, 0x80000000, v36
	s_delay_alu instid0(VALU_DEP_2) | instskip(NEXT) | instid1(VALU_DEP_4)
	v_cmp_eq_u32_e32 vcc_lo, 0, v44
	v_dual_cndmask_b32 v43, v44, v43 :: v_dual_and_b32 v48, 7, v48
	s_delay_alu instid0(VALU_DEP_1) | instskip(NEXT) | instid1(VALU_DEP_2)
	v_cndmask_b32_e32 v48, v42, v48, vcc_lo
	v_lshl_add_u32 v42, v43, 23, 0x3b800000
	s_delay_alu instid0(VALU_DEP_2) | instskip(NEXT) | instid1(VALU_DEP_1)
	v_lshlrev_b32_e32 v48, 20, v48
	v_or3_b32 v42, v36, v42, v48
.LBB6_6168:                             ;   in Loop: Header=BB6_6112 Depth=3
	s_or_b32 exec_lo, exec_lo, s16
	s_delay_alu instid0(VALU_DEP_1) | instskip(NEXT) | instid1(VALU_DEP_1)
	v_add_f32_e32 v48, v41, v42
	v_and_b32_e32 v36, 0x7f800000, v48
	s_delay_alu instid0(VALU_DEP_1)
	v_cmp_ne_u32_e32 vcc_lo, 0x7f800000, v36
	v_mov_b32_e32 v36, 0x80
	s_and_saveexec_b32 s16, vcc_lo
	s_cbranch_execz .LBB6_6176
; %bb.6169:                             ;   in Loop: Header=BB6_6112 Depth=3
	v_mov_b32_e32 v36, 0
	s_mov_b32 s17, exec_lo
	v_cmpx_ne_u32_e32 0, v48
	s_cbranch_execz .LBB6_6175
; %bb.6170:                             ;   in Loop: Header=BB6_6112 Depth=3
	v_bfe_u32 v36, v48, 23, 8
	s_delay_alu instid0(VALU_DEP_1) | instskip(SKIP_1) | instid1(VALU_DEP_2)
	v_sub_nc_u32_e32 v42, 0x78, v36
	v_cmp_gt_u32_e32 vcc_lo, 0x79, v36
	v_dual_cndmask_b32 v42, 0, v42 :: v_dual_and_b32 v41, 0x7fffff, v48
	s_delay_alu instid0(VALU_DEP_1) | instskip(SKIP_2) | instid1(VALU_DEP_4)
	v_or_b32_e32 v43, 0x800000, v41
	v_cmp_eq_u32_e32 vcc_lo, 0, v36
	v_add_nc_u32_e32 v36, 0xffffff89, v36
	v_cndmask_b32_e64 v42, v42, 0x77, vcc_lo
	s_delay_alu instid0(VALU_DEP_4) | instskip(NEXT) | instid1(VALU_DEP_3)
	v_cndmask_b32_e32 v41, v43, v41, vcc_lo
	v_cndmask_b32_e64 v36, v36, 0xffffff8a, vcc_lo
	s_delay_alu instid0(VALU_DEP_3) | instskip(NEXT) | instid1(VALU_DEP_3)
	v_lshl_add_u32 v43, 0x100000, v42, -1
	v_lshrrev_b32_e32 v44, v42, v41
	v_lshlrev_b32_e64 v46, v42, 0x80000
	s_delay_alu instid0(VALU_DEP_4) | instskip(NEXT) | instid1(VALU_DEP_4)
	v_add_nc_u32_e32 v42, v42, v36
	v_and_b32_e32 v41, v43, v41
	s_delay_alu instid0(VALU_DEP_4) | instskip(NEXT) | instid1(VALU_DEP_2)
	v_bfe_u32 v45, v44, 20, 1
	v_cmp_eq_u32_e64 s13, v41, v46
	s_delay_alu instid0(VALU_DEP_2) | instskip(NEXT) | instid1(VALU_DEP_1)
	v_add_nc_u32_e32 v43, -1, v45
	v_cndmask_b32_e64 v41, 0, v43, s13
	v_lshrrev_b32_e32 v43, 23, v44
	s_mov_b32 s13, exec_lo
	s_delay_alu instid0(VALU_DEP_2) | instskip(NEXT) | instid1(VALU_DEP_2)
	v_add_nc_u32_e32 v41, v41, v44
	v_xor_b32_e32 v43, 1, v43
	s_delay_alu instid0(VALU_DEP_2) | instskip(NEXT) | instid1(VALU_DEP_1)
	v_and_b32_e32 v36, 0xfffff, v41
	v_add_nc_u32_e32 v41, v36, v44
                                        ; implicit-def: $vgpr36
	s_delay_alu instid0(VALU_DEP_3)
	v_cmpx_ne_u32_e64 v42, v43
	s_xor_b32 s13, exec_lo, s13
; %bb.6171:                             ;   in Loop: Header=BB6_6112 Depth=3
	s_delay_alu instid0(VALU_DEP_2) | instskip(SKIP_2) | instid1(VALU_DEP_2)
	v_cmp_lt_u32_e32 vcc_lo, 0xffffff, v41
	v_sub_nc_u32_e32 v36, v42, v43
	v_cndmask_b32_e64 v42, 0, 1, vcc_lo
	v_add_co_ci_u32_e32 v36, vcc_lo, 0, v36, vcc_lo
	s_delay_alu instid0(VALU_DEP_2)
	v_lshrrev_b32_e32 v41, v42, v41
; %bb.6172:                             ;   in Loop: Header=BB6_6112 Depth=3
	s_and_not1_saveexec_b32 s13, s13
; %bb.6173:                             ;   in Loop: Header=BB6_6112 Depth=3
	s_delay_alu instid0(VALU_DEP_1)
	v_bfe_u32 v36, v41, 23, 1
; %bb.6174:                             ;   in Loop: Header=BB6_6112 Depth=3
	s_or_b32 exec_lo, exec_lo, s13
	v_lshrrev_b32_e32 v41, 20, v41
	s_delay_alu instid0(VALU_DEP_2) | instskip(SKIP_2) | instid1(VALU_DEP_2)
	v_cmp_gt_i32_e32 vcc_lo, 16, v36
	v_lshrrev_b32_e32 v48, 24, v48
	v_min_i32_e32 v42, 15, v36
	v_dual_cndmask_b32 v41, 7, v41 :: v_dual_and_b32 v48, 0x80, v48
	s_delay_alu instid0(VALU_DEP_2) | instskip(NEXT) | instid1(VALU_DEP_2)
	v_lshlrev_b32_e32 v42, 3, v42
	v_or_b32_e32 v36, v36, v41
	s_delay_alu instid0(VALU_DEP_1) | instskip(SKIP_1) | instid1(VALU_DEP_1)
	v_cmp_ne_u32_e32 vcc_lo, 0, v36
	v_and_b32_e32 v43, 7, v41
	v_or3_b32 v48, v42, v48, v43
	s_delay_alu instid0(VALU_DEP_1)
	v_cndmask_b32_e32 v36, 0, v48, vcc_lo
.LBB6_6175:                             ;   in Loop: Header=BB6_6112 Depth=3
	s_or_b32 exec_lo, exec_lo, s17
.LBB6_6176:                             ;   in Loop: Header=BB6_6112 Depth=3
	s_delay_alu instid0(SALU_CYCLE_1) | instskip(SKIP_3) | instid1(VALU_DEP_1)
	s_or_b32 exec_lo, exec_lo, s16
	v_and_b32_e32 v41, 0xff, v49
	s_mov_b32 s13, 0
	s_mov_b32 s17, exec_lo
                                        ; implicit-def: $sgpr16
	v_cmpx_lt_i16_e32 0x7f, v41
	s_xor_b32 s17, exec_lo, s17
	s_cbranch_execnz .LBB6_7166
; %bb.6177:                             ;   in Loop: Header=BB6_6112 Depth=3
	s_or_saveexec_b32 s17, s17
	v_mov_b32_e32 v48, s16
	s_xor_b32 exec_lo, exec_lo, s17
	s_cbranch_execnz .LBB6_7169
.LBB6_6178:                             ;   in Loop: Header=BB6_6112 Depth=3
	s_or_b32 exec_lo, exec_lo, s17
	s_and_saveexec_b32 s16, s13
	s_cbranch_execz .LBB6_6180
.LBB6_6179:                             ;   in Loop: Header=BB6_6112 Depth=3
	v_and_b32_e32 v48, 7, v49
	v_bfe_u32 v43, v49, 3, 4
	v_lshlrev_b32_e32 v44, 24, v49
	s_delay_alu instid0(VALU_DEP_3) | instskip(NEXT) | instid1(VALU_DEP_3)
	v_clz_i32_u32_e32 v41, v48
	v_cmp_eq_u32_e32 vcc_lo, 0, v43
	s_delay_alu instid0(VALU_DEP_2) | instskip(NEXT) | instid1(VALU_DEP_1)
	v_min_u32_e32 v41, 32, v41
	v_subrev_nc_u32_e32 v42, 28, v41
	v_sub_nc_u32_e32 v41, 29, v41
	s_delay_alu instid0(VALU_DEP_2) | instskip(NEXT) | instid1(VALU_DEP_1)
	v_lshlrev_b32_e32 v42, v42, v49
	v_dual_cndmask_b32 v41, v43, v41 :: v_dual_and_b32 v42, 7, v42
	s_delay_alu instid0(VALU_DEP_1) | instskip(NEXT) | instid1(VALU_DEP_2)
	v_lshl_add_u32 v41, v41, 23, 0x3b800000
	v_cndmask_b32_e32 v48, v48, v42, vcc_lo
	v_and_b32_e32 v42, 0x80000000, v44
	s_delay_alu instid0(VALU_DEP_2) | instskip(NEXT) | instid1(VALU_DEP_1)
	v_lshlrev_b32_e32 v48, 20, v48
	v_or3_b32 v48, v42, v41, v48
.LBB6_6180:                             ;   in Loop: Header=BB6_6112 Depth=3
	s_or_b32 exec_lo, exec_lo, s16
	v_and_b32_e32 v42, 0xff, v37
	s_mov_b32 s13, 0
	s_mov_b32 s17, exec_lo
                                        ; implicit-def: $sgpr16
	s_delay_alu instid0(VALU_DEP_1)
	v_cmpx_lt_i16_e32 0x7f, v42
	s_xor_b32 s17, exec_lo, s17
	s_cbranch_execnz .LBB6_7170
; %bb.6181:                             ;   in Loop: Header=BB6_6112 Depth=3
	s_or_saveexec_b32 s17, s17
	v_mov_b32_e32 v41, s16
	s_xor_b32 exec_lo, exec_lo, s17
	s_cbranch_execnz .LBB6_7173
.LBB6_6182:                             ;   in Loop: Header=BB6_6112 Depth=3
	s_or_b32 exec_lo, exec_lo, s17
	s_and_saveexec_b32 s16, s13
	s_cbranch_execz .LBB6_6184
.LBB6_6183:                             ;   in Loop: Header=BB6_6112 Depth=3
	v_bfe_u32 v44, v37, 3, 4
	v_lshlrev_b32_e32 v45, 24, v37
	s_delay_alu instid0(VALU_DEP_2) | instskip(SKIP_1) | instid1(VALU_DEP_1)
	v_cmp_eq_u32_e32 vcc_lo, 0, v44
	v_and_b32_e32 v41, 7, v37
	v_clz_i32_u32_e32 v42, v41
	s_delay_alu instid0(VALU_DEP_1) | instskip(NEXT) | instid1(VALU_DEP_1)
	v_min_u32_e32 v42, 32, v42
	v_subrev_nc_u32_e32 v43, 28, v42
	v_sub_nc_u32_e32 v42, 29, v42
	s_delay_alu instid0(VALU_DEP_1) | instskip(NEXT) | instid1(VALU_DEP_1)
	v_dual_cndmask_b32 v42, v44, v42 :: v_dual_lshlrev_b32 v43, v43, v37
	v_and_b32_e32 v43, 7, v43
	s_delay_alu instid0(VALU_DEP_2) | instskip(NEXT) | instid1(VALU_DEP_2)
	v_lshl_add_u32 v42, v42, 23, 0x3b800000
	v_cndmask_b32_e32 v41, v41, v43, vcc_lo
	v_and_b32_e32 v43, 0x80000000, v45
	s_delay_alu instid0(VALU_DEP_2) | instskip(NEXT) | instid1(VALU_DEP_1)
	v_lshlrev_b32_e32 v41, 20, v41
	v_or3_b32 v41, v43, v42, v41
.LBB6_6184:                             ;   in Loop: Header=BB6_6112 Depth=3
	s_or_b32 exec_lo, exec_lo, s16
	s_delay_alu instid0(VALU_DEP_1) | instskip(NEXT) | instid1(VALU_DEP_1)
	v_add_f32_e32 v41, v48, v41
	v_and_b32_e32 v48, 0x7f800000, v41
	s_delay_alu instid0(VALU_DEP_1)
	v_cmp_ne_u32_e32 vcc_lo, 0x7f800000, v48
	v_mov_b32_e32 v48, 0x80
	s_and_saveexec_b32 s16, vcc_lo
	s_cbranch_execz .LBB6_6192
; %bb.6185:                             ;   in Loop: Header=BB6_6112 Depth=3
	v_mov_b32_e32 v48, 0
	s_mov_b32 s17, exec_lo
	v_cmpx_ne_u32_e32 0, v41
	s_cbranch_execz .LBB6_6191
; %bb.6186:                             ;   in Loop: Header=BB6_6112 Depth=3
	v_bfe_u32 v48, v41, 23, 8
	s_delay_alu instid0(VALU_DEP_1) | instskip(SKIP_1) | instid1(VALU_DEP_2)
	v_sub_nc_u32_e32 v43, 0x78, v48
	v_cmp_gt_u32_e32 vcc_lo, 0x79, v48
	v_dual_cndmask_b32 v43, 0, v43 :: v_dual_and_b32 v42, 0x7fffff, v41
	s_delay_alu instid0(VALU_DEP_1) | instskip(SKIP_2) | instid1(VALU_DEP_4)
	v_or_b32_e32 v44, 0x800000, v42
	v_cmp_eq_u32_e32 vcc_lo, 0, v48
	v_add_nc_u32_e32 v48, 0xffffff89, v48
	v_cndmask_b32_e64 v43, v43, 0x77, vcc_lo
	s_delay_alu instid0(VALU_DEP_2) | instskip(SKIP_1) | instid1(VALU_DEP_3)
	v_cndmask_b32_e64 v48, v48, 0xffffff8a, vcc_lo
	v_cndmask_b32_e32 v42, v44, v42, vcc_lo
	v_lshl_add_u32 v44, 0x100000, v43, -1
	v_lshlrev_b32_e64 v47, v43, 0x80000
	s_delay_alu instid0(VALU_DEP_3) | instskip(SKIP_1) | instid1(VALU_DEP_4)
	v_lshrrev_b32_e32 v45, v43, v42
	v_add_nc_u32_e32 v43, v43, v48
	v_and_b32_e32 v42, v44, v42
	s_delay_alu instid0(VALU_DEP_3) | instskip(NEXT) | instid1(VALU_DEP_2)
	v_bfe_u32 v46, v45, 20, 1
	v_cmp_eq_u32_e64 s13, v42, v47
	s_delay_alu instid0(VALU_DEP_2) | instskip(NEXT) | instid1(VALU_DEP_1)
	v_add_nc_u32_e32 v44, -1, v46
	v_cndmask_b32_e64 v42, 0, v44, s13
	v_lshrrev_b32_e32 v44, 23, v45
	s_mov_b32 s13, exec_lo
	s_delay_alu instid0(VALU_DEP_2) | instskip(NEXT) | instid1(VALU_DEP_2)
	v_add_nc_u32_e32 v42, v42, v45
	v_xor_b32_e32 v44, 1, v44
	s_delay_alu instid0(VALU_DEP_2) | instskip(NEXT) | instid1(VALU_DEP_1)
	v_and_b32_e32 v48, 0xfffff, v42
	v_add_nc_u32_e32 v42, v48, v45
                                        ; implicit-def: $vgpr48
	s_delay_alu instid0(VALU_DEP_3)
	v_cmpx_ne_u32_e64 v43, v44
	s_xor_b32 s13, exec_lo, s13
; %bb.6187:                             ;   in Loop: Header=BB6_6112 Depth=3
	s_delay_alu instid0(VALU_DEP_2) | instskip(SKIP_2) | instid1(VALU_DEP_2)
	v_cmp_lt_u32_e32 vcc_lo, 0xffffff, v42
	v_sub_nc_u32_e32 v48, v43, v44
	v_cndmask_b32_e64 v43, 0, 1, vcc_lo
	v_add_co_ci_u32_e32 v48, vcc_lo, 0, v48, vcc_lo
	s_delay_alu instid0(VALU_DEP_2)
	v_lshrrev_b32_e32 v42, v43, v42
; %bb.6188:                             ;   in Loop: Header=BB6_6112 Depth=3
	s_and_not1_saveexec_b32 s13, s13
; %bb.6189:                             ;   in Loop: Header=BB6_6112 Depth=3
	s_delay_alu instid0(VALU_DEP_1)
	v_bfe_u32 v48, v42, 23, 1
; %bb.6190:                             ;   in Loop: Header=BB6_6112 Depth=3
	s_or_b32 exec_lo, exec_lo, s13
	v_lshrrev_b32_e32 v42, 20, v42
	s_delay_alu instid0(VALU_DEP_2) | instskip(SKIP_2) | instid1(VALU_DEP_2)
	v_cmp_gt_i32_e32 vcc_lo, 16, v48
	v_lshrrev_b32_e32 v41, 24, v41
	v_min_i32_e32 v43, 15, v48
	v_dual_cndmask_b32 v42, 7, v42 :: v_dual_and_b32 v41, 0x80, v41
	s_delay_alu instid0(VALU_DEP_1) | instskip(SKIP_1) | instid1(VALU_DEP_2)
	v_or_b32_e32 v48, v48, v42
	v_and_b32_e32 v44, 7, v42
	v_cmp_ne_u32_e32 vcc_lo, 0, v48
	v_lshlrev_b32_e32 v43, 3, v43
	s_delay_alu instid0(VALU_DEP_1) | instskip(NEXT) | instid1(VALU_DEP_1)
	v_or3_b32 v41, v43, v41, v44
	v_cndmask_b32_e32 v48, 0, v41, vcc_lo
.LBB6_6191:                             ;   in Loop: Header=BB6_6112 Depth=3
	s_or_b32 exec_lo, exec_lo, s17
.LBB6_6192:                             ;   in Loop: Header=BB6_6112 Depth=3
	s_delay_alu instid0(SALU_CYCLE_1) | instskip(SKIP_3) | instid1(VALU_DEP_1)
	s_or_b32 exec_lo, exec_lo, s16
	v_lshrrev_b16 v42, 8, v49
	s_mov_b32 s13, 0
	s_mov_b32 s17, exec_lo
                                        ; implicit-def: $sgpr16
	v_cmpx_lt_i16_e32 0x7f, v42
	s_xor_b32 s17, exec_lo, s17
	s_cbranch_execnz .LBB6_7174
; %bb.6193:                             ;   in Loop: Header=BB6_6112 Depth=3
	s_or_saveexec_b32 s17, s17
	v_mov_b32_e32 v41, s16
	s_xor_b32 exec_lo, exec_lo, s17
	s_cbranch_execnz .LBB6_7177
.LBB6_6194:                             ;   in Loop: Header=BB6_6112 Depth=3
	s_or_b32 exec_lo, exec_lo, s17
	s_and_saveexec_b32 s16, s13
	s_cbranch_execz .LBB6_6196
.LBB6_6195:                             ;   in Loop: Header=BB6_6112 Depth=3
	v_and_b32_e32 v41, 0xffff, v42
	s_delay_alu instid0(VALU_DEP_1) | instskip(NEXT) | instid1(VALU_DEP_1)
	v_and_b32_e32 v43, 7, v41
	v_clz_i32_u32_e32 v44, v43
	s_delay_alu instid0(VALU_DEP_1) | instskip(NEXT) | instid1(VALU_DEP_1)
	v_min_u32_e32 v44, 32, v44
	v_subrev_nc_u32_e32 v45, 28, v44
	v_sub_nc_u32_e32 v44, 29, v44
	s_delay_alu instid0(VALU_DEP_2) | instskip(SKIP_1) | instid1(VALU_DEP_2)
	v_lshlrev_b32_e32 v45, v45, v41
	v_bfe_u32 v41, v41, 3, 4
	v_and_b32_e32 v45, 7, v45
	s_delay_alu instid0(VALU_DEP_2) | instskip(SKIP_1) | instid1(VALU_DEP_1)
	v_cmp_eq_u32_e32 vcc_lo, 0, v41
	v_dual_cndmask_b32 v41, v41, v44 :: v_dual_lshlrev_b32 v42, 24, v42
	v_dual_cndmask_b32 v43, v43, v45 :: v_dual_and_b32 v42, 0x80000000, v42
	s_delay_alu instid0(VALU_DEP_2) | instskip(NEXT) | instid1(VALU_DEP_2)
	v_lshl_add_u32 v41, v41, 23, 0x3b800000
	v_lshlrev_b32_e32 v43, 20, v43
	s_delay_alu instid0(VALU_DEP_1)
	v_or3_b32 v41, v42, v41, v43
.LBB6_6196:                             ;   in Loop: Header=BB6_6112 Depth=3
	s_or_b32 exec_lo, exec_lo, s16
	v_lshrrev_b16 v42, 8, v37
	s_mov_b32 s13, 0
	s_mov_b32 s17, exec_lo
                                        ; implicit-def: $sgpr16
	s_delay_alu instid0(VALU_DEP_1)
	v_cmpx_lt_i16_e32 0x7f, v42
	s_xor_b32 s17, exec_lo, s17
	s_cbranch_execnz .LBB6_7178
; %bb.6197:                             ;   in Loop: Header=BB6_6112 Depth=3
	s_or_saveexec_b32 s17, s17
	v_mov_b32_e32 v43, s16
	s_xor_b32 exec_lo, exec_lo, s17
	s_cbranch_execnz .LBB6_7181
.LBB6_6198:                             ;   in Loop: Header=BB6_6112 Depth=3
	s_or_b32 exec_lo, exec_lo, s17
	s_and_saveexec_b32 s16, s13
	s_cbranch_execz .LBB6_6200
.LBB6_6199:                             ;   in Loop: Header=BB6_6112 Depth=3
	v_and_b32_e32 v43, 0xffff, v42
	v_lshlrev_b32_e32 v42, 24, v42
	s_delay_alu instid0(VALU_DEP_2) | instskip(NEXT) | instid1(VALU_DEP_2)
	v_and_b32_e32 v44, 7, v43
	v_and_b32_e32 v42, 0x80000000, v42
	s_delay_alu instid0(VALU_DEP_2) | instskip(NEXT) | instid1(VALU_DEP_1)
	v_clz_i32_u32_e32 v45, v44
	v_min_u32_e32 v45, 32, v45
	s_delay_alu instid0(VALU_DEP_1) | instskip(SKIP_1) | instid1(VALU_DEP_2)
	v_subrev_nc_u32_e32 v46, 28, v45
	v_sub_nc_u32_e32 v45, 29, v45
	v_lshlrev_b32_e32 v46, v46, v43
	v_bfe_u32 v43, v43, 3, 4
	s_delay_alu instid0(VALU_DEP_2) | instskip(NEXT) | instid1(VALU_DEP_2)
	v_and_b32_e32 v46, 7, v46
	v_cmp_eq_u32_e32 vcc_lo, 0, v43
	s_delay_alu instid0(VALU_DEP_2) | instskip(NEXT) | instid1(VALU_DEP_1)
	v_dual_cndmask_b32 v43, v43, v45 :: v_dual_cndmask_b32 v44, v44, v46
	v_lshl_add_u32 v43, v43, 23, 0x3b800000
	s_delay_alu instid0(VALU_DEP_2) | instskip(NEXT) | instid1(VALU_DEP_1)
	v_lshlrev_b32_e32 v44, 20, v44
	v_or3_b32 v43, v42, v43, v44
.LBB6_6200:                             ;   in Loop: Header=BB6_6112 Depth=3
	s_or_b32 exec_lo, exec_lo, s16
	s_delay_alu instid0(VALU_DEP_1) | instskip(NEXT) | instid1(VALU_DEP_1)
	v_add_f32_e32 v42, v41, v43
	v_and_b32_e32 v41, 0x7f800000, v42
	s_delay_alu instid0(VALU_DEP_1)
	v_cmp_ne_u32_e32 vcc_lo, 0x7f800000, v41
	v_mov_b32_e32 v41, 0x8000
	s_and_saveexec_b32 s16, vcc_lo
	s_cbranch_execz .LBB6_6208
; %bb.6201:                             ;   in Loop: Header=BB6_6112 Depth=3
	v_mov_b32_e32 v41, 0
	s_mov_b32 s17, exec_lo
	v_cmpx_ne_u32_e32 0, v42
	s_cbranch_execz .LBB6_6207
; %bb.6202:                             ;   in Loop: Header=BB6_6112 Depth=3
	v_bfe_u32 v41, v42, 23, 8
	s_delay_alu instid0(VALU_DEP_1) | instskip(SKIP_1) | instid1(VALU_DEP_2)
	v_sub_nc_u32_e32 v44, 0x78, v41
	v_cmp_gt_u32_e32 vcc_lo, 0x79, v41
	v_dual_cndmask_b32 v44, 0, v44 :: v_dual_and_b32 v43, 0x7fffff, v42
	s_delay_alu instid0(VALU_DEP_1) | instskip(SKIP_2) | instid1(VALU_DEP_4)
	v_or_b32_e32 v45, 0x800000, v43
	v_cmp_eq_u32_e32 vcc_lo, 0, v41
	v_add_nc_u32_e32 v41, 0xffffff89, v41
	v_cndmask_b32_e64 v44, v44, 0x77, vcc_lo
	s_delay_alu instid0(VALU_DEP_2) | instskip(SKIP_1) | instid1(VALU_DEP_3)
	v_cndmask_b32_e64 v41, v41, 0xffffff8a, vcc_lo
	v_cndmask_b32_e32 v43, v45, v43, vcc_lo
	v_lshl_add_u32 v45, 0x100000, v44, -1
	v_lshlrev_b32_e64 v56, v44, 0x80000
	s_delay_alu instid0(VALU_DEP_3) | instskip(SKIP_1) | instid1(VALU_DEP_4)
	v_lshrrev_b32_e32 v46, v44, v43
	v_add_nc_u32_e32 v44, v44, v41
	v_and_b32_e32 v43, v45, v43
	s_delay_alu instid0(VALU_DEP_3) | instskip(NEXT) | instid1(VALU_DEP_2)
	v_bfe_u32 v47, v46, 20, 1
	v_cmp_eq_u32_e64 s13, v43, v56
	s_delay_alu instid0(VALU_DEP_2) | instskip(NEXT) | instid1(VALU_DEP_1)
	v_add_nc_u32_e32 v45, -1, v47
	v_cndmask_b32_e64 v43, 0, v45, s13
	v_lshrrev_b32_e32 v45, 23, v46
	s_mov_b32 s13, exec_lo
	s_delay_alu instid0(VALU_DEP_2) | instskip(NEXT) | instid1(VALU_DEP_2)
	v_add_nc_u32_e32 v43, v43, v46
	v_xor_b32_e32 v45, 1, v45
	s_delay_alu instid0(VALU_DEP_2) | instskip(NEXT) | instid1(VALU_DEP_1)
	v_and_b32_e32 v41, 0xfffff, v43
	v_add_nc_u32_e32 v43, v41, v46
                                        ; implicit-def: $vgpr41
	s_delay_alu instid0(VALU_DEP_3)
	v_cmpx_ne_u32_e64 v44, v45
	s_xor_b32 s13, exec_lo, s13
; %bb.6203:                             ;   in Loop: Header=BB6_6112 Depth=3
	s_delay_alu instid0(VALU_DEP_2) | instskip(SKIP_2) | instid1(VALU_DEP_2)
	v_cmp_lt_u32_e32 vcc_lo, 0xffffff, v43
	v_sub_nc_u32_e32 v41, v44, v45
	v_cndmask_b32_e64 v44, 0, 1, vcc_lo
	v_add_co_ci_u32_e32 v41, vcc_lo, 0, v41, vcc_lo
	s_delay_alu instid0(VALU_DEP_2)
	v_lshrrev_b32_e32 v43, v44, v43
; %bb.6204:                             ;   in Loop: Header=BB6_6112 Depth=3
	s_and_not1_saveexec_b32 s13, s13
; %bb.6205:                             ;   in Loop: Header=BB6_6112 Depth=3
	s_delay_alu instid0(VALU_DEP_1)
	v_bfe_u32 v41, v43, 23, 1
; %bb.6206:                             ;   in Loop: Header=BB6_6112 Depth=3
	s_or_b32 exec_lo, exec_lo, s13
	v_lshrrev_b32_e32 v43, 20, v43
	s_delay_alu instid0(VALU_DEP_2) | instskip(SKIP_2) | instid1(VALU_DEP_2)
	v_cmp_gt_i32_e32 vcc_lo, 16, v41
	v_min_i32_e32 v44, 15, v41
	v_lshrrev_b32_e32 v42, 24, v42
	v_dual_cndmask_b32 v43, 7, v43 :: v_dual_lshlrev_b32 v44, 3, v44
	s_delay_alu instid0(VALU_DEP_2) | instskip(NEXT) | instid1(VALU_DEP_2)
	v_and_b32_e32 v42, 0x80, v42
	v_or_b32_e32 v41, v41, v43
	v_and_b32_e32 v45, 7, v43
	s_delay_alu instid0(VALU_DEP_2) | instskip(SKIP_1) | instid1(VALU_DEP_1)
	v_cmp_ne_u32_e32 vcc_lo, 0, v41
	v_and_b32_e32 v44, 0xf8, v44
	v_or3_b32 v42, v42, v44, v45
	s_delay_alu instid0(VALU_DEP_1) | instskip(NEXT) | instid1(VALU_DEP_1)
	v_lshlrev_b32_e32 v42, 8, v42
	v_cndmask_b32_e32 v41, 0, v42, vcc_lo
.LBB6_6207:                             ;   in Loop: Header=BB6_6112 Depth=3
	s_or_b32 exec_lo, exec_lo, s17
.LBB6_6208:                             ;   in Loop: Header=BB6_6112 Depth=3
	s_delay_alu instid0(SALU_CYCLE_1) | instskip(SKIP_3) | instid1(VALU_DEP_1)
	s_or_b32 exec_lo, exec_lo, s16
	v_lshrrev_b32_e32 v43, 16, v49
	s_mov_b32 s13, 0
	s_mov_b32 s17, exec_lo
                                        ; implicit-def: $sgpr16
	v_and_b32_e32 v44, 0xff, v43
	s_delay_alu instid0(VALU_DEP_1)
	v_cmpx_lt_i16_e32 0x7f, v44
	s_xor_b32 s17, exec_lo, s17
	s_cbranch_execnz .LBB6_7182
; %bb.6209:                             ;   in Loop: Header=BB6_6112 Depth=3
	s_or_saveexec_b32 s17, s17
	v_mov_b32_e32 v42, s16
	s_xor_b32 exec_lo, exec_lo, s17
	s_cbranch_execnz .LBB6_7185
.LBB6_6210:                             ;   in Loop: Header=BB6_6112 Depth=3
	s_or_b32 exec_lo, exec_lo, s17
	s_and_saveexec_b32 s16, s13
	s_cbranch_execz .LBB6_6212
.LBB6_6211:                             ;   in Loop: Header=BB6_6112 Depth=3
	v_bfe_u32 v42, v49, 16, 3
	v_lshlrev_b32_e32 v46, 8, v49
	s_delay_alu instid0(VALU_DEP_2) | instskip(NEXT) | instid1(VALU_DEP_1)
	v_clz_i32_u32_e32 v44, v42
	v_min_u32_e32 v44, 32, v44
	s_delay_alu instid0(VALU_DEP_1) | instskip(SKIP_1) | instid1(VALU_DEP_2)
	v_subrev_nc_u32_e32 v45, 28, v44
	v_sub_nc_u32_e32 v44, 29, v44
	v_lshlrev_b32_e32 v43, v45, v43
	v_bfe_u32 v45, v49, 19, 4
	s_delay_alu instid0(VALU_DEP_1) | instskip(NEXT) | instid1(VALU_DEP_3)
	v_cmp_eq_u32_e32 vcc_lo, 0, v45
	v_dual_cndmask_b32 v44, v45, v44 :: v_dual_and_b32 v43, 7, v43
	s_delay_alu instid0(VALU_DEP_1) | instskip(NEXT) | instid1(VALU_DEP_2)
	v_dual_cndmask_b32 v42, v42, v43 :: v_dual_and_b32 v43, 0x80000000, v46
	v_lshl_add_u32 v44, v44, 23, 0x3b800000
	s_delay_alu instid0(VALU_DEP_2) | instskip(NEXT) | instid1(VALU_DEP_1)
	v_lshlrev_b32_e32 v42, 20, v42
	v_or3_b32 v42, v43, v44, v42
.LBB6_6212:                             ;   in Loop: Header=BB6_6112 Depth=3
	s_or_b32 exec_lo, exec_lo, s16
	v_lshrrev_b32_e32 v43, 16, v37
	s_mov_b32 s13, 0
	s_mov_b32 s17, exec_lo
                                        ; implicit-def: $sgpr16
	s_delay_alu instid0(VALU_DEP_1) | instskip(NEXT) | instid1(VALU_DEP_1)
	v_and_b32_e32 v45, 0xff, v43
	v_cmpx_lt_i16_e32 0x7f, v45
	s_xor_b32 s17, exec_lo, s17
	s_cbranch_execnz .LBB6_7186
; %bb.6213:                             ;   in Loop: Header=BB6_6112 Depth=3
	s_or_saveexec_b32 s17, s17
	v_mov_b32_e32 v44, s16
	s_xor_b32 exec_lo, exec_lo, s17
	s_cbranch_execnz .LBB6_7189
.LBB6_6214:                             ;   in Loop: Header=BB6_6112 Depth=3
	s_or_b32 exec_lo, exec_lo, s17
	s_and_saveexec_b32 s16, s13
	s_cbranch_execz .LBB6_6216
.LBB6_6215:                             ;   in Loop: Header=BB6_6112 Depth=3
	v_bfe_u32 v44, v37, 16, 3
	v_lshlrev_b32_e32 v47, 8, v37
	s_delay_alu instid0(VALU_DEP_2) | instskip(NEXT) | instid1(VALU_DEP_1)
	v_clz_i32_u32_e32 v45, v44
	v_min_u32_e32 v45, 32, v45
	s_delay_alu instid0(VALU_DEP_1) | instskip(SKIP_1) | instid1(VALU_DEP_2)
	v_subrev_nc_u32_e32 v46, 28, v45
	v_sub_nc_u32_e32 v45, 29, v45
	v_lshlrev_b32_e32 v43, v46, v43
	v_bfe_u32 v46, v37, 19, 4
	s_delay_alu instid0(VALU_DEP_2) | instskip(NEXT) | instid1(VALU_DEP_2)
	v_and_b32_e32 v43, 7, v43
	v_cmp_eq_u32_e32 vcc_lo, 0, v46
	v_cndmask_b32_e32 v45, v46, v45, vcc_lo
	s_delay_alu instid0(VALU_DEP_3) | instskip(SKIP_1) | instid1(VALU_DEP_3)
	v_cndmask_b32_e32 v43, v44, v43, vcc_lo
	v_and_b32_e32 v44, 0x80000000, v47
	v_lshl_add_u32 v45, v45, 23, 0x3b800000
	s_delay_alu instid0(VALU_DEP_3) | instskip(NEXT) | instid1(VALU_DEP_1)
	v_lshlrev_b32_e32 v43, 20, v43
	v_or3_b32 v44, v44, v45, v43
.LBB6_6216:                             ;   in Loop: Header=BB6_6112 Depth=3
	s_or_b32 exec_lo, exec_lo, s16
	s_delay_alu instid0(VALU_DEP_1) | instskip(NEXT) | instid1(VALU_DEP_1)
	v_add_f32_e32 v43, v42, v44
	v_and_b32_e32 v42, 0x7f800000, v43
	s_delay_alu instid0(VALU_DEP_1)
	v_cmp_ne_u32_e32 vcc_lo, 0x7f800000, v42
	v_mov_b32_e32 v42, 0x80
	s_and_saveexec_b32 s16, vcc_lo
	s_cbranch_execz .LBB6_6224
; %bb.6217:                             ;   in Loop: Header=BB6_6112 Depth=3
	v_mov_b32_e32 v42, 0
	s_mov_b32 s17, exec_lo
	v_cmpx_ne_u32_e32 0, v43
	s_cbranch_execz .LBB6_6223
; %bb.6218:                             ;   in Loop: Header=BB6_6112 Depth=3
	v_bfe_u32 v42, v43, 23, 8
	s_delay_alu instid0(VALU_DEP_1) | instskip(SKIP_1) | instid1(VALU_DEP_2)
	v_sub_nc_u32_e32 v45, 0x78, v42
	v_cmp_gt_u32_e32 vcc_lo, 0x79, v42
	v_dual_cndmask_b32 v45, 0, v45 :: v_dual_and_b32 v44, 0x7fffff, v43
	s_delay_alu instid0(VALU_DEP_1) | instskip(SKIP_2) | instid1(VALU_DEP_4)
	v_or_b32_e32 v46, 0x800000, v44
	v_cmp_eq_u32_e32 vcc_lo, 0, v42
	v_add_nc_u32_e32 v42, 0xffffff89, v42
	v_cndmask_b32_e64 v45, v45, 0x77, vcc_lo
	s_delay_alu instid0(VALU_DEP_2) | instskip(SKIP_1) | instid1(VALU_DEP_3)
	v_cndmask_b32_e64 v42, v42, 0xffffff8a, vcc_lo
	v_cndmask_b32_e32 v44, v46, v44, vcc_lo
	v_lshl_add_u32 v46, 0x100000, v45, -1
	v_lshlrev_b32_e64 v57, v45, 0x80000
	s_delay_alu instid0(VALU_DEP_3) | instskip(SKIP_1) | instid1(VALU_DEP_4)
	v_lshrrev_b32_e32 v47, v45, v44
	v_add_nc_u32_e32 v45, v45, v42
	v_and_b32_e32 v44, v46, v44
	s_delay_alu instid0(VALU_DEP_3) | instskip(NEXT) | instid1(VALU_DEP_2)
	v_bfe_u32 v56, v47, 20, 1
	v_cmp_eq_u32_e64 s13, v44, v57
	s_delay_alu instid0(VALU_DEP_2) | instskip(NEXT) | instid1(VALU_DEP_1)
	v_add_nc_u32_e32 v46, -1, v56
	v_cndmask_b32_e64 v44, 0, v46, s13
	v_lshrrev_b32_e32 v46, 23, v47
	s_mov_b32 s13, exec_lo
	s_delay_alu instid0(VALU_DEP_2) | instskip(NEXT) | instid1(VALU_DEP_2)
	v_add_nc_u32_e32 v44, v44, v47
	v_xor_b32_e32 v46, 1, v46
	s_delay_alu instid0(VALU_DEP_2) | instskip(NEXT) | instid1(VALU_DEP_1)
	v_and_b32_e32 v42, 0xfffff, v44
	v_add_nc_u32_e32 v44, v42, v47
                                        ; implicit-def: $vgpr42
	s_delay_alu instid0(VALU_DEP_3)
	v_cmpx_ne_u32_e64 v45, v46
	s_xor_b32 s13, exec_lo, s13
; %bb.6219:                             ;   in Loop: Header=BB6_6112 Depth=3
	s_delay_alu instid0(VALU_DEP_2) | instskip(SKIP_2) | instid1(VALU_DEP_2)
	v_cmp_lt_u32_e32 vcc_lo, 0xffffff, v44
	v_sub_nc_u32_e32 v42, v45, v46
	v_cndmask_b32_e64 v45, 0, 1, vcc_lo
	v_add_co_ci_u32_e32 v42, vcc_lo, 0, v42, vcc_lo
	s_delay_alu instid0(VALU_DEP_2)
	v_lshrrev_b32_e32 v44, v45, v44
; %bb.6220:                             ;   in Loop: Header=BB6_6112 Depth=3
	s_and_not1_saveexec_b32 s13, s13
; %bb.6221:                             ;   in Loop: Header=BB6_6112 Depth=3
	s_delay_alu instid0(VALU_DEP_1)
	v_bfe_u32 v42, v44, 23, 1
; %bb.6222:                             ;   in Loop: Header=BB6_6112 Depth=3
	s_or_b32 exec_lo, exec_lo, s13
	v_lshrrev_b32_e32 v44, 20, v44
	s_delay_alu instid0(VALU_DEP_2) | instskip(SKIP_2) | instid1(VALU_DEP_2)
	v_cmp_gt_i32_e32 vcc_lo, 16, v42
	v_min_i32_e32 v45, 15, v42
	v_lshrrev_b32_e32 v43, 24, v43
	v_dual_cndmask_b32 v44, 7, v44 :: v_dual_lshlrev_b32 v45, 3, v45
	s_delay_alu instid0(VALU_DEP_2) | instskip(NEXT) | instid1(VALU_DEP_2)
	v_and_b32_e32 v43, 0x80, v43
	v_or_b32_e32 v42, v42, v44
	v_and_b32_e32 v46, 7, v44
	s_delay_alu instid0(VALU_DEP_2) | instskip(SKIP_1) | instid1(VALU_DEP_1)
	v_cmp_ne_u32_e32 vcc_lo, 0, v42
	v_and_b32_e32 v45, 0xf8, v45
	v_or3_b32 v43, v45, v43, v46
	s_delay_alu instid0(VALU_DEP_1)
	v_cndmask_b32_e32 v42, 0, v43, vcc_lo
.LBB6_6223:                             ;   in Loop: Header=BB6_6112 Depth=3
	s_or_b32 exec_lo, exec_lo, s17
.LBB6_6224:                             ;   in Loop: Header=BB6_6112 Depth=3
	s_delay_alu instid0(SALU_CYCLE_1) | instskip(SKIP_3) | instid1(VALU_DEP_1)
	s_or_b32 exec_lo, exec_lo, s16
	v_lshrrev_b32_e32 v44, 24, v49
	s_mov_b32 s13, 0
	s_mov_b32 s17, exec_lo
                                        ; implicit-def: $sgpr16
	v_cmpx_lt_i16_e32 0x7f, v44
	s_xor_b32 s17, exec_lo, s17
	s_cbranch_execnz .LBB6_7190
; %bb.6225:                             ;   in Loop: Header=BB6_6112 Depth=3
	s_or_saveexec_b32 s17, s17
	v_mov_b32_e32 v43, s16
	s_xor_b32 exec_lo, exec_lo, s17
	s_cbranch_execnz .LBB6_7193
.LBB6_6226:                             ;   in Loop: Header=BB6_6112 Depth=3
	s_or_b32 exec_lo, exec_lo, s17
	s_and_saveexec_b32 s16, s13
	s_cbranch_execz .LBB6_6228
.LBB6_6227:                             ;   in Loop: Header=BB6_6112 Depth=3
	v_bfe_u32 v43, v49, 24, 3
	s_delay_alu instid0(VALU_DEP_1) | instskip(NEXT) | instid1(VALU_DEP_1)
	v_clz_i32_u32_e32 v45, v43
	v_min_u32_e32 v45, 32, v45
	s_delay_alu instid0(VALU_DEP_1) | instskip(SKIP_1) | instid1(VALU_DEP_2)
	v_subrev_nc_u32_e32 v46, 28, v45
	v_sub_nc_u32_e32 v45, 29, v45
	v_lshlrev_b32_e32 v44, v46, v44
	v_bfe_u32 v46, v49, 27, 4
	v_and_b32_e32 v49, 0x80000000, v49
	s_delay_alu instid0(VALU_DEP_2) | instskip(NEXT) | instid1(VALU_DEP_4)
	v_cmp_eq_u32_e32 vcc_lo, 0, v46
	v_dual_cndmask_b32 v45, v46, v45 :: v_dual_and_b32 v44, 7, v44
	s_delay_alu instid0(VALU_DEP_1) | instskip(NEXT) | instid1(VALU_DEP_2)
	v_cndmask_b32_e32 v43, v43, v44, vcc_lo
	v_lshl_add_u32 v44, v45, 23, 0x3b800000
	s_delay_alu instid0(VALU_DEP_2) | instskip(NEXT) | instid1(VALU_DEP_1)
	v_lshlrev_b32_e32 v43, 20, v43
	v_or3_b32 v43, v49, v44, v43
.LBB6_6228:                             ;   in Loop: Header=BB6_6112 Depth=3
	s_or_b32 exec_lo, exec_lo, s16
	v_lshrrev_b32_e32 v49, 24, v37
	s_mov_b32 s13, 0
	s_mov_b32 s17, exec_lo
                                        ; implicit-def: $sgpr16
	s_delay_alu instid0(VALU_DEP_1)
	v_cmpx_lt_i16_e32 0x7f, v49
	s_xor_b32 s17, exec_lo, s17
	s_cbranch_execnz .LBB6_7194
; %bb.6229:                             ;   in Loop: Header=BB6_6112 Depth=3
	s_or_saveexec_b32 s17, s17
	v_mov_b32_e32 v44, s16
	s_xor_b32 exec_lo, exec_lo, s17
	s_cbranch_execnz .LBB6_7197
.LBB6_6230:                             ;   in Loop: Header=BB6_6112 Depth=3
	s_or_b32 exec_lo, exec_lo, s17
	s_and_saveexec_b32 s16, s13
	s_cbranch_execz .LBB6_6232
.LBB6_6231:                             ;   in Loop: Header=BB6_6112 Depth=3
	v_bfe_u32 v44, v37, 24, 3
	s_delay_alu instid0(VALU_DEP_1) | instskip(NEXT) | instid1(VALU_DEP_1)
	v_clz_i32_u32_e32 v45, v44
	v_min_u32_e32 v45, 32, v45
	s_delay_alu instid0(VALU_DEP_1) | instskip(SKIP_1) | instid1(VALU_DEP_2)
	v_subrev_nc_u32_e32 v46, 28, v45
	v_sub_nc_u32_e32 v45, 29, v45
	v_lshlrev_b32_e32 v49, v46, v49
	v_bfe_u32 v46, v37, 27, 4
	v_and_b32_e32 v37, 0x80000000, v37
	s_delay_alu instid0(VALU_DEP_3) | instskip(NEXT) | instid1(VALU_DEP_3)
	v_and_b32_e32 v49, 7, v49
	v_cmp_eq_u32_e32 vcc_lo, 0, v46
	v_cndmask_b32_e32 v45, v46, v45, vcc_lo
	s_delay_alu instid0(VALU_DEP_3) | instskip(NEXT) | instid1(VALU_DEP_2)
	v_cndmask_b32_e32 v49, v44, v49, vcc_lo
	v_lshl_add_u32 v44, v45, 23, 0x3b800000
	s_delay_alu instid0(VALU_DEP_2) | instskip(NEXT) | instid1(VALU_DEP_1)
	v_lshlrev_b32_e32 v49, 20, v49
	v_or3_b32 v44, v37, v44, v49
.LBB6_6232:                             ;   in Loop: Header=BB6_6112 Depth=3
	s_or_b32 exec_lo, exec_lo, s16
	s_delay_alu instid0(VALU_DEP_1) | instskip(NEXT) | instid1(VALU_DEP_1)
	v_add_f32_e32 v49, v43, v44
	v_and_b32_e32 v37, 0x7f800000, v49
	s_delay_alu instid0(VALU_DEP_1)
	v_cmp_ne_u32_e32 vcc_lo, 0x7f800000, v37
	v_mov_b32_e32 v37, 0x8000
	s_and_saveexec_b32 s16, vcc_lo
	s_cbranch_execz .LBB6_6240
; %bb.6233:                             ;   in Loop: Header=BB6_6112 Depth=3
	v_mov_b32_e32 v37, 0
	s_mov_b32 s17, exec_lo
	v_cmpx_ne_u32_e32 0, v49
	s_cbranch_execz .LBB6_6239
; %bb.6234:                             ;   in Loop: Header=BB6_6112 Depth=3
	v_bfe_u32 v37, v49, 23, 8
	s_delay_alu instid0(VALU_DEP_1) | instskip(SKIP_1) | instid1(VALU_DEP_2)
	v_sub_nc_u32_e32 v44, 0x78, v37
	v_cmp_gt_u32_e32 vcc_lo, 0x79, v37
	v_dual_cndmask_b32 v44, 0, v44 :: v_dual_and_b32 v43, 0x7fffff, v49
	s_delay_alu instid0(VALU_DEP_1) | instskip(SKIP_2) | instid1(VALU_DEP_4)
	v_or_b32_e32 v45, 0x800000, v43
	v_cmp_eq_u32_e32 vcc_lo, 0, v37
	v_add_nc_u32_e32 v37, 0xffffff89, v37
	v_cndmask_b32_e64 v44, v44, 0x77, vcc_lo
	s_delay_alu instid0(VALU_DEP_2) | instskip(SKIP_1) | instid1(VALU_DEP_3)
	v_cndmask_b32_e64 v37, v37, 0xffffff8a, vcc_lo
	v_cndmask_b32_e32 v43, v45, v43, vcc_lo
	v_lshl_add_u32 v45, 0x100000, v44, -1
	v_lshlrev_b32_e64 v56, v44, 0x80000
	s_delay_alu instid0(VALU_DEP_3) | instskip(SKIP_1) | instid1(VALU_DEP_4)
	v_lshrrev_b32_e32 v46, v44, v43
	v_add_nc_u32_e32 v44, v44, v37
	v_and_b32_e32 v43, v45, v43
	s_delay_alu instid0(VALU_DEP_3) | instskip(NEXT) | instid1(VALU_DEP_2)
	v_bfe_u32 v47, v46, 20, 1
	v_cmp_eq_u32_e64 s13, v43, v56
	s_delay_alu instid0(VALU_DEP_2) | instskip(NEXT) | instid1(VALU_DEP_1)
	v_add_nc_u32_e32 v45, -1, v47
	v_cndmask_b32_e64 v43, 0, v45, s13
	v_lshrrev_b32_e32 v45, 23, v46
	s_mov_b32 s13, exec_lo
	s_delay_alu instid0(VALU_DEP_2) | instskip(NEXT) | instid1(VALU_DEP_2)
	v_add_nc_u32_e32 v43, v43, v46
	v_xor_b32_e32 v45, 1, v45
	s_delay_alu instid0(VALU_DEP_2) | instskip(NEXT) | instid1(VALU_DEP_1)
	v_and_b32_e32 v37, 0xfffff, v43
	v_add_nc_u32_e32 v43, v37, v46
                                        ; implicit-def: $vgpr37
	s_delay_alu instid0(VALU_DEP_3)
	v_cmpx_ne_u32_e64 v44, v45
	s_xor_b32 s13, exec_lo, s13
; %bb.6235:                             ;   in Loop: Header=BB6_6112 Depth=3
	s_delay_alu instid0(VALU_DEP_2) | instskip(SKIP_2) | instid1(VALU_DEP_2)
	v_cmp_lt_u32_e32 vcc_lo, 0xffffff, v43
	v_sub_nc_u32_e32 v37, v44, v45
	v_cndmask_b32_e64 v44, 0, 1, vcc_lo
	v_add_co_ci_u32_e32 v37, vcc_lo, 0, v37, vcc_lo
	s_delay_alu instid0(VALU_DEP_2)
	v_lshrrev_b32_e32 v43, v44, v43
; %bb.6236:                             ;   in Loop: Header=BB6_6112 Depth=3
	s_and_not1_saveexec_b32 s13, s13
; %bb.6237:                             ;   in Loop: Header=BB6_6112 Depth=3
	s_delay_alu instid0(VALU_DEP_1)
	v_bfe_u32 v37, v43, 23, 1
; %bb.6238:                             ;   in Loop: Header=BB6_6112 Depth=3
	s_or_b32 exec_lo, exec_lo, s13
	v_lshrrev_b32_e32 v43, 20, v43
	s_delay_alu instid0(VALU_DEP_2) | instskip(SKIP_2) | instid1(VALU_DEP_2)
	v_cmp_gt_i32_e32 vcc_lo, 16, v37
	v_min_i32_e32 v44, 15, v37
	v_lshrrev_b32_e32 v49, 24, v49
	v_dual_cndmask_b32 v43, 7, v43 :: v_dual_lshlrev_b32 v44, 3, v44
	s_delay_alu instid0(VALU_DEP_2) | instskip(NEXT) | instid1(VALU_DEP_2)
	v_and_b32_e32 v49, 0x80, v49
	v_or_b32_e32 v37, v37, v43
	v_and_b32_e32 v45, 7, v43
	s_delay_alu instid0(VALU_DEP_2) | instskip(SKIP_1) | instid1(VALU_DEP_1)
	v_cmp_ne_u32_e32 vcc_lo, 0, v37
	v_and_b32_e32 v44, 0xf8, v44
	v_or3_b32 v49, v49, v44, v45
	s_delay_alu instid0(VALU_DEP_1) | instskip(NEXT) | instid1(VALU_DEP_1)
	v_lshlrev_b32_e32 v49, 8, v49
	v_cndmask_b32_e32 v37, 0, v49, vcc_lo
.LBB6_6239:                             ;   in Loop: Header=BB6_6112 Depth=3
	s_or_b32 exec_lo, exec_lo, s17
.LBB6_6240:                             ;   in Loop: Header=BB6_6112 Depth=3
	s_delay_alu instid0(SALU_CYCLE_1) | instskip(SKIP_3) | instid1(VALU_DEP_1)
	s_or_b32 exec_lo, exec_lo, s16
	v_and_b32_e32 v43, 0xff, v50
	s_mov_b32 s13, 0
	s_mov_b32 s17, exec_lo
                                        ; implicit-def: $sgpr16
	v_cmpx_lt_i16_e32 0x7f, v43
	s_xor_b32 s17, exec_lo, s17
	s_cbranch_execnz .LBB6_7198
; %bb.6241:                             ;   in Loop: Header=BB6_6112 Depth=3
	s_or_saveexec_b32 s17, s17
	v_mov_b32_e32 v49, s16
	s_xor_b32 exec_lo, exec_lo, s17
	s_cbranch_execnz .LBB6_7201
.LBB6_6242:                             ;   in Loop: Header=BB6_6112 Depth=3
	s_or_b32 exec_lo, exec_lo, s17
	s_and_saveexec_b32 s16, s13
	s_cbranch_execz .LBB6_6244
.LBB6_6243:                             ;   in Loop: Header=BB6_6112 Depth=3
	v_and_b32_e32 v49, 7, v50
	v_bfe_u32 v45, v50, 3, 4
	s_delay_alu instid0(VALU_DEP_2) | instskip(NEXT) | instid1(VALU_DEP_2)
	v_clz_i32_u32_e32 v43, v49
	v_cmp_eq_u32_e32 vcc_lo, 0, v45
	s_delay_alu instid0(VALU_DEP_2) | instskip(NEXT) | instid1(VALU_DEP_1)
	v_min_u32_e32 v43, 32, v43
	v_subrev_nc_u32_e32 v44, 28, v43
	v_sub_nc_u32_e32 v43, 29, v43
	s_delay_alu instid0(VALU_DEP_1) | instskip(NEXT) | instid1(VALU_DEP_1)
	v_dual_cndmask_b32 v43, v45, v43 :: v_dual_lshlrev_b32 v44, v44, v50
	v_and_b32_e32 v44, 7, v44
	v_lshlrev_b32_e32 v46, 24, v50
	s_delay_alu instid0(VALU_DEP_3) | instskip(NEXT) | instid1(VALU_DEP_2)
	v_lshl_add_u32 v43, v43, 23, 0x3b800000
	v_dual_cndmask_b32 v49, v49, v44 :: v_dual_and_b32 v44, 0x80000000, v46
	s_delay_alu instid0(VALU_DEP_1) | instskip(NEXT) | instid1(VALU_DEP_1)
	v_lshlrev_b32_e32 v49, 20, v49
	v_or3_b32 v49, v44, v43, v49
.LBB6_6244:                             ;   in Loop: Header=BB6_6112 Depth=3
	s_or_b32 exec_lo, exec_lo, s16
	v_and_b32_e32 v44, 0xff, v38
	s_mov_b32 s13, 0
	s_mov_b32 s17, exec_lo
                                        ; implicit-def: $sgpr16
	s_delay_alu instid0(VALU_DEP_1)
	v_cmpx_lt_i16_e32 0x7f, v44
	s_xor_b32 s17, exec_lo, s17
	s_cbranch_execnz .LBB6_7202
; %bb.6245:                             ;   in Loop: Header=BB6_6112 Depth=3
	s_or_saveexec_b32 s17, s17
	v_mov_b32_e32 v43, s16
	s_xor_b32 exec_lo, exec_lo, s17
	s_cbranch_execnz .LBB6_7205
.LBB6_6246:                             ;   in Loop: Header=BB6_6112 Depth=3
	s_or_b32 exec_lo, exec_lo, s17
	s_and_saveexec_b32 s16, s13
	s_cbranch_execz .LBB6_6248
.LBB6_6247:                             ;   in Loop: Header=BB6_6112 Depth=3
	v_bfe_u32 v46, v38, 3, 4
	v_lshlrev_b32_e32 v47, 24, v38
	s_delay_alu instid0(VALU_DEP_2) | instskip(SKIP_1) | instid1(VALU_DEP_1)
	v_cmp_eq_u32_e32 vcc_lo, 0, v46
	v_and_b32_e32 v43, 7, v38
	v_clz_i32_u32_e32 v44, v43
	s_delay_alu instid0(VALU_DEP_1) | instskip(NEXT) | instid1(VALU_DEP_1)
	v_min_u32_e32 v44, 32, v44
	v_subrev_nc_u32_e32 v45, 28, v44
	v_sub_nc_u32_e32 v44, 29, v44
	s_delay_alu instid0(VALU_DEP_1) | instskip(NEXT) | instid1(VALU_DEP_1)
	v_dual_cndmask_b32 v44, v46, v44 :: v_dual_lshlrev_b32 v45, v45, v38
	v_and_b32_e32 v45, 7, v45
	s_delay_alu instid0(VALU_DEP_2) | instskip(NEXT) | instid1(VALU_DEP_2)
	v_lshl_add_u32 v44, v44, 23, 0x3b800000
	v_cndmask_b32_e32 v43, v43, v45, vcc_lo
	v_and_b32_e32 v45, 0x80000000, v47
	s_delay_alu instid0(VALU_DEP_2) | instskip(NEXT) | instid1(VALU_DEP_1)
	v_lshlrev_b32_e32 v43, 20, v43
	v_or3_b32 v43, v45, v44, v43
.LBB6_6248:                             ;   in Loop: Header=BB6_6112 Depth=3
	s_or_b32 exec_lo, exec_lo, s16
	s_delay_alu instid0(VALU_DEP_1) | instskip(NEXT) | instid1(VALU_DEP_1)
	v_add_f32_e32 v43, v49, v43
	v_and_b32_e32 v49, 0x7f800000, v43
	s_delay_alu instid0(VALU_DEP_1)
	v_cmp_ne_u32_e32 vcc_lo, 0x7f800000, v49
	v_mov_b32_e32 v49, 0x80
	s_and_saveexec_b32 s16, vcc_lo
	s_cbranch_execz .LBB6_6256
; %bb.6249:                             ;   in Loop: Header=BB6_6112 Depth=3
	v_mov_b32_e32 v49, 0
	s_mov_b32 s17, exec_lo
	v_cmpx_ne_u32_e32 0, v43
	s_cbranch_execz .LBB6_6255
; %bb.6250:                             ;   in Loop: Header=BB6_6112 Depth=3
	v_bfe_u32 v49, v43, 23, 8
	s_delay_alu instid0(VALU_DEP_1) | instskip(SKIP_1) | instid1(VALU_DEP_2)
	v_sub_nc_u32_e32 v45, 0x78, v49
	v_cmp_gt_u32_e32 vcc_lo, 0x79, v49
	v_dual_cndmask_b32 v45, 0, v45 :: v_dual_and_b32 v44, 0x7fffff, v43
	s_delay_alu instid0(VALU_DEP_1) | instskip(SKIP_2) | instid1(VALU_DEP_4)
	v_or_b32_e32 v46, 0x800000, v44
	v_cmp_eq_u32_e32 vcc_lo, 0, v49
	v_add_nc_u32_e32 v49, 0xffffff89, v49
	v_cndmask_b32_e64 v45, v45, 0x77, vcc_lo
	s_delay_alu instid0(VALU_DEP_4) | instskip(NEXT) | instid1(VALU_DEP_3)
	v_cndmask_b32_e32 v44, v46, v44, vcc_lo
	v_cndmask_b32_e64 v49, v49, 0xffffff8a, vcc_lo
	s_delay_alu instid0(VALU_DEP_3) | instskip(NEXT) | instid1(VALU_DEP_3)
	v_lshl_add_u32 v46, 0x100000, v45, -1
	v_lshrrev_b32_e32 v47, v45, v44
	v_lshlrev_b32_e64 v57, v45, 0x80000
	s_delay_alu instid0(VALU_DEP_4) | instskip(NEXT) | instid1(VALU_DEP_4)
	v_add_nc_u32_e32 v45, v45, v49
	v_and_b32_e32 v44, v46, v44
	s_delay_alu instid0(VALU_DEP_4) | instskip(NEXT) | instid1(VALU_DEP_2)
	v_bfe_u32 v56, v47, 20, 1
	v_cmp_eq_u32_e64 s13, v44, v57
	s_delay_alu instid0(VALU_DEP_2) | instskip(NEXT) | instid1(VALU_DEP_1)
	v_add_nc_u32_e32 v46, -1, v56
	v_cndmask_b32_e64 v44, 0, v46, s13
	v_lshrrev_b32_e32 v46, 23, v47
	s_mov_b32 s13, exec_lo
	s_delay_alu instid0(VALU_DEP_2) | instskip(NEXT) | instid1(VALU_DEP_2)
	v_add_nc_u32_e32 v44, v44, v47
	v_xor_b32_e32 v46, 1, v46
	s_delay_alu instid0(VALU_DEP_2) | instskip(NEXT) | instid1(VALU_DEP_1)
	v_and_b32_e32 v49, 0xfffff, v44
	v_add_nc_u32_e32 v44, v49, v47
                                        ; implicit-def: $vgpr49
	s_delay_alu instid0(VALU_DEP_3)
	v_cmpx_ne_u32_e64 v45, v46
	s_xor_b32 s13, exec_lo, s13
; %bb.6251:                             ;   in Loop: Header=BB6_6112 Depth=3
	s_delay_alu instid0(VALU_DEP_2) | instskip(SKIP_2) | instid1(VALU_DEP_2)
	v_cmp_lt_u32_e32 vcc_lo, 0xffffff, v44
	v_sub_nc_u32_e32 v49, v45, v46
	v_cndmask_b32_e64 v45, 0, 1, vcc_lo
	v_add_co_ci_u32_e32 v49, vcc_lo, 0, v49, vcc_lo
	s_delay_alu instid0(VALU_DEP_2)
	v_lshrrev_b32_e32 v44, v45, v44
; %bb.6252:                             ;   in Loop: Header=BB6_6112 Depth=3
	s_and_not1_saveexec_b32 s13, s13
; %bb.6253:                             ;   in Loop: Header=BB6_6112 Depth=3
	s_delay_alu instid0(VALU_DEP_1)
	v_bfe_u32 v49, v44, 23, 1
; %bb.6254:                             ;   in Loop: Header=BB6_6112 Depth=3
	s_or_b32 exec_lo, exec_lo, s13
	v_lshrrev_b32_e32 v44, 20, v44
	s_delay_alu instid0(VALU_DEP_2) | instskip(SKIP_2) | instid1(VALU_DEP_2)
	v_cmp_gt_i32_e32 vcc_lo, 16, v49
	v_lshrrev_b32_e32 v43, 24, v43
	v_min_i32_e32 v45, 15, v49
	v_dual_cndmask_b32 v44, 7, v44 :: v_dual_and_b32 v43, 0x80, v43
	s_delay_alu instid0(VALU_DEP_2) | instskip(NEXT) | instid1(VALU_DEP_2)
	v_lshlrev_b32_e32 v45, 3, v45
	v_or_b32_e32 v49, v49, v44
	s_delay_alu instid0(VALU_DEP_1) | instskip(SKIP_1) | instid1(VALU_DEP_1)
	v_cmp_ne_u32_e32 vcc_lo, 0, v49
	v_and_b32_e32 v46, 7, v44
	v_or3_b32 v43, v45, v43, v46
	s_delay_alu instid0(VALU_DEP_1)
	v_cndmask_b32_e32 v49, 0, v43, vcc_lo
.LBB6_6255:                             ;   in Loop: Header=BB6_6112 Depth=3
	s_or_b32 exec_lo, exec_lo, s17
.LBB6_6256:                             ;   in Loop: Header=BB6_6112 Depth=3
	s_delay_alu instid0(SALU_CYCLE_1) | instskip(SKIP_3) | instid1(VALU_DEP_1)
	s_or_b32 exec_lo, exec_lo, s16
	v_lshrrev_b16 v44, 8, v50
	s_mov_b32 s13, 0
	s_mov_b32 s17, exec_lo
                                        ; implicit-def: $sgpr16
	v_cmpx_lt_i16_e32 0x7f, v44
	s_xor_b32 s17, exec_lo, s17
	s_cbranch_execnz .LBB6_7206
; %bb.6257:                             ;   in Loop: Header=BB6_6112 Depth=3
	s_or_saveexec_b32 s17, s17
	v_mov_b32_e32 v43, s16
	s_xor_b32 exec_lo, exec_lo, s17
	s_cbranch_execnz .LBB6_7209
.LBB6_6258:                             ;   in Loop: Header=BB6_6112 Depth=3
	s_or_b32 exec_lo, exec_lo, s17
	s_and_saveexec_b32 s16, s13
	s_cbranch_execz .LBB6_6260
.LBB6_6259:                             ;   in Loop: Header=BB6_6112 Depth=3
	v_and_b32_e32 v43, 0xffff, v44
	s_delay_alu instid0(VALU_DEP_1) | instskip(NEXT) | instid1(VALU_DEP_1)
	v_and_b32_e32 v45, 7, v43
	v_clz_i32_u32_e32 v46, v45
	s_delay_alu instid0(VALU_DEP_1) | instskip(NEXT) | instid1(VALU_DEP_1)
	v_min_u32_e32 v46, 32, v46
	v_subrev_nc_u32_e32 v47, 28, v46
	v_sub_nc_u32_e32 v46, 29, v46
	s_delay_alu instid0(VALU_DEP_2) | instskip(SKIP_1) | instid1(VALU_DEP_2)
	v_lshlrev_b32_e32 v47, v47, v43
	v_bfe_u32 v43, v43, 3, 4
	v_and_b32_e32 v47, 7, v47
	s_delay_alu instid0(VALU_DEP_2) | instskip(SKIP_1) | instid1(VALU_DEP_1)
	v_cmp_eq_u32_e32 vcc_lo, 0, v43
	v_dual_cndmask_b32 v43, v43, v46 :: v_dual_lshlrev_b32 v44, 24, v44
	v_dual_cndmask_b32 v45, v45, v47 :: v_dual_and_b32 v44, 0x80000000, v44
	s_delay_alu instid0(VALU_DEP_2) | instskip(NEXT) | instid1(VALU_DEP_2)
	v_lshl_add_u32 v43, v43, 23, 0x3b800000
	v_lshlrev_b32_e32 v45, 20, v45
	s_delay_alu instid0(VALU_DEP_1)
	v_or3_b32 v43, v44, v43, v45
.LBB6_6260:                             ;   in Loop: Header=BB6_6112 Depth=3
	s_or_b32 exec_lo, exec_lo, s16
	v_lshrrev_b16 v44, 8, v38
	s_mov_b32 s13, 0
	s_mov_b32 s17, exec_lo
                                        ; implicit-def: $sgpr16
	s_delay_alu instid0(VALU_DEP_1)
	v_cmpx_lt_i16_e32 0x7f, v44
	s_xor_b32 s17, exec_lo, s17
	s_cbranch_execnz .LBB6_7210
; %bb.6261:                             ;   in Loop: Header=BB6_6112 Depth=3
	s_or_saveexec_b32 s17, s17
	v_mov_b32_e32 v45, s16
	s_xor_b32 exec_lo, exec_lo, s17
	s_cbranch_execnz .LBB6_7213
.LBB6_6262:                             ;   in Loop: Header=BB6_6112 Depth=3
	s_or_b32 exec_lo, exec_lo, s17
	s_and_saveexec_b32 s16, s13
	s_cbranch_execz .LBB6_6264
.LBB6_6263:                             ;   in Loop: Header=BB6_6112 Depth=3
	v_and_b32_e32 v45, 0xffff, v44
	v_lshlrev_b32_e32 v44, 24, v44
	s_delay_alu instid0(VALU_DEP_2) | instskip(NEXT) | instid1(VALU_DEP_2)
	v_and_b32_e32 v46, 7, v45
	v_and_b32_e32 v44, 0x80000000, v44
	s_delay_alu instid0(VALU_DEP_2) | instskip(NEXT) | instid1(VALU_DEP_1)
	v_clz_i32_u32_e32 v47, v46
	v_min_u32_e32 v47, 32, v47
	s_delay_alu instid0(VALU_DEP_1) | instskip(SKIP_1) | instid1(VALU_DEP_2)
	v_subrev_nc_u32_e32 v56, 28, v47
	v_sub_nc_u32_e32 v47, 29, v47
	v_lshlrev_b32_e32 v56, v56, v45
	v_bfe_u32 v45, v45, 3, 4
	s_delay_alu instid0(VALU_DEP_2) | instskip(NEXT) | instid1(VALU_DEP_2)
	v_and_b32_e32 v56, 7, v56
	v_cmp_eq_u32_e32 vcc_lo, 0, v45
	s_delay_alu instid0(VALU_DEP_2) | instskip(NEXT) | instid1(VALU_DEP_1)
	v_dual_cndmask_b32 v45, v45, v47 :: v_dual_cndmask_b32 v46, v46, v56
	v_lshl_add_u32 v45, v45, 23, 0x3b800000
	s_delay_alu instid0(VALU_DEP_2) | instskip(NEXT) | instid1(VALU_DEP_1)
	v_lshlrev_b32_e32 v46, 20, v46
	v_or3_b32 v45, v44, v45, v46
.LBB6_6264:                             ;   in Loop: Header=BB6_6112 Depth=3
	s_or_b32 exec_lo, exec_lo, s16
	s_delay_alu instid0(VALU_DEP_1) | instskip(NEXT) | instid1(VALU_DEP_1)
	v_add_f32_e32 v44, v43, v45
	v_and_b32_e32 v43, 0x7f800000, v44
	s_delay_alu instid0(VALU_DEP_1)
	v_cmp_ne_u32_e32 vcc_lo, 0x7f800000, v43
	v_mov_b32_e32 v43, 0x80
	s_and_saveexec_b32 s16, vcc_lo
	s_cbranch_execz .LBB6_6272
; %bb.6265:                             ;   in Loop: Header=BB6_6112 Depth=3
	v_mov_b32_e32 v43, 0
	s_mov_b32 s17, exec_lo
	v_cmpx_ne_u32_e32 0, v44
	s_cbranch_execz .LBB6_6271
; %bb.6266:                             ;   in Loop: Header=BB6_6112 Depth=3
	v_bfe_u32 v43, v44, 23, 8
	s_delay_alu instid0(VALU_DEP_1) | instskip(SKIP_1) | instid1(VALU_DEP_2)
	v_sub_nc_u32_e32 v46, 0x78, v43
	v_cmp_gt_u32_e32 vcc_lo, 0x79, v43
	v_dual_cndmask_b32 v46, 0, v46 :: v_dual_and_b32 v45, 0x7fffff, v44
	s_delay_alu instid0(VALU_DEP_1) | instskip(SKIP_2) | instid1(VALU_DEP_4)
	v_or_b32_e32 v47, 0x800000, v45
	v_cmp_eq_u32_e32 vcc_lo, 0, v43
	v_add_nc_u32_e32 v43, 0xffffff89, v43
	v_cndmask_b32_e64 v46, v46, 0x77, vcc_lo
	s_delay_alu instid0(VALU_DEP_2) | instskip(SKIP_1) | instid1(VALU_DEP_3)
	v_cndmask_b32_e64 v43, v43, 0xffffff8a, vcc_lo
	v_cndmask_b32_e32 v45, v47, v45, vcc_lo
	v_lshl_add_u32 v47, 0x100000, v46, -1
	v_lshlrev_b32_e64 v58, v46, 0x80000
	s_delay_alu instid0(VALU_DEP_3) | instskip(SKIP_1) | instid1(VALU_DEP_4)
	v_lshrrev_b32_e32 v56, v46, v45
	v_add_nc_u32_e32 v46, v46, v43
	v_and_b32_e32 v45, v47, v45
	s_delay_alu instid0(VALU_DEP_3) | instskip(NEXT) | instid1(VALU_DEP_2)
	v_bfe_u32 v57, v56, 20, 1
	v_cmp_eq_u32_e64 s13, v45, v58
	s_delay_alu instid0(VALU_DEP_2) | instskip(NEXT) | instid1(VALU_DEP_1)
	v_add_nc_u32_e32 v47, -1, v57
	v_cndmask_b32_e64 v45, 0, v47, s13
	v_lshrrev_b32_e32 v47, 23, v56
	s_mov_b32 s13, exec_lo
	s_delay_alu instid0(VALU_DEP_2) | instskip(NEXT) | instid1(VALU_DEP_2)
	v_add_nc_u32_e32 v45, v45, v56
	v_xor_b32_e32 v47, 1, v47
	s_delay_alu instid0(VALU_DEP_2) | instskip(NEXT) | instid1(VALU_DEP_1)
	v_and_b32_e32 v43, 0xfffff, v45
	v_add_nc_u32_e32 v45, v43, v56
                                        ; implicit-def: $vgpr43
	s_delay_alu instid0(VALU_DEP_3)
	v_cmpx_ne_u32_e64 v46, v47
	s_xor_b32 s13, exec_lo, s13
; %bb.6267:                             ;   in Loop: Header=BB6_6112 Depth=3
	s_delay_alu instid0(VALU_DEP_2) | instskip(SKIP_2) | instid1(VALU_DEP_2)
	v_cmp_lt_u32_e32 vcc_lo, 0xffffff, v45
	v_sub_nc_u32_e32 v43, v46, v47
	v_cndmask_b32_e64 v46, 0, 1, vcc_lo
	v_add_co_ci_u32_e32 v43, vcc_lo, 0, v43, vcc_lo
	s_delay_alu instid0(VALU_DEP_2)
	v_lshrrev_b32_e32 v45, v46, v45
; %bb.6268:                             ;   in Loop: Header=BB6_6112 Depth=3
	s_and_not1_saveexec_b32 s13, s13
; %bb.6269:                             ;   in Loop: Header=BB6_6112 Depth=3
	s_delay_alu instid0(VALU_DEP_1)
	v_bfe_u32 v43, v45, 23, 1
; %bb.6270:                             ;   in Loop: Header=BB6_6112 Depth=3
	s_or_b32 exec_lo, exec_lo, s13
	v_lshrrev_b32_e32 v45, 20, v45
	s_delay_alu instid0(VALU_DEP_2) | instskip(SKIP_2) | instid1(VALU_DEP_2)
	v_cmp_gt_i32_e32 vcc_lo, 16, v43
	v_lshrrev_b32_e32 v44, 24, v44
	v_min_i32_e32 v46, 15, v43
	v_dual_cndmask_b32 v45, 7, v45 :: v_dual_and_b32 v44, 0x80, v44
	s_delay_alu instid0(VALU_DEP_1) | instskip(SKIP_1) | instid1(VALU_DEP_2)
	v_or_b32_e32 v43, v43, v45
	v_and_b32_e32 v47, 7, v45
	v_cmp_ne_u32_e32 vcc_lo, 0, v43
	v_lshlrev_b32_e32 v46, 3, v46
	s_delay_alu instid0(VALU_DEP_1) | instskip(NEXT) | instid1(VALU_DEP_1)
	v_or3_b32 v44, v46, v44, v47
	v_cndmask_b32_e32 v43, 0, v44, vcc_lo
.LBB6_6271:                             ;   in Loop: Header=BB6_6112 Depth=3
	s_or_b32 exec_lo, exec_lo, s17
.LBB6_6272:                             ;   in Loop: Header=BB6_6112 Depth=3
	s_delay_alu instid0(SALU_CYCLE_1) | instskip(SKIP_3) | instid1(VALU_DEP_1)
	s_or_b32 exec_lo, exec_lo, s16
	v_lshrrev_b32_e32 v45, 16, v50
	s_mov_b32 s13, 0
	s_mov_b32 s17, exec_lo
                                        ; implicit-def: $sgpr16
	v_and_b32_e32 v46, 0xff, v45
	s_delay_alu instid0(VALU_DEP_1)
	v_cmpx_lt_i16_e32 0x7f, v46
	s_xor_b32 s17, exec_lo, s17
	s_cbranch_execnz .LBB6_7214
; %bb.6273:                             ;   in Loop: Header=BB6_6112 Depth=3
	s_or_saveexec_b32 s17, s17
	v_mov_b32_e32 v44, s16
	s_xor_b32 exec_lo, exec_lo, s17
	s_cbranch_execnz .LBB6_7217
.LBB6_6274:                             ;   in Loop: Header=BB6_6112 Depth=3
	s_or_b32 exec_lo, exec_lo, s17
	s_and_saveexec_b32 s16, s13
	s_cbranch_execz .LBB6_6276
.LBB6_6275:                             ;   in Loop: Header=BB6_6112 Depth=3
	v_bfe_u32 v44, v50, 16, 3
	v_lshlrev_b32_e32 v56, 8, v50
	s_delay_alu instid0(VALU_DEP_2) | instskip(NEXT) | instid1(VALU_DEP_1)
	v_clz_i32_u32_e32 v46, v44
	v_min_u32_e32 v46, 32, v46
	s_delay_alu instid0(VALU_DEP_1) | instskip(SKIP_1) | instid1(VALU_DEP_2)
	v_subrev_nc_u32_e32 v47, 28, v46
	v_sub_nc_u32_e32 v46, 29, v46
	v_lshlrev_b32_e32 v45, v47, v45
	v_bfe_u32 v47, v50, 19, 4
	s_delay_alu instid0(VALU_DEP_1) | instskip(NEXT) | instid1(VALU_DEP_3)
	v_cmp_eq_u32_e32 vcc_lo, 0, v47
	v_dual_cndmask_b32 v46, v47, v46 :: v_dual_and_b32 v45, 7, v45
	s_delay_alu instid0(VALU_DEP_1) | instskip(NEXT) | instid1(VALU_DEP_2)
	v_dual_cndmask_b32 v44, v44, v45 :: v_dual_and_b32 v45, 0x80000000, v56
	v_lshl_add_u32 v46, v46, 23, 0x3b800000
	s_delay_alu instid0(VALU_DEP_2) | instskip(NEXT) | instid1(VALU_DEP_1)
	v_lshlrev_b32_e32 v44, 20, v44
	v_or3_b32 v44, v45, v46, v44
.LBB6_6276:                             ;   in Loop: Header=BB6_6112 Depth=3
	s_or_b32 exec_lo, exec_lo, s16
	v_lshrrev_b32_e32 v45, 16, v38
	s_mov_b32 s13, 0
	s_mov_b32 s17, exec_lo
                                        ; implicit-def: $sgpr16
	s_delay_alu instid0(VALU_DEP_1) | instskip(NEXT) | instid1(VALU_DEP_1)
	v_and_b32_e32 v47, 0xff, v45
	v_cmpx_lt_i16_e32 0x7f, v47
	s_xor_b32 s17, exec_lo, s17
	s_cbranch_execnz .LBB6_7218
; %bb.6277:                             ;   in Loop: Header=BB6_6112 Depth=3
	s_or_saveexec_b32 s17, s17
	v_mov_b32_e32 v46, s16
	s_xor_b32 exec_lo, exec_lo, s17
	s_cbranch_execnz .LBB6_7221
.LBB6_6278:                             ;   in Loop: Header=BB6_6112 Depth=3
	s_or_b32 exec_lo, exec_lo, s17
	s_and_saveexec_b32 s16, s13
	s_cbranch_execz .LBB6_6280
.LBB6_6279:                             ;   in Loop: Header=BB6_6112 Depth=3
	v_bfe_u32 v46, v38, 16, 3
	v_lshlrev_b32_e32 v57, 8, v38
	s_delay_alu instid0(VALU_DEP_2) | instskip(NEXT) | instid1(VALU_DEP_1)
	v_clz_i32_u32_e32 v47, v46
	v_min_u32_e32 v47, 32, v47
	s_delay_alu instid0(VALU_DEP_1) | instskip(SKIP_1) | instid1(VALU_DEP_2)
	v_subrev_nc_u32_e32 v56, 28, v47
	v_sub_nc_u32_e32 v47, 29, v47
	v_lshlrev_b32_e32 v45, v56, v45
	v_bfe_u32 v56, v38, 19, 4
	s_delay_alu instid0(VALU_DEP_2) | instskip(NEXT) | instid1(VALU_DEP_2)
	v_and_b32_e32 v45, 7, v45
	v_cmp_eq_u32_e32 vcc_lo, 0, v56
	v_cndmask_b32_e32 v47, v56, v47, vcc_lo
	s_delay_alu instid0(VALU_DEP_3) | instskip(SKIP_1) | instid1(VALU_DEP_3)
	v_cndmask_b32_e32 v45, v46, v45, vcc_lo
	v_and_b32_e32 v46, 0x80000000, v57
	v_lshl_add_u32 v47, v47, 23, 0x3b800000
	s_delay_alu instid0(VALU_DEP_3) | instskip(NEXT) | instid1(VALU_DEP_1)
	v_lshlrev_b32_e32 v45, 20, v45
	v_or3_b32 v46, v46, v47, v45
.LBB6_6280:                             ;   in Loop: Header=BB6_6112 Depth=3
	s_or_b32 exec_lo, exec_lo, s16
	s_delay_alu instid0(VALU_DEP_1) | instskip(NEXT) | instid1(VALU_DEP_1)
	v_add_f32_e32 v45, v44, v46
	v_and_b32_e32 v44, 0x7f800000, v45
	s_delay_alu instid0(VALU_DEP_1)
	v_cmp_ne_u32_e32 vcc_lo, 0x7f800000, v44
	v_mov_b32_e32 v44, 0x80
	s_and_saveexec_b32 s16, vcc_lo
	s_cbranch_execz .LBB6_6288
; %bb.6281:                             ;   in Loop: Header=BB6_6112 Depth=3
	v_mov_b32_e32 v44, 0
	s_mov_b32 s17, exec_lo
	v_cmpx_ne_u32_e32 0, v45
	s_cbranch_execz .LBB6_6287
; %bb.6282:                             ;   in Loop: Header=BB6_6112 Depth=3
	v_bfe_u32 v44, v45, 23, 8
	s_delay_alu instid0(VALU_DEP_1) | instskip(SKIP_1) | instid1(VALU_DEP_2)
	v_sub_nc_u32_e32 v47, 0x78, v44
	v_cmp_gt_u32_e32 vcc_lo, 0x79, v44
	v_dual_cndmask_b32 v47, 0, v47 :: v_dual_and_b32 v46, 0x7fffff, v45
	s_delay_alu instid0(VALU_DEP_1) | instskip(SKIP_2) | instid1(VALU_DEP_4)
	v_or_b32_e32 v56, 0x800000, v46
	v_cmp_eq_u32_e32 vcc_lo, 0, v44
	v_add_nc_u32_e32 v44, 0xffffff89, v44
	v_cndmask_b32_e64 v47, v47, 0x77, vcc_lo
	s_delay_alu instid0(VALU_DEP_2) | instskip(SKIP_1) | instid1(VALU_DEP_3)
	v_cndmask_b32_e64 v44, v44, 0xffffff8a, vcc_lo
	v_cndmask_b32_e32 v46, v56, v46, vcc_lo
	v_lshl_add_u32 v56, 0x100000, v47, -1
	v_lshlrev_b32_e64 v59, v47, 0x80000
	s_delay_alu instid0(VALU_DEP_3) | instskip(SKIP_1) | instid1(VALU_DEP_4)
	v_lshrrev_b32_e32 v57, v47, v46
	v_add_nc_u32_e32 v47, v47, v44
	v_and_b32_e32 v46, v56, v46
	s_delay_alu instid0(VALU_DEP_3) | instskip(NEXT) | instid1(VALU_DEP_2)
	v_bfe_u32 v58, v57, 20, 1
	v_cmp_eq_u32_e64 s13, v46, v59
	s_delay_alu instid0(VALU_DEP_2) | instskip(NEXT) | instid1(VALU_DEP_1)
	v_add_nc_u32_e32 v56, -1, v58
	v_cndmask_b32_e64 v46, 0, v56, s13
	v_lshrrev_b32_e32 v56, 23, v57
	s_mov_b32 s13, exec_lo
	s_delay_alu instid0(VALU_DEP_2) | instskip(NEXT) | instid1(VALU_DEP_2)
	v_add_nc_u32_e32 v46, v46, v57
	v_xor_b32_e32 v56, 1, v56
	s_delay_alu instid0(VALU_DEP_2) | instskip(NEXT) | instid1(VALU_DEP_1)
	v_and_b32_e32 v44, 0xfffff, v46
	v_add_nc_u32_e32 v46, v44, v57
                                        ; implicit-def: $vgpr44
	s_delay_alu instid0(VALU_DEP_3)
	v_cmpx_ne_u32_e64 v47, v56
	s_xor_b32 s13, exec_lo, s13
; %bb.6283:                             ;   in Loop: Header=BB6_6112 Depth=3
	s_delay_alu instid0(VALU_DEP_2) | instskip(SKIP_2) | instid1(VALU_DEP_2)
	v_cmp_lt_u32_e32 vcc_lo, 0xffffff, v46
	v_sub_nc_u32_e32 v44, v47, v56
	v_cndmask_b32_e64 v47, 0, 1, vcc_lo
	v_add_co_ci_u32_e32 v44, vcc_lo, 0, v44, vcc_lo
	s_delay_alu instid0(VALU_DEP_2)
	v_lshrrev_b32_e32 v46, v47, v46
; %bb.6284:                             ;   in Loop: Header=BB6_6112 Depth=3
	s_and_not1_saveexec_b32 s13, s13
; %bb.6285:                             ;   in Loop: Header=BB6_6112 Depth=3
	s_delay_alu instid0(VALU_DEP_1)
	v_bfe_u32 v44, v46, 23, 1
; %bb.6286:                             ;   in Loop: Header=BB6_6112 Depth=3
	s_or_b32 exec_lo, exec_lo, s13
	v_lshrrev_b32_e32 v46, 20, v46
	s_delay_alu instid0(VALU_DEP_2) | instskip(SKIP_2) | instid1(VALU_DEP_2)
	v_cmp_gt_i32_e32 vcc_lo, 16, v44
	v_lshrrev_b32_e32 v45, 24, v45
	v_min_i32_e32 v47, 15, v44
	v_dual_cndmask_b32 v46, 7, v46 :: v_dual_and_b32 v45, 0x80, v45
	s_delay_alu instid0(VALU_DEP_1) | instskip(SKIP_1) | instid1(VALU_DEP_2)
	v_or_b32_e32 v44, v44, v46
	v_and_b32_e32 v56, 7, v46
	v_cmp_ne_u32_e32 vcc_lo, 0, v44
	v_lshlrev_b32_e32 v47, 3, v47
	s_delay_alu instid0(VALU_DEP_1) | instskip(NEXT) | instid1(VALU_DEP_1)
	v_or3_b32 v45, v47, v45, v56
	v_cndmask_b32_e32 v44, 0, v45, vcc_lo
.LBB6_6287:                             ;   in Loop: Header=BB6_6112 Depth=3
	s_or_b32 exec_lo, exec_lo, s17
.LBB6_6288:                             ;   in Loop: Header=BB6_6112 Depth=3
	s_delay_alu instid0(SALU_CYCLE_1) | instskip(SKIP_3) | instid1(VALU_DEP_1)
	s_or_b32 exec_lo, exec_lo, s16
	v_lshrrev_b32_e32 v46, 24, v50
	s_mov_b32 s13, 0
	s_mov_b32 s17, exec_lo
                                        ; implicit-def: $sgpr16
	v_cmpx_lt_i16_e32 0x7f, v46
	s_xor_b32 s17, exec_lo, s17
	s_cbranch_execnz .LBB6_7222
; %bb.6289:                             ;   in Loop: Header=BB6_6112 Depth=3
	s_or_saveexec_b32 s17, s17
	v_mov_b32_e32 v45, s16
	s_xor_b32 exec_lo, exec_lo, s17
	s_cbranch_execnz .LBB6_7225
.LBB6_6290:                             ;   in Loop: Header=BB6_6112 Depth=3
	s_or_b32 exec_lo, exec_lo, s17
	s_and_saveexec_b32 s16, s13
	s_cbranch_execz .LBB6_6292
.LBB6_6291:                             ;   in Loop: Header=BB6_6112 Depth=3
	v_bfe_u32 v45, v50, 24, 3
	s_delay_alu instid0(VALU_DEP_1) | instskip(NEXT) | instid1(VALU_DEP_1)
	v_clz_i32_u32_e32 v47, v45
	v_min_u32_e32 v47, 32, v47
	s_delay_alu instid0(VALU_DEP_1) | instskip(SKIP_1) | instid1(VALU_DEP_2)
	v_subrev_nc_u32_e32 v56, 28, v47
	v_sub_nc_u32_e32 v47, 29, v47
	v_lshlrev_b32_e32 v46, v56, v46
	v_bfe_u32 v56, v50, 27, 4
	v_and_b32_e32 v50, 0x80000000, v50
	s_delay_alu instid0(VALU_DEP_2) | instskip(NEXT) | instid1(VALU_DEP_4)
	v_cmp_eq_u32_e32 vcc_lo, 0, v56
	v_dual_cndmask_b32 v47, v56, v47 :: v_dual_and_b32 v46, 7, v46
	s_delay_alu instid0(VALU_DEP_1) | instskip(NEXT) | instid1(VALU_DEP_2)
	v_cndmask_b32_e32 v45, v45, v46, vcc_lo
	v_lshl_add_u32 v46, v47, 23, 0x3b800000
	s_delay_alu instid0(VALU_DEP_2) | instskip(NEXT) | instid1(VALU_DEP_1)
	v_lshlrev_b32_e32 v45, 20, v45
	v_or3_b32 v45, v50, v46, v45
.LBB6_6292:                             ;   in Loop: Header=BB6_6112 Depth=3
	s_or_b32 exec_lo, exec_lo, s16
	v_lshrrev_b32_e32 v50, 24, v38
	s_mov_b32 s13, 0
	s_mov_b32 s17, exec_lo
                                        ; implicit-def: $sgpr16
	s_delay_alu instid0(VALU_DEP_1)
	v_cmpx_lt_i16_e32 0x7f, v50
	s_xor_b32 s17, exec_lo, s17
	s_cbranch_execnz .LBB6_7226
; %bb.6293:                             ;   in Loop: Header=BB6_6112 Depth=3
	s_or_saveexec_b32 s17, s17
	v_mov_b32_e32 v46, s16
	s_xor_b32 exec_lo, exec_lo, s17
	s_cbranch_execnz .LBB6_7229
.LBB6_6294:                             ;   in Loop: Header=BB6_6112 Depth=3
	s_or_b32 exec_lo, exec_lo, s17
	s_and_saveexec_b32 s16, s13
	s_cbranch_execz .LBB6_6296
.LBB6_6295:                             ;   in Loop: Header=BB6_6112 Depth=3
	v_bfe_u32 v46, v38, 24, 3
	s_delay_alu instid0(VALU_DEP_1) | instskip(NEXT) | instid1(VALU_DEP_1)
	v_clz_i32_u32_e32 v47, v46
	v_min_u32_e32 v47, 32, v47
	s_delay_alu instid0(VALU_DEP_1) | instskip(SKIP_1) | instid1(VALU_DEP_2)
	v_subrev_nc_u32_e32 v56, 28, v47
	v_sub_nc_u32_e32 v47, 29, v47
	v_lshlrev_b32_e32 v50, v56, v50
	v_bfe_u32 v56, v38, 27, 4
	v_and_b32_e32 v38, 0x80000000, v38
	s_delay_alu instid0(VALU_DEP_2) | instskip(NEXT) | instid1(VALU_DEP_4)
	v_cmp_eq_u32_e32 vcc_lo, 0, v56
	v_dual_cndmask_b32 v47, v56, v47 :: v_dual_and_b32 v50, 7, v50
	s_delay_alu instid0(VALU_DEP_1) | instskip(NEXT) | instid1(VALU_DEP_2)
	v_cndmask_b32_e32 v50, v46, v50, vcc_lo
	v_lshl_add_u32 v46, v47, 23, 0x3b800000
	s_delay_alu instid0(VALU_DEP_2) | instskip(NEXT) | instid1(VALU_DEP_1)
	v_lshlrev_b32_e32 v50, 20, v50
	v_or3_b32 v46, v38, v46, v50
.LBB6_6296:                             ;   in Loop: Header=BB6_6112 Depth=3
	s_or_b32 exec_lo, exec_lo, s16
	s_delay_alu instid0(VALU_DEP_1) | instskip(NEXT) | instid1(VALU_DEP_1)
	v_add_f32_e32 v50, v45, v46
	v_and_b32_e32 v38, 0x7f800000, v50
	s_delay_alu instid0(VALU_DEP_1)
	v_cmp_ne_u32_e32 vcc_lo, 0x7f800000, v38
	v_mov_b32_e32 v38, 0x80
	s_and_saveexec_b32 s16, vcc_lo
	s_cbranch_execz .LBB6_6304
; %bb.6297:                             ;   in Loop: Header=BB6_6112 Depth=3
	v_mov_b32_e32 v38, 0
	s_mov_b32 s17, exec_lo
	v_cmpx_ne_u32_e32 0, v50
	s_cbranch_execz .LBB6_6303
; %bb.6298:                             ;   in Loop: Header=BB6_6112 Depth=3
	v_bfe_u32 v38, v50, 23, 8
	v_and_b32_e32 v45, 0x7fffff, v50
	s_delay_alu instid0(VALU_DEP_2) | instskip(SKIP_1) | instid1(VALU_DEP_3)
	v_sub_nc_u32_e32 v46, 0x78, v38
	v_cmp_gt_u32_e32 vcc_lo, 0x79, v38
	v_or_b32_e32 v47, 0x800000, v45
	s_delay_alu instid0(VALU_DEP_3) | instskip(SKIP_1) | instid1(VALU_DEP_3)
	v_cndmask_b32_e32 v46, 0, v46, vcc_lo
	v_cmp_eq_u32_e32 vcc_lo, 0, v38
	v_dual_cndmask_b32 v45, v47, v45 :: v_dual_add_nc_u32 v38, 0xffffff89, v38
	s_delay_alu instid0(VALU_DEP_3) | instskip(NEXT) | instid1(VALU_DEP_2)
	v_cndmask_b32_e64 v46, v46, 0x77, vcc_lo
	v_cndmask_b32_e64 v38, v38, 0xffffff8a, vcc_lo
	s_delay_alu instid0(VALU_DEP_2) | instskip(SKIP_2) | instid1(VALU_DEP_4)
	v_lshrrev_b32_e32 v56, v46, v45
	v_lshl_add_u32 v47, 0x100000, v46, -1
	v_lshlrev_b32_e64 v58, v46, 0x80000
	v_add_nc_u32_e32 v46, v46, v38
	s_delay_alu instid0(VALU_DEP_4) | instskip(NEXT) | instid1(VALU_DEP_4)
	v_bfe_u32 v57, v56, 20, 1
	v_and_b32_e32 v45, v47, v45
	s_delay_alu instid0(VALU_DEP_2) | instskip(NEXT) | instid1(VALU_DEP_2)
	v_add_nc_u32_e32 v47, -1, v57
	v_cmp_eq_u32_e64 s13, v45, v58
	s_delay_alu instid0(VALU_DEP_1) | instskip(SKIP_2) | instid1(VALU_DEP_2)
	v_cndmask_b32_e64 v45, 0, v47, s13
	v_lshrrev_b32_e32 v47, 23, v56
	s_mov_b32 s13, exec_lo
	v_add_nc_u32_e32 v45, v45, v56
	s_delay_alu instid0(VALU_DEP_2) | instskip(NEXT) | instid1(VALU_DEP_2)
	v_xor_b32_e32 v47, 1, v47
	v_and_b32_e32 v38, 0xfffff, v45
	s_delay_alu instid0(VALU_DEP_1) | instskip(NEXT) | instid1(VALU_DEP_3)
	v_add_nc_u32_e32 v45, v38, v56
                                        ; implicit-def: $vgpr38
	v_cmpx_ne_u32_e64 v46, v47
	s_xor_b32 s13, exec_lo, s13
; %bb.6299:                             ;   in Loop: Header=BB6_6112 Depth=3
	s_delay_alu instid0(VALU_DEP_2) | instskip(SKIP_2) | instid1(VALU_DEP_2)
	v_cmp_lt_u32_e32 vcc_lo, 0xffffff, v45
	v_sub_nc_u32_e32 v38, v46, v47
	v_cndmask_b32_e64 v46, 0, 1, vcc_lo
	v_add_co_ci_u32_e32 v38, vcc_lo, 0, v38, vcc_lo
	s_delay_alu instid0(VALU_DEP_2)
	v_lshrrev_b32_e32 v45, v46, v45
; %bb.6300:                             ;   in Loop: Header=BB6_6112 Depth=3
	s_and_not1_saveexec_b32 s13, s13
; %bb.6301:                             ;   in Loop: Header=BB6_6112 Depth=3
	s_delay_alu instid0(VALU_DEP_1)
	v_bfe_u32 v38, v45, 23, 1
; %bb.6302:                             ;   in Loop: Header=BB6_6112 Depth=3
	s_or_b32 exec_lo, exec_lo, s13
	v_lshrrev_b32_e32 v45, 20, v45
	s_delay_alu instid0(VALU_DEP_2) | instskip(SKIP_2) | instid1(VALU_DEP_2)
	v_cmp_gt_i32_e32 vcc_lo, 16, v38
	v_lshrrev_b32_e32 v50, 24, v50
	v_min_i32_e32 v46, 15, v38
	v_dual_cndmask_b32 v45, 7, v45 :: v_dual_and_b32 v50, 0x80, v50
	s_delay_alu instid0(VALU_DEP_2) | instskip(NEXT) | instid1(VALU_DEP_2)
	v_lshlrev_b32_e32 v46, 3, v46
	v_or_b32_e32 v38, v38, v45
	s_delay_alu instid0(VALU_DEP_1) | instskip(SKIP_1) | instid1(VALU_DEP_1)
	v_cmp_ne_u32_e32 vcc_lo, 0, v38
	v_and_b32_e32 v47, 7, v45
	v_or3_b32 v50, v46, v50, v47
	s_delay_alu instid0(VALU_DEP_1)
	v_cndmask_b32_e32 v38, 0, v50, vcc_lo
.LBB6_6303:                             ;   in Loop: Header=BB6_6112 Depth=3
	s_or_b32 exec_lo, exec_lo, s17
.LBB6_6304:                             ;   in Loop: Header=BB6_6112 Depth=3
	s_delay_alu instid0(SALU_CYCLE_1) | instskip(SKIP_3) | instid1(VALU_DEP_1)
	s_or_b32 exec_lo, exec_lo, s16
	v_and_b32_e32 v45, 0xff, v51
	s_mov_b32 s13, 0
	s_mov_b32 s17, exec_lo
                                        ; implicit-def: $sgpr16
	v_cmpx_lt_i16_e32 0x7f, v45
	s_xor_b32 s17, exec_lo, s17
	s_cbranch_execnz .LBB6_7230
; %bb.6305:                             ;   in Loop: Header=BB6_6112 Depth=3
	s_or_saveexec_b32 s17, s17
	v_mov_b32_e32 v50, s16
	s_xor_b32 exec_lo, exec_lo, s17
	s_cbranch_execnz .LBB6_7233
.LBB6_6306:                             ;   in Loop: Header=BB6_6112 Depth=3
	s_or_b32 exec_lo, exec_lo, s17
	s_and_saveexec_b32 s16, s13
	s_cbranch_execz .LBB6_6308
.LBB6_6307:                             ;   in Loop: Header=BB6_6112 Depth=3
	v_bfe_u32 v47, v51, 3, 4
	v_lshlrev_b32_e32 v56, 24, v51
	s_delay_alu instid0(VALU_DEP_2) | instskip(SKIP_1) | instid1(VALU_DEP_1)
	v_cmp_eq_u32_e32 vcc_lo, 0, v47
	v_and_b32_e32 v50, 7, v51
	v_clz_i32_u32_e32 v45, v50
	s_delay_alu instid0(VALU_DEP_1) | instskip(NEXT) | instid1(VALU_DEP_1)
	v_min_u32_e32 v45, 32, v45
	v_subrev_nc_u32_e32 v46, 28, v45
	v_sub_nc_u32_e32 v45, 29, v45
	s_delay_alu instid0(VALU_DEP_1) | instskip(NEXT) | instid1(VALU_DEP_1)
	v_dual_cndmask_b32 v45, v47, v45 :: v_dual_lshlrev_b32 v46, v46, v51
	v_and_b32_e32 v46, 7, v46
	s_delay_alu instid0(VALU_DEP_2) | instskip(NEXT) | instid1(VALU_DEP_2)
	v_lshl_add_u32 v45, v45, 23, 0x3b800000
	v_cndmask_b32_e32 v50, v50, v46, vcc_lo
	v_and_b32_e32 v46, 0x80000000, v56
	s_delay_alu instid0(VALU_DEP_2) | instskip(NEXT) | instid1(VALU_DEP_1)
	v_lshlrev_b32_e32 v50, 20, v50
	v_or3_b32 v50, v46, v45, v50
.LBB6_6308:                             ;   in Loop: Header=BB6_6112 Depth=3
	s_or_b32 exec_lo, exec_lo, s16
	v_and_b32_e32 v46, 0xff, v39
	s_mov_b32 s13, 0
	s_mov_b32 s17, exec_lo
                                        ; implicit-def: $sgpr16
	s_delay_alu instid0(VALU_DEP_1)
	v_cmpx_lt_i16_e32 0x7f, v46
	s_xor_b32 s17, exec_lo, s17
	s_cbranch_execnz .LBB6_7234
; %bb.6309:                             ;   in Loop: Header=BB6_6112 Depth=3
	s_or_saveexec_b32 s17, s17
	v_mov_b32_e32 v45, s16
	s_xor_b32 exec_lo, exec_lo, s17
	s_cbranch_execnz .LBB6_7237
.LBB6_6310:                             ;   in Loop: Header=BB6_6112 Depth=3
	s_or_b32 exec_lo, exec_lo, s17
	s_and_saveexec_b32 s16, s13
	s_cbranch_execz .LBB6_6312
.LBB6_6311:                             ;   in Loop: Header=BB6_6112 Depth=3
	v_bfe_u32 v56, v39, 3, 4
	v_lshlrev_b32_e32 v57, 24, v39
	s_delay_alu instid0(VALU_DEP_2) | instskip(SKIP_1) | instid1(VALU_DEP_1)
	v_cmp_eq_u32_e32 vcc_lo, 0, v56
	v_and_b32_e32 v45, 7, v39
	v_clz_i32_u32_e32 v46, v45
	s_delay_alu instid0(VALU_DEP_1) | instskip(NEXT) | instid1(VALU_DEP_1)
	v_min_u32_e32 v46, 32, v46
	v_subrev_nc_u32_e32 v47, 28, v46
	v_sub_nc_u32_e32 v46, 29, v46
	s_delay_alu instid0(VALU_DEP_1) | instskip(NEXT) | instid1(VALU_DEP_1)
	v_dual_cndmask_b32 v46, v56, v46 :: v_dual_lshlrev_b32 v47, v47, v39
	v_and_b32_e32 v47, 7, v47
	s_delay_alu instid0(VALU_DEP_2) | instskip(NEXT) | instid1(VALU_DEP_2)
	v_lshl_add_u32 v46, v46, 23, 0x3b800000
	v_cndmask_b32_e32 v45, v45, v47, vcc_lo
	v_and_b32_e32 v47, 0x80000000, v57
	s_delay_alu instid0(VALU_DEP_2) | instskip(NEXT) | instid1(VALU_DEP_1)
	v_lshlrev_b32_e32 v45, 20, v45
	v_or3_b32 v45, v47, v46, v45
.LBB6_6312:                             ;   in Loop: Header=BB6_6112 Depth=3
	s_or_b32 exec_lo, exec_lo, s16
	s_delay_alu instid0(VALU_DEP_1) | instskip(NEXT) | instid1(VALU_DEP_1)
	v_add_f32_e32 v45, v50, v45
	v_and_b32_e32 v50, 0x7f800000, v45
	s_delay_alu instid0(VALU_DEP_1)
	v_cmp_ne_u32_e32 vcc_lo, 0x7f800000, v50
	v_mov_b32_e32 v50, 0x80
	s_and_saveexec_b32 s16, vcc_lo
	s_cbranch_execz .LBB6_6320
; %bb.6313:                             ;   in Loop: Header=BB6_6112 Depth=3
	v_mov_b32_e32 v50, 0
	s_mov_b32 s17, exec_lo
	v_cmpx_ne_u32_e32 0, v45
	s_cbranch_execz .LBB6_6319
; %bb.6314:                             ;   in Loop: Header=BB6_6112 Depth=3
	v_bfe_u32 v50, v45, 23, 8
	s_delay_alu instid0(VALU_DEP_1) | instskip(SKIP_1) | instid1(VALU_DEP_2)
	v_sub_nc_u32_e32 v47, 0x78, v50
	v_cmp_gt_u32_e32 vcc_lo, 0x79, v50
	v_dual_cndmask_b32 v47, 0, v47 :: v_dual_and_b32 v46, 0x7fffff, v45
	s_delay_alu instid0(VALU_DEP_1) | instskip(SKIP_2) | instid1(VALU_DEP_4)
	v_or_b32_e32 v56, 0x800000, v46
	v_cmp_eq_u32_e32 vcc_lo, 0, v50
	v_add_nc_u32_e32 v50, 0xffffff89, v50
	v_cndmask_b32_e64 v47, v47, 0x77, vcc_lo
	s_delay_alu instid0(VALU_DEP_4) | instskip(NEXT) | instid1(VALU_DEP_3)
	v_cndmask_b32_e32 v46, v56, v46, vcc_lo
	v_cndmask_b32_e64 v50, v50, 0xffffff8a, vcc_lo
	s_delay_alu instid0(VALU_DEP_3) | instskip(NEXT) | instid1(VALU_DEP_3)
	v_lshl_add_u32 v56, 0x100000, v47, -1
	v_lshrrev_b32_e32 v57, v47, v46
	v_lshlrev_b32_e64 v59, v47, 0x80000
	s_delay_alu instid0(VALU_DEP_4) | instskip(NEXT) | instid1(VALU_DEP_4)
	v_add_nc_u32_e32 v47, v47, v50
	v_and_b32_e32 v46, v56, v46
	s_delay_alu instid0(VALU_DEP_4) | instskip(NEXT) | instid1(VALU_DEP_2)
	v_bfe_u32 v58, v57, 20, 1
	v_cmp_eq_u32_e64 s13, v46, v59
	s_delay_alu instid0(VALU_DEP_2) | instskip(NEXT) | instid1(VALU_DEP_1)
	v_add_nc_u32_e32 v56, -1, v58
	v_cndmask_b32_e64 v46, 0, v56, s13
	v_lshrrev_b32_e32 v56, 23, v57
	s_mov_b32 s13, exec_lo
	s_delay_alu instid0(VALU_DEP_2) | instskip(NEXT) | instid1(VALU_DEP_2)
	v_add_nc_u32_e32 v46, v46, v57
	v_xor_b32_e32 v56, 1, v56
	s_delay_alu instid0(VALU_DEP_2) | instskip(NEXT) | instid1(VALU_DEP_1)
	v_and_b32_e32 v50, 0xfffff, v46
	v_add_nc_u32_e32 v46, v50, v57
                                        ; implicit-def: $vgpr50
	s_delay_alu instid0(VALU_DEP_3)
	v_cmpx_ne_u32_e64 v47, v56
	s_xor_b32 s13, exec_lo, s13
; %bb.6315:                             ;   in Loop: Header=BB6_6112 Depth=3
	s_delay_alu instid0(VALU_DEP_2) | instskip(SKIP_2) | instid1(VALU_DEP_2)
	v_cmp_lt_u32_e32 vcc_lo, 0xffffff, v46
	v_sub_nc_u32_e32 v50, v47, v56
	v_cndmask_b32_e64 v47, 0, 1, vcc_lo
	v_add_co_ci_u32_e32 v50, vcc_lo, 0, v50, vcc_lo
	s_delay_alu instid0(VALU_DEP_2)
	v_lshrrev_b32_e32 v46, v47, v46
; %bb.6316:                             ;   in Loop: Header=BB6_6112 Depth=3
	s_and_not1_saveexec_b32 s13, s13
; %bb.6317:                             ;   in Loop: Header=BB6_6112 Depth=3
	s_delay_alu instid0(VALU_DEP_1)
	v_bfe_u32 v50, v46, 23, 1
; %bb.6318:                             ;   in Loop: Header=BB6_6112 Depth=3
	s_or_b32 exec_lo, exec_lo, s13
	v_lshrrev_b32_e32 v46, 20, v46
	s_delay_alu instid0(VALU_DEP_2) | instskip(SKIP_2) | instid1(VALU_DEP_2)
	v_cmp_gt_i32_e32 vcc_lo, 16, v50
	v_lshrrev_b32_e32 v45, 24, v45
	v_min_i32_e32 v47, 15, v50
	v_dual_cndmask_b32 v46, 7, v46 :: v_dual_and_b32 v45, 0x80, v45
	s_delay_alu instid0(VALU_DEP_1) | instskip(SKIP_1) | instid1(VALU_DEP_2)
	v_or_b32_e32 v50, v50, v46
	v_and_b32_e32 v56, 7, v46
	v_cmp_ne_u32_e32 vcc_lo, 0, v50
	v_lshlrev_b32_e32 v47, 3, v47
	s_delay_alu instid0(VALU_DEP_1) | instskip(NEXT) | instid1(VALU_DEP_1)
	v_or3_b32 v45, v47, v45, v56
	v_cndmask_b32_e32 v50, 0, v45, vcc_lo
.LBB6_6319:                             ;   in Loop: Header=BB6_6112 Depth=3
	s_or_b32 exec_lo, exec_lo, s17
.LBB6_6320:                             ;   in Loop: Header=BB6_6112 Depth=3
	s_delay_alu instid0(SALU_CYCLE_1) | instskip(SKIP_3) | instid1(VALU_DEP_1)
	s_or_b32 exec_lo, exec_lo, s16
	v_lshrrev_b16 v46, 8, v51
	s_mov_b32 s13, 0
	s_mov_b32 s17, exec_lo
                                        ; implicit-def: $sgpr16
	v_cmpx_lt_i16_e32 0x7f, v46
	s_xor_b32 s17, exec_lo, s17
	s_cbranch_execnz .LBB6_7238
; %bb.6321:                             ;   in Loop: Header=BB6_6112 Depth=3
	s_or_saveexec_b32 s17, s17
	v_mov_b32_e32 v45, s16
	s_xor_b32 exec_lo, exec_lo, s17
	s_cbranch_execnz .LBB6_7241
.LBB6_6322:                             ;   in Loop: Header=BB6_6112 Depth=3
	s_or_b32 exec_lo, exec_lo, s17
	s_and_saveexec_b32 s16, s13
	s_cbranch_execz .LBB6_6324
.LBB6_6323:                             ;   in Loop: Header=BB6_6112 Depth=3
	v_and_b32_e32 v45, 0xffff, v46
	s_delay_alu instid0(VALU_DEP_1) | instskip(NEXT) | instid1(VALU_DEP_1)
	v_and_b32_e32 v47, 7, v45
	v_clz_i32_u32_e32 v56, v47
	s_delay_alu instid0(VALU_DEP_1) | instskip(NEXT) | instid1(VALU_DEP_1)
	v_min_u32_e32 v56, 32, v56
	v_subrev_nc_u32_e32 v57, 28, v56
	v_sub_nc_u32_e32 v56, 29, v56
	s_delay_alu instid0(VALU_DEP_2) | instskip(SKIP_1) | instid1(VALU_DEP_2)
	v_lshlrev_b32_e32 v57, v57, v45
	v_bfe_u32 v45, v45, 3, 4
	v_and_b32_e32 v57, 7, v57
	s_delay_alu instid0(VALU_DEP_2) | instskip(SKIP_1) | instid1(VALU_DEP_1)
	v_cmp_eq_u32_e32 vcc_lo, 0, v45
	v_dual_cndmask_b32 v45, v45, v56 :: v_dual_lshlrev_b32 v46, 24, v46
	v_dual_cndmask_b32 v47, v47, v57 :: v_dual_and_b32 v46, 0x80000000, v46
	s_delay_alu instid0(VALU_DEP_2) | instskip(NEXT) | instid1(VALU_DEP_2)
	v_lshl_add_u32 v45, v45, 23, 0x3b800000
	v_lshlrev_b32_e32 v47, 20, v47
	s_delay_alu instid0(VALU_DEP_1)
	v_or3_b32 v45, v46, v45, v47
.LBB6_6324:                             ;   in Loop: Header=BB6_6112 Depth=3
	s_or_b32 exec_lo, exec_lo, s16
	v_lshrrev_b16 v46, 8, v39
	s_mov_b32 s13, 0
	s_mov_b32 s17, exec_lo
                                        ; implicit-def: $sgpr16
	s_delay_alu instid0(VALU_DEP_1)
	v_cmpx_lt_i16_e32 0x7f, v46
	s_xor_b32 s17, exec_lo, s17
	s_cbranch_execnz .LBB6_7242
; %bb.6325:                             ;   in Loop: Header=BB6_6112 Depth=3
	s_or_saveexec_b32 s17, s17
	v_mov_b32_e32 v47, s16
	s_xor_b32 exec_lo, exec_lo, s17
	s_cbranch_execnz .LBB6_7245
.LBB6_6326:                             ;   in Loop: Header=BB6_6112 Depth=3
	s_or_b32 exec_lo, exec_lo, s17
	s_and_saveexec_b32 s16, s13
	s_cbranch_execz .LBB6_6328
.LBB6_6327:                             ;   in Loop: Header=BB6_6112 Depth=3
	v_and_b32_e32 v47, 0xffff, v46
	v_lshlrev_b32_e32 v46, 24, v46
	s_delay_alu instid0(VALU_DEP_2) | instskip(NEXT) | instid1(VALU_DEP_2)
	v_and_b32_e32 v56, 7, v47
	v_and_b32_e32 v46, 0x80000000, v46
	s_delay_alu instid0(VALU_DEP_2) | instskip(NEXT) | instid1(VALU_DEP_1)
	v_clz_i32_u32_e32 v57, v56
	v_min_u32_e32 v57, 32, v57
	s_delay_alu instid0(VALU_DEP_1) | instskip(SKIP_1) | instid1(VALU_DEP_2)
	v_subrev_nc_u32_e32 v58, 28, v57
	v_sub_nc_u32_e32 v57, 29, v57
	v_lshlrev_b32_e32 v58, v58, v47
	v_bfe_u32 v47, v47, 3, 4
	s_delay_alu instid0(VALU_DEP_2) | instskip(NEXT) | instid1(VALU_DEP_2)
	v_and_b32_e32 v58, 7, v58
	v_cmp_eq_u32_e32 vcc_lo, 0, v47
	s_delay_alu instid0(VALU_DEP_2) | instskip(NEXT) | instid1(VALU_DEP_1)
	v_dual_cndmask_b32 v47, v47, v57 :: v_dual_cndmask_b32 v56, v56, v58
	v_lshl_add_u32 v47, v47, 23, 0x3b800000
	s_delay_alu instid0(VALU_DEP_2) | instskip(NEXT) | instid1(VALU_DEP_1)
	v_lshlrev_b32_e32 v56, 20, v56
	v_or3_b32 v47, v46, v47, v56
.LBB6_6328:                             ;   in Loop: Header=BB6_6112 Depth=3
	s_or_b32 exec_lo, exec_lo, s16
	s_delay_alu instid0(VALU_DEP_1) | instskip(NEXT) | instid1(VALU_DEP_1)
	v_add_f32_e32 v46, v45, v47
	v_and_b32_e32 v45, 0x7f800000, v46
	s_delay_alu instid0(VALU_DEP_1)
	v_cmp_ne_u32_e32 vcc_lo, 0x7f800000, v45
	v_mov_b32_e32 v45, 0x8000
	s_and_saveexec_b32 s16, vcc_lo
	s_cbranch_execz .LBB6_6336
; %bb.6329:                             ;   in Loop: Header=BB6_6112 Depth=3
	v_mov_b32_e32 v45, 0
	s_mov_b32 s17, exec_lo
	v_cmpx_ne_u32_e32 0, v46
	s_cbranch_execz .LBB6_6335
; %bb.6330:                             ;   in Loop: Header=BB6_6112 Depth=3
	v_bfe_u32 v45, v46, 23, 8
	s_delay_alu instid0(VALU_DEP_1) | instskip(SKIP_1) | instid1(VALU_DEP_2)
	v_sub_nc_u32_e32 v56, 0x78, v45
	v_cmp_gt_u32_e32 vcc_lo, 0x79, v45
	v_dual_cndmask_b32 v56, 0, v56 :: v_dual_and_b32 v47, 0x7fffff, v46
	s_delay_alu instid0(VALU_DEP_1) | instskip(SKIP_2) | instid1(VALU_DEP_4)
	v_or_b32_e32 v57, 0x800000, v47
	v_cmp_eq_u32_e32 vcc_lo, 0, v45
	v_add_nc_u32_e32 v45, 0xffffff89, v45
	v_cndmask_b32_e64 v56, v56, 0x77, vcc_lo
	s_delay_alu instid0(VALU_DEP_2) | instskip(SKIP_1) | instid1(VALU_DEP_3)
	v_cndmask_b32_e64 v45, v45, 0xffffff8a, vcc_lo
	v_cndmask_b32_e32 v47, v57, v47, vcc_lo
	v_lshl_add_u32 v57, 0x100000, v56, -1
	v_lshlrev_b32_e64 v60, v56, 0x80000
	s_delay_alu instid0(VALU_DEP_3) | instskip(SKIP_1) | instid1(VALU_DEP_4)
	v_lshrrev_b32_e32 v58, v56, v47
	v_add_nc_u32_e32 v56, v56, v45
	v_and_b32_e32 v47, v57, v47
	s_delay_alu instid0(VALU_DEP_3) | instskip(NEXT) | instid1(VALU_DEP_2)
	v_bfe_u32 v59, v58, 20, 1
	v_cmp_eq_u32_e64 s13, v47, v60
	s_delay_alu instid0(VALU_DEP_2) | instskip(NEXT) | instid1(VALU_DEP_1)
	v_add_nc_u32_e32 v57, -1, v59
	v_cndmask_b32_e64 v47, 0, v57, s13
	v_lshrrev_b32_e32 v57, 23, v58
	s_mov_b32 s13, exec_lo
	s_delay_alu instid0(VALU_DEP_2) | instskip(NEXT) | instid1(VALU_DEP_2)
	v_add_nc_u32_e32 v47, v47, v58
	v_xor_b32_e32 v57, 1, v57
	s_delay_alu instid0(VALU_DEP_2) | instskip(NEXT) | instid1(VALU_DEP_1)
	v_and_b32_e32 v45, 0xfffff, v47
	v_add_nc_u32_e32 v47, v45, v58
                                        ; implicit-def: $vgpr45
	s_delay_alu instid0(VALU_DEP_3)
	v_cmpx_ne_u32_e64 v56, v57
	s_xor_b32 s13, exec_lo, s13
; %bb.6331:                             ;   in Loop: Header=BB6_6112 Depth=3
	s_delay_alu instid0(VALU_DEP_2) | instskip(SKIP_2) | instid1(VALU_DEP_2)
	v_cmp_lt_u32_e32 vcc_lo, 0xffffff, v47
	v_sub_nc_u32_e32 v45, v56, v57
	v_cndmask_b32_e64 v56, 0, 1, vcc_lo
	v_add_co_ci_u32_e32 v45, vcc_lo, 0, v45, vcc_lo
	s_delay_alu instid0(VALU_DEP_2)
	v_lshrrev_b32_e32 v47, v56, v47
; %bb.6332:                             ;   in Loop: Header=BB6_6112 Depth=3
	s_and_not1_saveexec_b32 s13, s13
; %bb.6333:                             ;   in Loop: Header=BB6_6112 Depth=3
	s_delay_alu instid0(VALU_DEP_1)
	v_bfe_u32 v45, v47, 23, 1
; %bb.6334:                             ;   in Loop: Header=BB6_6112 Depth=3
	s_or_b32 exec_lo, exec_lo, s13
	v_lshrrev_b32_e32 v47, 20, v47
	s_delay_alu instid0(VALU_DEP_2) | instskip(SKIP_2) | instid1(VALU_DEP_2)
	v_cmp_gt_i32_e32 vcc_lo, 16, v45
	v_min_i32_e32 v56, 15, v45
	v_lshrrev_b32_e32 v46, 24, v46
	v_dual_cndmask_b32 v47, 7, v47 :: v_dual_lshlrev_b32 v56, 3, v56
	s_delay_alu instid0(VALU_DEP_2) | instskip(NEXT) | instid1(VALU_DEP_2)
	v_and_b32_e32 v46, 0x80, v46
	v_or_b32_e32 v45, v45, v47
	v_and_b32_e32 v57, 7, v47
	s_delay_alu instid0(VALU_DEP_2) | instskip(SKIP_1) | instid1(VALU_DEP_1)
	v_cmp_ne_u32_e32 vcc_lo, 0, v45
	v_and_b32_e32 v56, 0xf8, v56
	v_or3_b32 v46, v46, v56, v57
	s_delay_alu instid0(VALU_DEP_1) | instskip(NEXT) | instid1(VALU_DEP_1)
	v_lshlrev_b32_e32 v46, 8, v46
	v_cndmask_b32_e32 v45, 0, v46, vcc_lo
.LBB6_6335:                             ;   in Loop: Header=BB6_6112 Depth=3
	s_or_b32 exec_lo, exec_lo, s17
.LBB6_6336:                             ;   in Loop: Header=BB6_6112 Depth=3
	s_delay_alu instid0(SALU_CYCLE_1) | instskip(SKIP_3) | instid1(VALU_DEP_1)
	s_or_b32 exec_lo, exec_lo, s16
	v_lshrrev_b32_e32 v47, 16, v51
	s_mov_b32 s13, 0
	s_mov_b32 s17, exec_lo
                                        ; implicit-def: $sgpr16
	v_and_b32_e32 v56, 0xff, v47
	s_delay_alu instid0(VALU_DEP_1)
	v_cmpx_lt_i16_e32 0x7f, v56
	s_xor_b32 s17, exec_lo, s17
	s_cbranch_execnz .LBB6_7246
; %bb.6337:                             ;   in Loop: Header=BB6_6112 Depth=3
	s_or_saveexec_b32 s17, s17
	v_mov_b32_e32 v46, s16
	s_xor_b32 exec_lo, exec_lo, s17
	s_cbranch_execnz .LBB6_7249
.LBB6_6338:                             ;   in Loop: Header=BB6_6112 Depth=3
	s_or_b32 exec_lo, exec_lo, s17
	s_and_saveexec_b32 s16, s13
	s_cbranch_execz .LBB6_6340
.LBB6_6339:                             ;   in Loop: Header=BB6_6112 Depth=3
	v_bfe_u32 v46, v51, 16, 3
	v_lshlrev_b32_e32 v58, 8, v51
	s_delay_alu instid0(VALU_DEP_2) | instskip(NEXT) | instid1(VALU_DEP_1)
	v_clz_i32_u32_e32 v56, v46
	v_min_u32_e32 v56, 32, v56
	s_delay_alu instid0(VALU_DEP_1) | instskip(SKIP_1) | instid1(VALU_DEP_2)
	v_subrev_nc_u32_e32 v57, 28, v56
	v_sub_nc_u32_e32 v56, 29, v56
	v_lshlrev_b32_e32 v47, v57, v47
	v_bfe_u32 v57, v51, 19, 4
	s_delay_alu instid0(VALU_DEP_1) | instskip(NEXT) | instid1(VALU_DEP_3)
	v_cmp_eq_u32_e32 vcc_lo, 0, v57
	v_dual_cndmask_b32 v56, v57, v56 :: v_dual_and_b32 v47, 7, v47
	s_delay_alu instid0(VALU_DEP_1) | instskip(NEXT) | instid1(VALU_DEP_2)
	v_dual_cndmask_b32 v46, v46, v47 :: v_dual_and_b32 v47, 0x80000000, v58
	v_lshl_add_u32 v56, v56, 23, 0x3b800000
	s_delay_alu instid0(VALU_DEP_2) | instskip(NEXT) | instid1(VALU_DEP_1)
	v_lshlrev_b32_e32 v46, 20, v46
	v_or3_b32 v46, v47, v56, v46
.LBB6_6340:                             ;   in Loop: Header=BB6_6112 Depth=3
	s_or_b32 exec_lo, exec_lo, s16
	v_lshrrev_b32_e32 v47, 16, v39
	s_mov_b32 s13, 0
	s_mov_b32 s17, exec_lo
                                        ; implicit-def: $sgpr16
	s_delay_alu instid0(VALU_DEP_1) | instskip(NEXT) | instid1(VALU_DEP_1)
	v_and_b32_e32 v57, 0xff, v47
	v_cmpx_lt_i16_e32 0x7f, v57
	s_xor_b32 s17, exec_lo, s17
	s_cbranch_execnz .LBB6_7250
; %bb.6341:                             ;   in Loop: Header=BB6_6112 Depth=3
	s_or_saveexec_b32 s17, s17
	v_mov_b32_e32 v56, s16
	s_xor_b32 exec_lo, exec_lo, s17
	s_cbranch_execnz .LBB6_7253
.LBB6_6342:                             ;   in Loop: Header=BB6_6112 Depth=3
	s_or_b32 exec_lo, exec_lo, s17
	s_and_saveexec_b32 s16, s13
	s_cbranch_execz .LBB6_6344
.LBB6_6343:                             ;   in Loop: Header=BB6_6112 Depth=3
	v_bfe_u32 v56, v39, 16, 3
	v_lshlrev_b32_e32 v59, 8, v39
	s_delay_alu instid0(VALU_DEP_2) | instskip(NEXT) | instid1(VALU_DEP_1)
	v_clz_i32_u32_e32 v57, v56
	v_min_u32_e32 v57, 32, v57
	s_delay_alu instid0(VALU_DEP_1) | instskip(SKIP_1) | instid1(VALU_DEP_2)
	v_subrev_nc_u32_e32 v58, 28, v57
	v_sub_nc_u32_e32 v57, 29, v57
	v_lshlrev_b32_e32 v47, v58, v47
	v_bfe_u32 v58, v39, 19, 4
	s_delay_alu instid0(VALU_DEP_2) | instskip(NEXT) | instid1(VALU_DEP_2)
	v_and_b32_e32 v47, 7, v47
	v_cmp_eq_u32_e32 vcc_lo, 0, v58
	v_cndmask_b32_e32 v57, v58, v57, vcc_lo
	s_delay_alu instid0(VALU_DEP_3) | instskip(SKIP_1) | instid1(VALU_DEP_3)
	v_cndmask_b32_e32 v47, v56, v47, vcc_lo
	v_and_b32_e32 v56, 0x80000000, v59
	v_lshl_add_u32 v57, v57, 23, 0x3b800000
	s_delay_alu instid0(VALU_DEP_3) | instskip(NEXT) | instid1(VALU_DEP_1)
	v_lshlrev_b32_e32 v47, 20, v47
	v_or3_b32 v56, v56, v57, v47
.LBB6_6344:                             ;   in Loop: Header=BB6_6112 Depth=3
	s_or_b32 exec_lo, exec_lo, s16
	s_delay_alu instid0(VALU_DEP_1) | instskip(NEXT) | instid1(VALU_DEP_1)
	v_add_f32_e32 v47, v46, v56
	v_and_b32_e32 v46, 0x7f800000, v47
	s_delay_alu instid0(VALU_DEP_1)
	v_cmp_ne_u32_e32 vcc_lo, 0x7f800000, v46
	v_mov_b32_e32 v46, 0x80
	s_and_saveexec_b32 s16, vcc_lo
	s_cbranch_execz .LBB6_6352
; %bb.6345:                             ;   in Loop: Header=BB6_6112 Depth=3
	v_mov_b32_e32 v46, 0
	s_mov_b32 s17, exec_lo
	v_cmpx_ne_u32_e32 0, v47
	s_cbranch_execz .LBB6_6351
; %bb.6346:                             ;   in Loop: Header=BB6_6112 Depth=3
	v_bfe_u32 v46, v47, 23, 8
	s_delay_alu instid0(VALU_DEP_1) | instskip(SKIP_1) | instid1(VALU_DEP_2)
	v_sub_nc_u32_e32 v57, 0x78, v46
	v_cmp_gt_u32_e32 vcc_lo, 0x79, v46
	v_dual_cndmask_b32 v57, 0, v57 :: v_dual_and_b32 v56, 0x7fffff, v47
	s_delay_alu instid0(VALU_DEP_1) | instskip(SKIP_2) | instid1(VALU_DEP_4)
	v_or_b32_e32 v58, 0x800000, v56
	v_cmp_eq_u32_e32 vcc_lo, 0, v46
	v_add_nc_u32_e32 v46, 0xffffff89, v46
	v_cndmask_b32_e64 v57, v57, 0x77, vcc_lo
	s_delay_alu instid0(VALU_DEP_2) | instskip(SKIP_1) | instid1(VALU_DEP_3)
	v_cndmask_b32_e64 v46, v46, 0xffffff8a, vcc_lo
	v_cndmask_b32_e32 v56, v58, v56, vcc_lo
	v_lshl_add_u32 v58, 0x100000, v57, -1
	v_lshlrev_b32_e64 v61, v57, 0x80000
	s_delay_alu instid0(VALU_DEP_3) | instskip(SKIP_1) | instid1(VALU_DEP_4)
	v_lshrrev_b32_e32 v59, v57, v56
	v_add_nc_u32_e32 v57, v57, v46
	v_and_b32_e32 v56, v58, v56
	s_delay_alu instid0(VALU_DEP_3) | instskip(NEXT) | instid1(VALU_DEP_2)
	v_bfe_u32 v60, v59, 20, 1
	v_cmp_eq_u32_e64 s13, v56, v61
	s_delay_alu instid0(VALU_DEP_2) | instskip(NEXT) | instid1(VALU_DEP_1)
	v_add_nc_u32_e32 v58, -1, v60
	v_cndmask_b32_e64 v56, 0, v58, s13
	v_lshrrev_b32_e32 v58, 23, v59
	s_mov_b32 s13, exec_lo
	s_delay_alu instid0(VALU_DEP_2) | instskip(NEXT) | instid1(VALU_DEP_2)
	v_add_nc_u32_e32 v56, v56, v59
	v_xor_b32_e32 v58, 1, v58
	s_delay_alu instid0(VALU_DEP_2) | instskip(NEXT) | instid1(VALU_DEP_1)
	v_and_b32_e32 v46, 0xfffff, v56
	v_add_nc_u32_e32 v56, v46, v59
                                        ; implicit-def: $vgpr46
	s_delay_alu instid0(VALU_DEP_3)
	v_cmpx_ne_u32_e64 v57, v58
	s_xor_b32 s13, exec_lo, s13
; %bb.6347:                             ;   in Loop: Header=BB6_6112 Depth=3
	s_delay_alu instid0(VALU_DEP_2) | instskip(SKIP_2) | instid1(VALU_DEP_2)
	v_cmp_lt_u32_e32 vcc_lo, 0xffffff, v56
	v_sub_nc_u32_e32 v46, v57, v58
	v_cndmask_b32_e64 v57, 0, 1, vcc_lo
	v_add_co_ci_u32_e32 v46, vcc_lo, 0, v46, vcc_lo
	s_delay_alu instid0(VALU_DEP_2)
	v_lshrrev_b32_e32 v56, v57, v56
; %bb.6348:                             ;   in Loop: Header=BB6_6112 Depth=3
	s_and_not1_saveexec_b32 s13, s13
; %bb.6349:                             ;   in Loop: Header=BB6_6112 Depth=3
	s_delay_alu instid0(VALU_DEP_1)
	v_bfe_u32 v46, v56, 23, 1
; %bb.6350:                             ;   in Loop: Header=BB6_6112 Depth=3
	s_or_b32 exec_lo, exec_lo, s13
	v_lshrrev_b32_e32 v56, 20, v56
	s_delay_alu instid0(VALU_DEP_2) | instskip(SKIP_2) | instid1(VALU_DEP_2)
	v_cmp_gt_i32_e32 vcc_lo, 16, v46
	v_min_i32_e32 v57, 15, v46
	v_lshrrev_b32_e32 v47, 24, v47
	v_dual_cndmask_b32 v56, 7, v56 :: v_dual_lshlrev_b32 v57, 3, v57
	s_delay_alu instid0(VALU_DEP_2) | instskip(NEXT) | instid1(VALU_DEP_2)
	v_and_b32_e32 v47, 0x80, v47
	v_or_b32_e32 v46, v46, v56
	v_and_b32_e32 v58, 7, v56
	s_delay_alu instid0(VALU_DEP_2) | instskip(SKIP_1) | instid1(VALU_DEP_1)
	v_cmp_ne_u32_e32 vcc_lo, 0, v46
	v_and_b32_e32 v57, 0xf8, v57
	v_or3_b32 v47, v57, v47, v58
	s_delay_alu instid0(VALU_DEP_1)
	v_cndmask_b32_e32 v46, 0, v47, vcc_lo
.LBB6_6351:                             ;   in Loop: Header=BB6_6112 Depth=3
	s_or_b32 exec_lo, exec_lo, s17
.LBB6_6352:                             ;   in Loop: Header=BB6_6112 Depth=3
	s_delay_alu instid0(SALU_CYCLE_1) | instskip(SKIP_3) | instid1(VALU_DEP_1)
	s_or_b32 exec_lo, exec_lo, s16
	v_lshrrev_b32_e32 v56, 24, v51
	s_mov_b32 s13, 0
	s_mov_b32 s17, exec_lo
                                        ; implicit-def: $sgpr16
	v_cmpx_lt_i16_e32 0x7f, v56
	s_xor_b32 s17, exec_lo, s17
	s_cbranch_execnz .LBB6_7254
; %bb.6353:                             ;   in Loop: Header=BB6_6112 Depth=3
	s_or_saveexec_b32 s17, s17
	v_mov_b32_e32 v47, s16
	s_xor_b32 exec_lo, exec_lo, s17
	s_cbranch_execnz .LBB6_7257
.LBB6_6354:                             ;   in Loop: Header=BB6_6112 Depth=3
	s_or_b32 exec_lo, exec_lo, s17
	s_and_saveexec_b32 s16, s13
	s_cbranch_execz .LBB6_6356
.LBB6_6355:                             ;   in Loop: Header=BB6_6112 Depth=3
	v_bfe_u32 v47, v51, 24, 3
	s_delay_alu instid0(VALU_DEP_1) | instskip(NEXT) | instid1(VALU_DEP_1)
	v_clz_i32_u32_e32 v57, v47
	v_min_u32_e32 v57, 32, v57
	s_delay_alu instid0(VALU_DEP_1) | instskip(SKIP_1) | instid1(VALU_DEP_2)
	v_subrev_nc_u32_e32 v58, 28, v57
	v_sub_nc_u32_e32 v57, 29, v57
	v_lshlrev_b32_e32 v56, v58, v56
	v_bfe_u32 v58, v51, 27, 4
	v_and_b32_e32 v51, 0x80000000, v51
	s_delay_alu instid0(VALU_DEP_2) | instskip(NEXT) | instid1(VALU_DEP_4)
	v_cmp_eq_u32_e32 vcc_lo, 0, v58
	v_dual_cndmask_b32 v57, v58, v57 :: v_dual_and_b32 v56, 7, v56
	s_delay_alu instid0(VALU_DEP_1) | instskip(NEXT) | instid1(VALU_DEP_2)
	v_cndmask_b32_e32 v47, v47, v56, vcc_lo
	v_lshl_add_u32 v56, v57, 23, 0x3b800000
	s_delay_alu instid0(VALU_DEP_2) | instskip(NEXT) | instid1(VALU_DEP_1)
	v_lshlrev_b32_e32 v47, 20, v47
	v_or3_b32 v47, v51, v56, v47
.LBB6_6356:                             ;   in Loop: Header=BB6_6112 Depth=3
	s_or_b32 exec_lo, exec_lo, s16
	v_lshrrev_b32_e32 v51, 24, v39
	s_mov_b32 s13, 0
	s_mov_b32 s17, exec_lo
                                        ; implicit-def: $sgpr16
	s_delay_alu instid0(VALU_DEP_1)
	v_cmpx_lt_i16_e32 0x7f, v51
	s_xor_b32 s17, exec_lo, s17
	s_cbranch_execnz .LBB6_7258
; %bb.6357:                             ;   in Loop: Header=BB6_6112 Depth=3
	s_or_saveexec_b32 s17, s17
	v_mov_b32_e32 v56, s16
	s_xor_b32 exec_lo, exec_lo, s17
	s_cbranch_execnz .LBB6_7261
.LBB6_6358:                             ;   in Loop: Header=BB6_6112 Depth=3
	s_or_b32 exec_lo, exec_lo, s17
	s_and_saveexec_b32 s16, s13
	s_cbranch_execz .LBB6_6360
.LBB6_6359:                             ;   in Loop: Header=BB6_6112 Depth=3
	v_bfe_u32 v56, v39, 24, 3
	s_delay_alu instid0(VALU_DEP_1) | instskip(NEXT) | instid1(VALU_DEP_1)
	v_clz_i32_u32_e32 v57, v56
	v_min_u32_e32 v57, 32, v57
	s_delay_alu instid0(VALU_DEP_1) | instskip(SKIP_1) | instid1(VALU_DEP_2)
	v_subrev_nc_u32_e32 v58, 28, v57
	v_sub_nc_u32_e32 v57, 29, v57
	v_lshlrev_b32_e32 v51, v58, v51
	v_bfe_u32 v58, v39, 27, 4
	v_and_b32_e32 v39, 0x80000000, v39
	s_delay_alu instid0(VALU_DEP_3) | instskip(NEXT) | instid1(VALU_DEP_3)
	v_and_b32_e32 v51, 7, v51
	v_cmp_eq_u32_e32 vcc_lo, 0, v58
	v_cndmask_b32_e32 v57, v58, v57, vcc_lo
	s_delay_alu instid0(VALU_DEP_3) | instskip(NEXT) | instid1(VALU_DEP_2)
	v_cndmask_b32_e32 v51, v56, v51, vcc_lo
	v_lshl_add_u32 v56, v57, 23, 0x3b800000
	s_delay_alu instid0(VALU_DEP_2) | instskip(NEXT) | instid1(VALU_DEP_1)
	v_lshlrev_b32_e32 v51, 20, v51
	v_or3_b32 v56, v39, v56, v51
.LBB6_6360:                             ;   in Loop: Header=BB6_6112 Depth=3
	s_or_b32 exec_lo, exec_lo, s16
	s_delay_alu instid0(VALU_DEP_1) | instskip(NEXT) | instid1(VALU_DEP_1)
	v_add_f32_e32 v51, v47, v56
	v_and_b32_e32 v39, 0x7f800000, v51
	s_delay_alu instid0(VALU_DEP_1)
	v_cmp_ne_u32_e32 vcc_lo, 0x7f800000, v39
	v_mov_b32_e32 v39, 0x8000
	s_and_saveexec_b32 s16, vcc_lo
	s_cbranch_execz .LBB6_6368
; %bb.6361:                             ;   in Loop: Header=BB6_6112 Depth=3
	v_mov_b32_e32 v39, 0
	s_mov_b32 s17, exec_lo
	v_cmpx_ne_u32_e32 0, v51
	s_cbranch_execz .LBB6_6367
; %bb.6362:                             ;   in Loop: Header=BB6_6112 Depth=3
	v_bfe_u32 v39, v51, 23, 8
	s_delay_alu instid0(VALU_DEP_1) | instskip(SKIP_1) | instid1(VALU_DEP_2)
	v_sub_nc_u32_e32 v56, 0x78, v39
	v_cmp_gt_u32_e32 vcc_lo, 0x79, v39
	v_dual_cndmask_b32 v56, 0, v56 :: v_dual_and_b32 v47, 0x7fffff, v51
	s_delay_alu instid0(VALU_DEP_1) | instskip(SKIP_2) | instid1(VALU_DEP_4)
	v_or_b32_e32 v57, 0x800000, v47
	v_cmp_eq_u32_e32 vcc_lo, 0, v39
	v_add_nc_u32_e32 v39, 0xffffff89, v39
	v_cndmask_b32_e64 v56, v56, 0x77, vcc_lo
	s_delay_alu instid0(VALU_DEP_4) | instskip(NEXT) | instid1(VALU_DEP_3)
	v_cndmask_b32_e32 v47, v57, v47, vcc_lo
	v_cndmask_b32_e64 v39, v39, 0xffffff8a, vcc_lo
	s_delay_alu instid0(VALU_DEP_3) | instskip(NEXT) | instid1(VALU_DEP_3)
	v_lshl_add_u32 v57, 0x100000, v56, -1
	v_lshrrev_b32_e32 v58, v56, v47
	v_lshlrev_b32_e64 v60, v56, 0x80000
	s_delay_alu instid0(VALU_DEP_4) | instskip(NEXT) | instid1(VALU_DEP_4)
	v_add_nc_u32_e32 v56, v56, v39
	v_and_b32_e32 v47, v57, v47
	s_delay_alu instid0(VALU_DEP_4) | instskip(NEXT) | instid1(VALU_DEP_2)
	v_bfe_u32 v59, v58, 20, 1
	v_cmp_eq_u32_e64 s13, v47, v60
	s_delay_alu instid0(VALU_DEP_2) | instskip(NEXT) | instid1(VALU_DEP_1)
	v_add_nc_u32_e32 v57, -1, v59
	v_cndmask_b32_e64 v47, 0, v57, s13
	v_lshrrev_b32_e32 v57, 23, v58
	s_mov_b32 s13, exec_lo
	s_delay_alu instid0(VALU_DEP_2) | instskip(NEXT) | instid1(VALU_DEP_2)
	v_add_nc_u32_e32 v47, v47, v58
	v_xor_b32_e32 v57, 1, v57
	s_delay_alu instid0(VALU_DEP_2) | instskip(NEXT) | instid1(VALU_DEP_1)
	v_and_b32_e32 v39, 0xfffff, v47
	v_add_nc_u32_e32 v47, v39, v58
                                        ; implicit-def: $vgpr39
	s_delay_alu instid0(VALU_DEP_3)
	v_cmpx_ne_u32_e64 v56, v57
	s_xor_b32 s13, exec_lo, s13
; %bb.6363:                             ;   in Loop: Header=BB6_6112 Depth=3
	s_delay_alu instid0(VALU_DEP_2) | instskip(SKIP_2) | instid1(VALU_DEP_2)
	v_cmp_lt_u32_e32 vcc_lo, 0xffffff, v47
	v_sub_nc_u32_e32 v39, v56, v57
	v_cndmask_b32_e64 v56, 0, 1, vcc_lo
	v_add_co_ci_u32_e32 v39, vcc_lo, 0, v39, vcc_lo
	s_delay_alu instid0(VALU_DEP_2)
	v_lshrrev_b32_e32 v47, v56, v47
; %bb.6364:                             ;   in Loop: Header=BB6_6112 Depth=3
	s_and_not1_saveexec_b32 s13, s13
; %bb.6365:                             ;   in Loop: Header=BB6_6112 Depth=3
	s_delay_alu instid0(VALU_DEP_1)
	v_bfe_u32 v39, v47, 23, 1
; %bb.6366:                             ;   in Loop: Header=BB6_6112 Depth=3
	s_or_b32 exec_lo, exec_lo, s13
	v_lshrrev_b32_e32 v47, 20, v47
	s_delay_alu instid0(VALU_DEP_2) | instskip(SKIP_2) | instid1(VALU_DEP_2)
	v_cmp_gt_i32_e32 vcc_lo, 16, v39
	v_min_i32_e32 v56, 15, v39
	v_lshrrev_b32_e32 v51, 24, v51
	v_dual_cndmask_b32 v47, 7, v47 :: v_dual_lshlrev_b32 v56, 3, v56
	s_delay_alu instid0(VALU_DEP_2) | instskip(NEXT) | instid1(VALU_DEP_2)
	v_and_b32_e32 v51, 0x80, v51
	v_or_b32_e32 v39, v39, v47
	v_and_b32_e32 v57, 7, v47
	s_delay_alu instid0(VALU_DEP_2) | instskip(SKIP_1) | instid1(VALU_DEP_1)
	v_cmp_ne_u32_e32 vcc_lo, 0, v39
	v_and_b32_e32 v56, 0xf8, v56
	v_or3_b32 v51, v51, v56, v57
	s_delay_alu instid0(VALU_DEP_1) | instskip(NEXT) | instid1(VALU_DEP_1)
	v_lshlrev_b32_e32 v51, 8, v51
	v_cndmask_b32_e32 v39, 0, v51, vcc_lo
.LBB6_6367:                             ;   in Loop: Header=BB6_6112 Depth=3
	s_or_b32 exec_lo, exec_lo, s17
.LBB6_6368:                             ;   in Loop: Header=BB6_6112 Depth=3
	s_delay_alu instid0(SALU_CYCLE_1) | instskip(SKIP_3) | instid1(VALU_DEP_1)
	s_or_b32 exec_lo, exec_lo, s16
	v_and_b32_e32 v47, 0xff, v32
	s_mov_b32 s13, 0
	s_mov_b32 s17, exec_lo
                                        ; implicit-def: $sgpr16
	v_cmpx_lt_i16_e32 0x7f, v47
	s_xor_b32 s17, exec_lo, s17
	s_cbranch_execnz .LBB6_7262
; %bb.6369:                             ;   in Loop: Header=BB6_6112 Depth=3
	s_or_saveexec_b32 s17, s17
	v_mov_b32_e32 v51, s16
	s_xor_b32 exec_lo, exec_lo, s17
	s_cbranch_execnz .LBB6_7265
.LBB6_6370:                             ;   in Loop: Header=BB6_6112 Depth=3
	s_or_b32 exec_lo, exec_lo, s17
	s_and_saveexec_b32 s16, s13
	s_cbranch_execz .LBB6_6372
.LBB6_6371:                             ;   in Loop: Header=BB6_6112 Depth=3
	v_and_b32_e32 v51, 7, v32
	v_bfe_u32 v57, v32, 3, 4
	v_lshlrev_b32_e32 v58, 24, v32
	s_delay_alu instid0(VALU_DEP_3) | instskip(NEXT) | instid1(VALU_DEP_3)
	v_clz_i32_u32_e32 v47, v51
	v_cmp_eq_u32_e32 vcc_lo, 0, v57
	s_delay_alu instid0(VALU_DEP_2) | instskip(NEXT) | instid1(VALU_DEP_1)
	v_min_u32_e32 v47, 32, v47
	v_subrev_nc_u32_e32 v56, 28, v47
	v_sub_nc_u32_e32 v47, 29, v47
	s_delay_alu instid0(VALU_DEP_1) | instskip(NEXT) | instid1(VALU_DEP_1)
	v_dual_cndmask_b32 v47, v57, v47 :: v_dual_lshlrev_b32 v56, v56, v32
	v_and_b32_e32 v56, 7, v56
	s_delay_alu instid0(VALU_DEP_2) | instskip(NEXT) | instid1(VALU_DEP_2)
	v_lshl_add_u32 v47, v47, 23, 0x3b800000
	v_dual_cndmask_b32 v51, v51, v56 :: v_dual_and_b32 v56, 0x80000000, v58
	s_delay_alu instid0(VALU_DEP_1) | instskip(NEXT) | instid1(VALU_DEP_1)
	v_lshlrev_b32_e32 v51, 20, v51
	v_or3_b32 v51, v56, v47, v51
.LBB6_6372:                             ;   in Loop: Header=BB6_6112 Depth=3
	s_or_b32 exec_lo, exec_lo, s16
	s_waitcnt vmcnt(2)
	v_and_b32_e32 v56, 0xff, v24
	s_mov_b32 s13, 0
	s_mov_b32 s17, exec_lo
                                        ; implicit-def: $sgpr16
	s_delay_alu instid0(VALU_DEP_1)
	v_cmpx_lt_i16_e32 0x7f, v56
	s_xor_b32 s17, exec_lo, s17
	s_cbranch_execnz .LBB6_7266
; %bb.6373:                             ;   in Loop: Header=BB6_6112 Depth=3
	s_or_saveexec_b32 s17, s17
	v_mov_b32_e32 v47, s16
	s_xor_b32 exec_lo, exec_lo, s17
	s_cbranch_execnz .LBB6_7269
.LBB6_6374:                             ;   in Loop: Header=BB6_6112 Depth=3
	s_or_b32 exec_lo, exec_lo, s17
	s_and_saveexec_b32 s16, s13
	s_cbranch_execz .LBB6_6376
.LBB6_6375:                             ;   in Loop: Header=BB6_6112 Depth=3
	v_and_b32_e32 v47, 7, v24
	v_bfe_u32 v58, v24, 3, 4
	v_lshlrev_b32_e32 v59, 24, v24
	s_delay_alu instid0(VALU_DEP_3) | instskip(NEXT) | instid1(VALU_DEP_3)
	v_clz_i32_u32_e32 v56, v47
	v_cmp_eq_u32_e32 vcc_lo, 0, v58
	s_delay_alu instid0(VALU_DEP_2) | instskip(NEXT) | instid1(VALU_DEP_1)
	v_min_u32_e32 v56, 32, v56
	v_subrev_nc_u32_e32 v57, 28, v56
	v_sub_nc_u32_e32 v56, 29, v56
	s_delay_alu instid0(VALU_DEP_2) | instskip(NEXT) | instid1(VALU_DEP_1)
	v_lshlrev_b32_e32 v57, v57, v24
	v_dual_cndmask_b32 v56, v58, v56 :: v_dual_and_b32 v57, 7, v57
	s_delay_alu instid0(VALU_DEP_1) | instskip(NEXT) | instid1(VALU_DEP_2)
	v_lshl_add_u32 v56, v56, 23, 0x3b800000
	v_cndmask_b32_e32 v47, v47, v57, vcc_lo
	v_and_b32_e32 v57, 0x80000000, v59
	s_delay_alu instid0(VALU_DEP_2) | instskip(NEXT) | instid1(VALU_DEP_1)
	v_lshlrev_b32_e32 v47, 20, v47
	v_or3_b32 v47, v57, v56, v47
.LBB6_6376:                             ;   in Loop: Header=BB6_6112 Depth=3
	s_or_b32 exec_lo, exec_lo, s16
	s_delay_alu instid0(VALU_DEP_1) | instskip(NEXT) | instid1(VALU_DEP_1)
	v_add_f32_e32 v47, v51, v47
	v_and_b32_e32 v51, 0x7f800000, v47
	s_delay_alu instid0(VALU_DEP_1)
	v_cmp_ne_u32_e32 vcc_lo, 0x7f800000, v51
	v_mov_b32_e32 v51, 0x80
	s_and_saveexec_b32 s16, vcc_lo
	s_cbranch_execz .LBB6_6384
; %bb.6377:                             ;   in Loop: Header=BB6_6112 Depth=3
	v_mov_b32_e32 v51, 0
	s_mov_b32 s17, exec_lo
	v_cmpx_ne_u32_e32 0, v47
	s_cbranch_execz .LBB6_6383
; %bb.6378:                             ;   in Loop: Header=BB6_6112 Depth=3
	v_bfe_u32 v51, v47, 23, 8
	s_delay_alu instid0(VALU_DEP_1) | instskip(SKIP_1) | instid1(VALU_DEP_2)
	v_sub_nc_u32_e32 v57, 0x78, v51
	v_cmp_gt_u32_e32 vcc_lo, 0x79, v51
	v_dual_cndmask_b32 v57, 0, v57 :: v_dual_and_b32 v56, 0x7fffff, v47
	s_delay_alu instid0(VALU_DEP_1) | instskip(SKIP_2) | instid1(VALU_DEP_4)
	v_or_b32_e32 v58, 0x800000, v56
	v_cmp_eq_u32_e32 vcc_lo, 0, v51
	v_add_nc_u32_e32 v51, 0xffffff89, v51
	v_cndmask_b32_e64 v57, v57, 0x77, vcc_lo
	s_delay_alu instid0(VALU_DEP_4) | instskip(NEXT) | instid1(VALU_DEP_3)
	v_cndmask_b32_e32 v56, v58, v56, vcc_lo
	v_cndmask_b32_e64 v51, v51, 0xffffff8a, vcc_lo
	s_delay_alu instid0(VALU_DEP_3) | instskip(NEXT) | instid1(VALU_DEP_3)
	v_lshl_add_u32 v58, 0x100000, v57, -1
	v_lshrrev_b32_e32 v59, v57, v56
	v_lshlrev_b32_e64 v61, v57, 0x80000
	s_delay_alu instid0(VALU_DEP_4) | instskip(NEXT) | instid1(VALU_DEP_4)
	v_add_nc_u32_e32 v57, v57, v51
	v_and_b32_e32 v56, v58, v56
	s_delay_alu instid0(VALU_DEP_4) | instskip(NEXT) | instid1(VALU_DEP_2)
	v_bfe_u32 v60, v59, 20, 1
	v_cmp_eq_u32_e64 s13, v56, v61
	s_delay_alu instid0(VALU_DEP_2) | instskip(NEXT) | instid1(VALU_DEP_1)
	v_add_nc_u32_e32 v58, -1, v60
	v_cndmask_b32_e64 v56, 0, v58, s13
	v_lshrrev_b32_e32 v58, 23, v59
	s_mov_b32 s13, exec_lo
	s_delay_alu instid0(VALU_DEP_2) | instskip(NEXT) | instid1(VALU_DEP_2)
	v_add_nc_u32_e32 v56, v56, v59
	v_xor_b32_e32 v58, 1, v58
	s_delay_alu instid0(VALU_DEP_2) | instskip(NEXT) | instid1(VALU_DEP_1)
	v_and_b32_e32 v51, 0xfffff, v56
	v_add_nc_u32_e32 v56, v51, v59
                                        ; implicit-def: $vgpr51
	s_delay_alu instid0(VALU_DEP_3)
	v_cmpx_ne_u32_e64 v57, v58
	s_xor_b32 s13, exec_lo, s13
; %bb.6379:                             ;   in Loop: Header=BB6_6112 Depth=3
	s_delay_alu instid0(VALU_DEP_2) | instskip(SKIP_2) | instid1(VALU_DEP_2)
	v_cmp_lt_u32_e32 vcc_lo, 0xffffff, v56
	v_sub_nc_u32_e32 v51, v57, v58
	v_cndmask_b32_e64 v57, 0, 1, vcc_lo
	v_add_co_ci_u32_e32 v51, vcc_lo, 0, v51, vcc_lo
	s_delay_alu instid0(VALU_DEP_2)
	v_lshrrev_b32_e32 v56, v57, v56
; %bb.6380:                             ;   in Loop: Header=BB6_6112 Depth=3
	s_and_not1_saveexec_b32 s13, s13
; %bb.6381:                             ;   in Loop: Header=BB6_6112 Depth=3
	s_delay_alu instid0(VALU_DEP_1)
	v_bfe_u32 v51, v56, 23, 1
; %bb.6382:                             ;   in Loop: Header=BB6_6112 Depth=3
	s_or_b32 exec_lo, exec_lo, s13
	v_lshrrev_b32_e32 v56, 20, v56
	s_delay_alu instid0(VALU_DEP_2) | instskip(SKIP_2) | instid1(VALU_DEP_2)
	v_cmp_gt_i32_e32 vcc_lo, 16, v51
	v_lshrrev_b32_e32 v47, 24, v47
	v_min_i32_e32 v57, 15, v51
	v_dual_cndmask_b32 v56, 7, v56 :: v_dual_and_b32 v47, 0x80, v47
	s_delay_alu instid0(VALU_DEP_2) | instskip(NEXT) | instid1(VALU_DEP_2)
	v_lshlrev_b32_e32 v57, 3, v57
	v_or_b32_e32 v51, v51, v56
	s_delay_alu instid0(VALU_DEP_1) | instskip(SKIP_1) | instid1(VALU_DEP_1)
	v_cmp_ne_u32_e32 vcc_lo, 0, v51
	v_and_b32_e32 v58, 7, v56
	v_or3_b32 v47, v57, v47, v58
	s_delay_alu instid0(VALU_DEP_1)
	v_cndmask_b32_e32 v51, 0, v47, vcc_lo
.LBB6_6383:                             ;   in Loop: Header=BB6_6112 Depth=3
	s_or_b32 exec_lo, exec_lo, s17
.LBB6_6384:                             ;   in Loop: Header=BB6_6112 Depth=3
	s_delay_alu instid0(SALU_CYCLE_1) | instskip(SKIP_3) | instid1(VALU_DEP_1)
	s_or_b32 exec_lo, exec_lo, s16
	v_lshrrev_b16 v56, 8, v32
	s_mov_b32 s13, 0
	s_mov_b32 s17, exec_lo
                                        ; implicit-def: $sgpr16
	v_cmpx_lt_i16_e32 0x7f, v56
	s_xor_b32 s17, exec_lo, s17
	s_cbranch_execnz .LBB6_7270
; %bb.6385:                             ;   in Loop: Header=BB6_6112 Depth=3
	s_or_saveexec_b32 s17, s17
	v_mov_b32_e32 v47, s16
	s_xor_b32 exec_lo, exec_lo, s17
	s_cbranch_execnz .LBB6_7273
.LBB6_6386:                             ;   in Loop: Header=BB6_6112 Depth=3
	s_or_b32 exec_lo, exec_lo, s17
	s_and_saveexec_b32 s16, s13
	s_cbranch_execz .LBB6_6388
.LBB6_6387:                             ;   in Loop: Header=BB6_6112 Depth=3
	v_and_b32_e32 v47, 0xffff, v56
	s_delay_alu instid0(VALU_DEP_1) | instskip(NEXT) | instid1(VALU_DEP_1)
	v_and_b32_e32 v57, 7, v47
	v_clz_i32_u32_e32 v58, v57
	s_delay_alu instid0(VALU_DEP_1) | instskip(NEXT) | instid1(VALU_DEP_1)
	v_min_u32_e32 v58, 32, v58
	v_subrev_nc_u32_e32 v59, 28, v58
	v_sub_nc_u32_e32 v58, 29, v58
	s_delay_alu instid0(VALU_DEP_2) | instskip(SKIP_1) | instid1(VALU_DEP_2)
	v_lshlrev_b32_e32 v59, v59, v47
	v_bfe_u32 v47, v47, 3, 4
	v_and_b32_e32 v59, 7, v59
	s_delay_alu instid0(VALU_DEP_2) | instskip(SKIP_1) | instid1(VALU_DEP_1)
	v_cmp_eq_u32_e32 vcc_lo, 0, v47
	v_dual_cndmask_b32 v47, v47, v58 :: v_dual_lshlrev_b32 v56, 24, v56
	v_dual_cndmask_b32 v57, v57, v59 :: v_dual_and_b32 v56, 0x80000000, v56
	s_delay_alu instid0(VALU_DEP_2) | instskip(NEXT) | instid1(VALU_DEP_2)
	v_lshl_add_u32 v47, v47, 23, 0x3b800000
	v_lshlrev_b32_e32 v57, 20, v57
	s_delay_alu instid0(VALU_DEP_1)
	v_or3_b32 v47, v56, v47, v57
.LBB6_6388:                             ;   in Loop: Header=BB6_6112 Depth=3
	s_or_b32 exec_lo, exec_lo, s16
	v_lshrrev_b16 v56, 8, v24
	s_mov_b32 s13, 0
	s_mov_b32 s17, exec_lo
                                        ; implicit-def: $sgpr16
	s_delay_alu instid0(VALU_DEP_1)
	v_cmpx_lt_i16_e32 0x7f, v56
	s_xor_b32 s17, exec_lo, s17
	s_cbranch_execnz .LBB6_7274
; %bb.6389:                             ;   in Loop: Header=BB6_6112 Depth=3
	s_or_saveexec_b32 s17, s17
	v_mov_b32_e32 v57, s16
	s_xor_b32 exec_lo, exec_lo, s17
	s_cbranch_execnz .LBB6_7277
.LBB6_6390:                             ;   in Loop: Header=BB6_6112 Depth=3
	s_or_b32 exec_lo, exec_lo, s17
	s_and_saveexec_b32 s16, s13
	s_cbranch_execz .LBB6_6392
.LBB6_6391:                             ;   in Loop: Header=BB6_6112 Depth=3
	v_and_b32_e32 v57, 0xffff, v56
	v_lshlrev_b32_e32 v56, 24, v56
	s_delay_alu instid0(VALU_DEP_2) | instskip(NEXT) | instid1(VALU_DEP_2)
	v_and_b32_e32 v58, 7, v57
	v_and_b32_e32 v56, 0x80000000, v56
	s_delay_alu instid0(VALU_DEP_2) | instskip(NEXT) | instid1(VALU_DEP_1)
	v_clz_i32_u32_e32 v59, v58
	v_min_u32_e32 v59, 32, v59
	s_delay_alu instid0(VALU_DEP_1) | instskip(SKIP_1) | instid1(VALU_DEP_2)
	v_subrev_nc_u32_e32 v60, 28, v59
	v_sub_nc_u32_e32 v59, 29, v59
	v_lshlrev_b32_e32 v60, v60, v57
	v_bfe_u32 v57, v57, 3, 4
	s_delay_alu instid0(VALU_DEP_2) | instskip(NEXT) | instid1(VALU_DEP_2)
	v_and_b32_e32 v60, 7, v60
	v_cmp_eq_u32_e32 vcc_lo, 0, v57
	s_delay_alu instid0(VALU_DEP_2) | instskip(NEXT) | instid1(VALU_DEP_1)
	v_dual_cndmask_b32 v57, v57, v59 :: v_dual_cndmask_b32 v58, v58, v60
	v_lshl_add_u32 v57, v57, 23, 0x3b800000
	s_delay_alu instid0(VALU_DEP_2) | instskip(NEXT) | instid1(VALU_DEP_1)
	v_lshlrev_b32_e32 v58, 20, v58
	v_or3_b32 v57, v56, v57, v58
.LBB6_6392:                             ;   in Loop: Header=BB6_6112 Depth=3
	s_or_b32 exec_lo, exec_lo, s16
	s_delay_alu instid0(VALU_DEP_1) | instskip(NEXT) | instid1(VALU_DEP_1)
	v_add_f32_e32 v56, v47, v57
	v_and_b32_e32 v47, 0x7f800000, v56
	s_delay_alu instid0(VALU_DEP_1)
	v_cmp_ne_u32_e32 vcc_lo, 0x7f800000, v47
	v_mov_b32_e32 v47, 0x80
	s_and_saveexec_b32 s16, vcc_lo
	s_cbranch_execz .LBB6_6400
; %bb.6393:                             ;   in Loop: Header=BB6_6112 Depth=3
	v_mov_b32_e32 v47, 0
	s_mov_b32 s17, exec_lo
	v_cmpx_ne_u32_e32 0, v56
	s_cbranch_execz .LBB6_6399
; %bb.6394:                             ;   in Loop: Header=BB6_6112 Depth=3
	v_bfe_u32 v47, v56, 23, 8
	s_delay_alu instid0(VALU_DEP_1) | instskip(SKIP_1) | instid1(VALU_DEP_2)
	v_sub_nc_u32_e32 v58, 0x78, v47
	v_cmp_gt_u32_e32 vcc_lo, 0x79, v47
	v_dual_cndmask_b32 v58, 0, v58 :: v_dual_and_b32 v57, 0x7fffff, v56
	s_delay_alu instid0(VALU_DEP_1) | instskip(SKIP_2) | instid1(VALU_DEP_4)
	v_or_b32_e32 v59, 0x800000, v57
	v_cmp_eq_u32_e32 vcc_lo, 0, v47
	v_add_nc_u32_e32 v47, 0xffffff89, v47
	v_cndmask_b32_e64 v58, v58, 0x77, vcc_lo
	s_delay_alu instid0(VALU_DEP_2) | instskip(SKIP_1) | instid1(VALU_DEP_3)
	v_cndmask_b32_e64 v47, v47, 0xffffff8a, vcc_lo
	v_cndmask_b32_e32 v57, v59, v57, vcc_lo
	v_lshl_add_u32 v59, 0x100000, v58, -1
	v_lshlrev_b32_e64 v62, v58, 0x80000
	s_delay_alu instid0(VALU_DEP_3) | instskip(SKIP_1) | instid1(VALU_DEP_4)
	v_lshrrev_b32_e32 v60, v58, v57
	v_add_nc_u32_e32 v58, v58, v47
	v_and_b32_e32 v57, v59, v57
	s_delay_alu instid0(VALU_DEP_3) | instskip(NEXT) | instid1(VALU_DEP_2)
	v_bfe_u32 v61, v60, 20, 1
	v_cmp_eq_u32_e64 s13, v57, v62
	s_delay_alu instid0(VALU_DEP_2) | instskip(NEXT) | instid1(VALU_DEP_1)
	v_add_nc_u32_e32 v59, -1, v61
	v_cndmask_b32_e64 v57, 0, v59, s13
	v_lshrrev_b32_e32 v59, 23, v60
	s_mov_b32 s13, exec_lo
	s_delay_alu instid0(VALU_DEP_2) | instskip(NEXT) | instid1(VALU_DEP_2)
	v_add_nc_u32_e32 v57, v57, v60
	v_xor_b32_e32 v59, 1, v59
	s_delay_alu instid0(VALU_DEP_2) | instskip(NEXT) | instid1(VALU_DEP_1)
	v_and_b32_e32 v47, 0xfffff, v57
	v_add_nc_u32_e32 v57, v47, v60
                                        ; implicit-def: $vgpr47
	s_delay_alu instid0(VALU_DEP_3)
	v_cmpx_ne_u32_e64 v58, v59
	s_xor_b32 s13, exec_lo, s13
; %bb.6395:                             ;   in Loop: Header=BB6_6112 Depth=3
	s_delay_alu instid0(VALU_DEP_2) | instskip(SKIP_2) | instid1(VALU_DEP_2)
	v_cmp_lt_u32_e32 vcc_lo, 0xffffff, v57
	v_sub_nc_u32_e32 v47, v58, v59
	v_cndmask_b32_e64 v58, 0, 1, vcc_lo
	v_add_co_ci_u32_e32 v47, vcc_lo, 0, v47, vcc_lo
	s_delay_alu instid0(VALU_DEP_2)
	v_lshrrev_b32_e32 v57, v58, v57
; %bb.6396:                             ;   in Loop: Header=BB6_6112 Depth=3
	s_and_not1_saveexec_b32 s13, s13
; %bb.6397:                             ;   in Loop: Header=BB6_6112 Depth=3
	s_delay_alu instid0(VALU_DEP_1)
	v_bfe_u32 v47, v57, 23, 1
; %bb.6398:                             ;   in Loop: Header=BB6_6112 Depth=3
	s_or_b32 exec_lo, exec_lo, s13
	v_lshrrev_b32_e32 v57, 20, v57
	s_delay_alu instid0(VALU_DEP_2) | instskip(SKIP_2) | instid1(VALU_DEP_2)
	v_cmp_gt_i32_e32 vcc_lo, 16, v47
	v_lshrrev_b32_e32 v56, 24, v56
	v_min_i32_e32 v58, 15, v47
	v_dual_cndmask_b32 v57, 7, v57 :: v_dual_and_b32 v56, 0x80, v56
	s_delay_alu instid0(VALU_DEP_1) | instskip(SKIP_1) | instid1(VALU_DEP_2)
	v_or_b32_e32 v47, v47, v57
	v_and_b32_e32 v59, 7, v57
	v_cmp_ne_u32_e32 vcc_lo, 0, v47
	v_lshlrev_b32_e32 v58, 3, v58
	s_delay_alu instid0(VALU_DEP_1) | instskip(NEXT) | instid1(VALU_DEP_1)
	v_or3_b32 v56, v58, v56, v59
	v_cndmask_b32_e32 v47, 0, v56, vcc_lo
.LBB6_6399:                             ;   in Loop: Header=BB6_6112 Depth=3
	s_or_b32 exec_lo, exec_lo, s17
.LBB6_6400:                             ;   in Loop: Header=BB6_6112 Depth=3
	s_delay_alu instid0(SALU_CYCLE_1) | instskip(SKIP_3) | instid1(VALU_DEP_1)
	s_or_b32 exec_lo, exec_lo, s16
	v_lshrrev_b32_e32 v57, 16, v32
	s_mov_b32 s13, 0
	s_mov_b32 s17, exec_lo
                                        ; implicit-def: $sgpr16
	v_and_b32_e32 v58, 0xff, v57
	s_delay_alu instid0(VALU_DEP_1)
	v_cmpx_lt_i16_e32 0x7f, v58
	s_xor_b32 s17, exec_lo, s17
	s_cbranch_execnz .LBB6_7278
; %bb.6401:                             ;   in Loop: Header=BB6_6112 Depth=3
	s_or_saveexec_b32 s17, s17
	v_mov_b32_e32 v56, s16
	s_xor_b32 exec_lo, exec_lo, s17
	s_cbranch_execnz .LBB6_7281
.LBB6_6402:                             ;   in Loop: Header=BB6_6112 Depth=3
	s_or_b32 exec_lo, exec_lo, s17
	s_and_saveexec_b32 s16, s13
	s_cbranch_execz .LBB6_6404
.LBB6_6403:                             ;   in Loop: Header=BB6_6112 Depth=3
	v_bfe_u32 v56, v32, 16, 3
	v_lshlrev_b32_e32 v60, 8, v32
	s_delay_alu instid0(VALU_DEP_2) | instskip(NEXT) | instid1(VALU_DEP_1)
	v_clz_i32_u32_e32 v58, v56
	v_min_u32_e32 v58, 32, v58
	s_delay_alu instid0(VALU_DEP_1) | instskip(SKIP_1) | instid1(VALU_DEP_2)
	v_subrev_nc_u32_e32 v59, 28, v58
	v_sub_nc_u32_e32 v58, 29, v58
	v_lshlrev_b32_e32 v57, v59, v57
	v_bfe_u32 v59, v32, 19, 4
	s_delay_alu instid0(VALU_DEP_1) | instskip(NEXT) | instid1(VALU_DEP_3)
	v_cmp_eq_u32_e32 vcc_lo, 0, v59
	v_dual_cndmask_b32 v58, v59, v58 :: v_dual_and_b32 v57, 7, v57
	s_delay_alu instid0(VALU_DEP_1) | instskip(NEXT) | instid1(VALU_DEP_2)
	v_dual_cndmask_b32 v56, v56, v57 :: v_dual_and_b32 v57, 0x80000000, v60
	v_lshl_add_u32 v58, v58, 23, 0x3b800000
	s_delay_alu instid0(VALU_DEP_2) | instskip(NEXT) | instid1(VALU_DEP_1)
	v_lshlrev_b32_e32 v56, 20, v56
	v_or3_b32 v56, v57, v58, v56
.LBB6_6404:                             ;   in Loop: Header=BB6_6112 Depth=3
	s_or_b32 exec_lo, exec_lo, s16
	v_lshrrev_b32_e32 v57, 16, v24
	s_mov_b32 s13, 0
	s_mov_b32 s17, exec_lo
                                        ; implicit-def: $sgpr16
	s_delay_alu instid0(VALU_DEP_1) | instskip(NEXT) | instid1(VALU_DEP_1)
	v_and_b32_e32 v59, 0xff, v57
	v_cmpx_lt_i16_e32 0x7f, v59
	s_xor_b32 s17, exec_lo, s17
	s_cbranch_execnz .LBB6_7282
; %bb.6405:                             ;   in Loop: Header=BB6_6112 Depth=3
	s_or_saveexec_b32 s17, s17
	v_mov_b32_e32 v58, s16
	s_xor_b32 exec_lo, exec_lo, s17
	s_cbranch_execnz .LBB6_7285
.LBB6_6406:                             ;   in Loop: Header=BB6_6112 Depth=3
	s_or_b32 exec_lo, exec_lo, s17
	s_and_saveexec_b32 s16, s13
	s_cbranch_execz .LBB6_6408
.LBB6_6407:                             ;   in Loop: Header=BB6_6112 Depth=3
	v_bfe_u32 v58, v24, 16, 3
	v_lshlrev_b32_e32 v61, 8, v24
	s_delay_alu instid0(VALU_DEP_2) | instskip(NEXT) | instid1(VALU_DEP_1)
	v_clz_i32_u32_e32 v59, v58
	v_min_u32_e32 v59, 32, v59
	s_delay_alu instid0(VALU_DEP_1) | instskip(SKIP_1) | instid1(VALU_DEP_2)
	v_subrev_nc_u32_e32 v60, 28, v59
	v_sub_nc_u32_e32 v59, 29, v59
	v_lshlrev_b32_e32 v57, v60, v57
	v_bfe_u32 v60, v24, 19, 4
	s_delay_alu instid0(VALU_DEP_2) | instskip(NEXT) | instid1(VALU_DEP_2)
	v_and_b32_e32 v57, 7, v57
	v_cmp_eq_u32_e32 vcc_lo, 0, v60
	v_cndmask_b32_e32 v59, v60, v59, vcc_lo
	s_delay_alu instid0(VALU_DEP_3) | instskip(SKIP_1) | instid1(VALU_DEP_3)
	v_cndmask_b32_e32 v57, v58, v57, vcc_lo
	v_and_b32_e32 v58, 0x80000000, v61
	v_lshl_add_u32 v59, v59, 23, 0x3b800000
	s_delay_alu instid0(VALU_DEP_3) | instskip(NEXT) | instid1(VALU_DEP_1)
	v_lshlrev_b32_e32 v57, 20, v57
	v_or3_b32 v58, v58, v59, v57
.LBB6_6408:                             ;   in Loop: Header=BB6_6112 Depth=3
	s_or_b32 exec_lo, exec_lo, s16
	s_delay_alu instid0(VALU_DEP_1) | instskip(NEXT) | instid1(VALU_DEP_1)
	v_add_f32_e32 v57, v56, v58
	v_and_b32_e32 v56, 0x7f800000, v57
	s_delay_alu instid0(VALU_DEP_1)
	v_cmp_ne_u32_e32 vcc_lo, 0x7f800000, v56
	v_mov_b32_e32 v56, 0x80
	s_and_saveexec_b32 s16, vcc_lo
	s_cbranch_execz .LBB6_6416
; %bb.6409:                             ;   in Loop: Header=BB6_6112 Depth=3
	v_mov_b32_e32 v56, 0
	s_mov_b32 s17, exec_lo
	v_cmpx_ne_u32_e32 0, v57
	s_cbranch_execz .LBB6_6415
; %bb.6410:                             ;   in Loop: Header=BB6_6112 Depth=3
	v_bfe_u32 v56, v57, 23, 8
	s_delay_alu instid0(VALU_DEP_1) | instskip(SKIP_1) | instid1(VALU_DEP_2)
	v_sub_nc_u32_e32 v59, 0x78, v56
	v_cmp_gt_u32_e32 vcc_lo, 0x79, v56
	v_dual_cndmask_b32 v59, 0, v59 :: v_dual_and_b32 v58, 0x7fffff, v57
	s_delay_alu instid0(VALU_DEP_1) | instskip(SKIP_2) | instid1(VALU_DEP_4)
	v_or_b32_e32 v60, 0x800000, v58
	v_cmp_eq_u32_e32 vcc_lo, 0, v56
	v_add_nc_u32_e32 v56, 0xffffff89, v56
	v_cndmask_b32_e64 v59, v59, 0x77, vcc_lo
	s_delay_alu instid0(VALU_DEP_2) | instskip(SKIP_1) | instid1(VALU_DEP_3)
	v_cndmask_b32_e64 v56, v56, 0xffffff8a, vcc_lo
	v_cndmask_b32_e32 v58, v60, v58, vcc_lo
	v_lshl_add_u32 v60, 0x100000, v59, -1
	v_lshlrev_b32_e64 v63, v59, 0x80000
	s_delay_alu instid0(VALU_DEP_3) | instskip(SKIP_1) | instid1(VALU_DEP_4)
	v_lshrrev_b32_e32 v61, v59, v58
	v_add_nc_u32_e32 v59, v59, v56
	v_and_b32_e32 v58, v60, v58
	s_delay_alu instid0(VALU_DEP_3) | instskip(NEXT) | instid1(VALU_DEP_2)
	v_bfe_u32 v62, v61, 20, 1
	v_cmp_eq_u32_e64 s13, v58, v63
	s_delay_alu instid0(VALU_DEP_2) | instskip(NEXT) | instid1(VALU_DEP_1)
	v_add_nc_u32_e32 v60, -1, v62
	v_cndmask_b32_e64 v58, 0, v60, s13
	v_lshrrev_b32_e32 v60, 23, v61
	s_mov_b32 s13, exec_lo
	s_delay_alu instid0(VALU_DEP_2) | instskip(NEXT) | instid1(VALU_DEP_2)
	v_add_nc_u32_e32 v58, v58, v61
	v_xor_b32_e32 v60, 1, v60
	s_delay_alu instid0(VALU_DEP_2) | instskip(NEXT) | instid1(VALU_DEP_1)
	v_and_b32_e32 v56, 0xfffff, v58
	v_add_nc_u32_e32 v58, v56, v61
                                        ; implicit-def: $vgpr56
	s_delay_alu instid0(VALU_DEP_3)
	v_cmpx_ne_u32_e64 v59, v60
	s_xor_b32 s13, exec_lo, s13
; %bb.6411:                             ;   in Loop: Header=BB6_6112 Depth=3
	s_delay_alu instid0(VALU_DEP_2) | instskip(SKIP_2) | instid1(VALU_DEP_2)
	v_cmp_lt_u32_e32 vcc_lo, 0xffffff, v58
	v_sub_nc_u32_e32 v56, v59, v60
	v_cndmask_b32_e64 v59, 0, 1, vcc_lo
	v_add_co_ci_u32_e32 v56, vcc_lo, 0, v56, vcc_lo
	s_delay_alu instid0(VALU_DEP_2)
	v_lshrrev_b32_e32 v58, v59, v58
; %bb.6412:                             ;   in Loop: Header=BB6_6112 Depth=3
	s_and_not1_saveexec_b32 s13, s13
; %bb.6413:                             ;   in Loop: Header=BB6_6112 Depth=3
	s_delay_alu instid0(VALU_DEP_1)
	v_bfe_u32 v56, v58, 23, 1
; %bb.6414:                             ;   in Loop: Header=BB6_6112 Depth=3
	s_or_b32 exec_lo, exec_lo, s13
	v_lshrrev_b32_e32 v58, 20, v58
	s_delay_alu instid0(VALU_DEP_2) | instskip(SKIP_2) | instid1(VALU_DEP_2)
	v_cmp_gt_i32_e32 vcc_lo, 16, v56
	v_lshrrev_b32_e32 v57, 24, v57
	v_min_i32_e32 v59, 15, v56
	v_dual_cndmask_b32 v58, 7, v58 :: v_dual_and_b32 v57, 0x80, v57
	s_delay_alu instid0(VALU_DEP_1) | instskip(SKIP_1) | instid1(VALU_DEP_2)
	v_or_b32_e32 v56, v56, v58
	v_and_b32_e32 v60, 7, v58
	v_cmp_ne_u32_e32 vcc_lo, 0, v56
	v_lshlrev_b32_e32 v59, 3, v59
	s_delay_alu instid0(VALU_DEP_1) | instskip(NEXT) | instid1(VALU_DEP_1)
	v_or3_b32 v57, v59, v57, v60
	v_cndmask_b32_e32 v56, 0, v57, vcc_lo
.LBB6_6415:                             ;   in Loop: Header=BB6_6112 Depth=3
	s_or_b32 exec_lo, exec_lo, s17
.LBB6_6416:                             ;   in Loop: Header=BB6_6112 Depth=3
	s_delay_alu instid0(SALU_CYCLE_1) | instskip(SKIP_3) | instid1(VALU_DEP_1)
	s_or_b32 exec_lo, exec_lo, s16
	v_lshrrev_b32_e32 v58, 24, v32
	s_mov_b32 s13, 0
	s_mov_b32 s17, exec_lo
                                        ; implicit-def: $sgpr16
	v_cmpx_lt_i16_e32 0x7f, v58
	s_xor_b32 s17, exec_lo, s17
	s_cbranch_execnz .LBB6_7286
; %bb.6417:                             ;   in Loop: Header=BB6_6112 Depth=3
	s_or_saveexec_b32 s17, s17
	v_mov_b32_e32 v57, s16
	s_xor_b32 exec_lo, exec_lo, s17
	s_cbranch_execnz .LBB6_7289
.LBB6_6418:                             ;   in Loop: Header=BB6_6112 Depth=3
	s_or_b32 exec_lo, exec_lo, s17
	s_and_saveexec_b32 s16, s13
	s_cbranch_execz .LBB6_6420
.LBB6_6419:                             ;   in Loop: Header=BB6_6112 Depth=3
	v_bfe_u32 v57, v32, 24, 3
	s_delay_alu instid0(VALU_DEP_1) | instskip(NEXT) | instid1(VALU_DEP_1)
	v_clz_i32_u32_e32 v59, v57
	v_min_u32_e32 v59, 32, v59
	s_delay_alu instid0(VALU_DEP_1) | instskip(SKIP_1) | instid1(VALU_DEP_2)
	v_subrev_nc_u32_e32 v60, 28, v59
	v_sub_nc_u32_e32 v59, 29, v59
	v_lshlrev_b32_e32 v58, v60, v58
	v_bfe_u32 v60, v32, 27, 4
	v_and_b32_e32 v32, 0x80000000, v32
	s_delay_alu instid0(VALU_DEP_2) | instskip(NEXT) | instid1(VALU_DEP_4)
	v_cmp_eq_u32_e32 vcc_lo, 0, v60
	v_dual_cndmask_b32 v59, v60, v59 :: v_dual_and_b32 v58, 7, v58
	s_delay_alu instid0(VALU_DEP_1) | instskip(NEXT) | instid1(VALU_DEP_2)
	v_cndmask_b32_e32 v57, v57, v58, vcc_lo
	v_lshl_add_u32 v58, v59, 23, 0x3b800000
	s_delay_alu instid0(VALU_DEP_2) | instskip(NEXT) | instid1(VALU_DEP_1)
	v_lshlrev_b32_e32 v57, 20, v57
	v_or3_b32 v57, v32, v58, v57
.LBB6_6420:                             ;   in Loop: Header=BB6_6112 Depth=3
	s_or_b32 exec_lo, exec_lo, s16
	v_lshrrev_b32_e32 v32, 24, v24
	s_mov_b32 s13, 0
	s_mov_b32 s17, exec_lo
                                        ; implicit-def: $sgpr16
	s_delay_alu instid0(VALU_DEP_1)
	v_cmpx_lt_i16_e32 0x7f, v32
	s_xor_b32 s17, exec_lo, s17
	s_cbranch_execnz .LBB6_7290
; %bb.6421:                             ;   in Loop: Header=BB6_6112 Depth=3
	s_or_saveexec_b32 s17, s17
	v_mov_b32_e32 v58, s16
	s_xor_b32 exec_lo, exec_lo, s17
	s_cbranch_execnz .LBB6_7293
.LBB6_6422:                             ;   in Loop: Header=BB6_6112 Depth=3
	s_or_b32 exec_lo, exec_lo, s17
	s_and_saveexec_b32 s16, s13
	s_cbranch_execz .LBB6_6424
.LBB6_6423:                             ;   in Loop: Header=BB6_6112 Depth=3
	v_bfe_u32 v58, v24, 24, 3
	s_delay_alu instid0(VALU_DEP_1) | instskip(NEXT) | instid1(VALU_DEP_1)
	v_clz_i32_u32_e32 v59, v58
	v_min_u32_e32 v59, 32, v59
	s_delay_alu instid0(VALU_DEP_1) | instskip(SKIP_1) | instid1(VALU_DEP_2)
	v_subrev_nc_u32_e32 v60, 28, v59
	v_sub_nc_u32_e32 v59, 29, v59
	v_lshlrev_b32_e32 v32, v60, v32
	v_bfe_u32 v60, v24, 27, 4
	v_and_b32_e32 v24, 0x80000000, v24
	s_delay_alu instid0(VALU_DEP_2) | instskip(NEXT) | instid1(VALU_DEP_4)
	v_cmp_eq_u32_e32 vcc_lo, 0, v60
	v_dual_cndmask_b32 v59, v60, v59 :: v_dual_and_b32 v32, 7, v32
	s_delay_alu instid0(VALU_DEP_1) | instskip(NEXT) | instid1(VALU_DEP_2)
	v_cndmask_b32_e32 v32, v58, v32, vcc_lo
	v_lshl_add_u32 v58, v59, 23, 0x3b800000
	s_delay_alu instid0(VALU_DEP_2) | instskip(NEXT) | instid1(VALU_DEP_1)
	v_lshlrev_b32_e32 v32, 20, v32
	v_or3_b32 v58, v24, v58, v32
.LBB6_6424:                             ;   in Loop: Header=BB6_6112 Depth=3
	s_or_b32 exec_lo, exec_lo, s16
	s_delay_alu instid0(VALU_DEP_1) | instskip(NEXT) | instid1(VALU_DEP_1)
	v_add_f32_e32 v32, v57, v58
	v_and_b32_e32 v24, 0x7f800000, v32
	s_delay_alu instid0(VALU_DEP_1)
	v_cmp_ne_u32_e32 vcc_lo, 0x7f800000, v24
	v_mov_b32_e32 v24, 0x80
	s_and_saveexec_b32 s16, vcc_lo
	s_cbranch_execz .LBB6_6432
; %bb.6425:                             ;   in Loop: Header=BB6_6112 Depth=3
	v_mov_b32_e32 v24, 0
	s_mov_b32 s17, exec_lo
	v_cmpx_ne_u32_e32 0, v32
	s_cbranch_execz .LBB6_6431
; %bb.6426:                             ;   in Loop: Header=BB6_6112 Depth=3
	v_bfe_u32 v24, v32, 23, 8
	s_delay_alu instid0(VALU_DEP_1) | instskip(SKIP_1) | instid1(VALU_DEP_2)
	v_sub_nc_u32_e32 v58, 0x78, v24
	v_cmp_gt_u32_e32 vcc_lo, 0x79, v24
	v_dual_cndmask_b32 v58, 0, v58 :: v_dual_and_b32 v57, 0x7fffff, v32
	s_delay_alu instid0(VALU_DEP_1) | instskip(SKIP_2) | instid1(VALU_DEP_4)
	v_or_b32_e32 v59, 0x800000, v57
	v_cmp_eq_u32_e32 vcc_lo, 0, v24
	v_add_nc_u32_e32 v24, 0xffffff89, v24
	v_cndmask_b32_e64 v58, v58, 0x77, vcc_lo
	s_delay_alu instid0(VALU_DEP_4) | instskip(NEXT) | instid1(VALU_DEP_3)
	v_cndmask_b32_e32 v57, v59, v57, vcc_lo
	v_cndmask_b32_e64 v24, v24, 0xffffff8a, vcc_lo
	s_delay_alu instid0(VALU_DEP_3) | instskip(NEXT) | instid1(VALU_DEP_3)
	v_lshl_add_u32 v59, 0x100000, v58, -1
	v_lshrrev_b32_e32 v60, v58, v57
	v_lshlrev_b32_e64 v62, v58, 0x80000
	s_delay_alu instid0(VALU_DEP_4) | instskip(NEXT) | instid1(VALU_DEP_4)
	v_add_nc_u32_e32 v58, v58, v24
	v_and_b32_e32 v57, v59, v57
	s_delay_alu instid0(VALU_DEP_4) | instskip(NEXT) | instid1(VALU_DEP_2)
	v_bfe_u32 v61, v60, 20, 1
	v_cmp_eq_u32_e64 s13, v57, v62
	s_delay_alu instid0(VALU_DEP_2) | instskip(NEXT) | instid1(VALU_DEP_1)
	v_add_nc_u32_e32 v59, -1, v61
	v_cndmask_b32_e64 v57, 0, v59, s13
	v_lshrrev_b32_e32 v59, 23, v60
	s_mov_b32 s13, exec_lo
	s_delay_alu instid0(VALU_DEP_2) | instskip(NEXT) | instid1(VALU_DEP_2)
	v_add_nc_u32_e32 v57, v57, v60
	v_xor_b32_e32 v59, 1, v59
	s_delay_alu instid0(VALU_DEP_2) | instskip(NEXT) | instid1(VALU_DEP_1)
	v_and_b32_e32 v24, 0xfffff, v57
	v_add_nc_u32_e32 v57, v24, v60
                                        ; implicit-def: $vgpr24
	s_delay_alu instid0(VALU_DEP_3)
	v_cmpx_ne_u32_e64 v58, v59
	s_xor_b32 s13, exec_lo, s13
; %bb.6427:                             ;   in Loop: Header=BB6_6112 Depth=3
	s_delay_alu instid0(VALU_DEP_2) | instskip(SKIP_2) | instid1(VALU_DEP_2)
	v_cmp_lt_u32_e32 vcc_lo, 0xffffff, v57
	v_sub_nc_u32_e32 v24, v58, v59
	v_cndmask_b32_e64 v58, 0, 1, vcc_lo
	v_add_co_ci_u32_e32 v24, vcc_lo, 0, v24, vcc_lo
	s_delay_alu instid0(VALU_DEP_2)
	v_lshrrev_b32_e32 v57, v58, v57
; %bb.6428:                             ;   in Loop: Header=BB6_6112 Depth=3
	s_and_not1_saveexec_b32 s13, s13
; %bb.6429:                             ;   in Loop: Header=BB6_6112 Depth=3
	s_delay_alu instid0(VALU_DEP_1)
	v_bfe_u32 v24, v57, 23, 1
; %bb.6430:                             ;   in Loop: Header=BB6_6112 Depth=3
	s_or_b32 exec_lo, exec_lo, s13
	v_lshrrev_b32_e32 v57, 20, v57
	s_delay_alu instid0(VALU_DEP_2) | instskip(SKIP_2) | instid1(VALU_DEP_2)
	v_cmp_gt_i32_e32 vcc_lo, 16, v24
	v_lshrrev_b32_e32 v32, 24, v32
	v_min_i32_e32 v58, 15, v24
	v_dual_cndmask_b32 v57, 7, v57 :: v_dual_and_b32 v32, 0x80, v32
	s_delay_alu instid0(VALU_DEP_2) | instskip(NEXT) | instid1(VALU_DEP_2)
	v_lshlrev_b32_e32 v58, 3, v58
	v_or_b32_e32 v24, v24, v57
	s_delay_alu instid0(VALU_DEP_1) | instskip(SKIP_1) | instid1(VALU_DEP_1)
	v_cmp_ne_u32_e32 vcc_lo, 0, v24
	v_and_b32_e32 v59, 7, v57
	v_or3_b32 v32, v58, v32, v59
	s_delay_alu instid0(VALU_DEP_1)
	v_cndmask_b32_e32 v24, 0, v32, vcc_lo
.LBB6_6431:                             ;   in Loop: Header=BB6_6112 Depth=3
	s_or_b32 exec_lo, exec_lo, s17
.LBB6_6432:                             ;   in Loop: Header=BB6_6112 Depth=3
	s_delay_alu instid0(SALU_CYCLE_1) | instskip(SKIP_3) | instid1(VALU_DEP_1)
	s_or_b32 exec_lo, exec_lo, s16
	v_and_b32_e32 v57, 0xff, v33
	s_mov_b32 s13, 0
	s_mov_b32 s17, exec_lo
                                        ; implicit-def: $sgpr16
	v_cmpx_lt_i16_e32 0x7f, v57
	s_xor_b32 s17, exec_lo, s17
	s_cbranch_execnz .LBB6_7294
; %bb.6433:                             ;   in Loop: Header=BB6_6112 Depth=3
	s_or_saveexec_b32 s17, s17
	v_mov_b32_e32 v32, s16
	s_xor_b32 exec_lo, exec_lo, s17
	s_cbranch_execnz .LBB6_7297
.LBB6_6434:                             ;   in Loop: Header=BB6_6112 Depth=3
	s_or_b32 exec_lo, exec_lo, s17
	s_and_saveexec_b32 s16, s13
	s_cbranch_execz .LBB6_6436
.LBB6_6435:                             ;   in Loop: Header=BB6_6112 Depth=3
	v_and_b32_e32 v32, 7, v33
	v_bfe_u32 v59, v33, 3, 4
	v_lshlrev_b32_e32 v60, 24, v33
	s_delay_alu instid0(VALU_DEP_3) | instskip(NEXT) | instid1(VALU_DEP_3)
	v_clz_i32_u32_e32 v57, v32
	v_cmp_eq_u32_e32 vcc_lo, 0, v59
	s_delay_alu instid0(VALU_DEP_2) | instskip(NEXT) | instid1(VALU_DEP_1)
	v_min_u32_e32 v57, 32, v57
	v_subrev_nc_u32_e32 v58, 28, v57
	v_sub_nc_u32_e32 v57, 29, v57
	s_delay_alu instid0(VALU_DEP_2) | instskip(NEXT) | instid1(VALU_DEP_1)
	v_lshlrev_b32_e32 v58, v58, v33
	v_dual_cndmask_b32 v57, v59, v57 :: v_dual_and_b32 v58, 7, v58
	s_delay_alu instid0(VALU_DEP_1) | instskip(NEXT) | instid1(VALU_DEP_2)
	v_lshl_add_u32 v57, v57, 23, 0x3b800000
	v_cndmask_b32_e32 v32, v32, v58, vcc_lo
	v_and_b32_e32 v58, 0x80000000, v60
	s_delay_alu instid0(VALU_DEP_2) | instskip(NEXT) | instid1(VALU_DEP_1)
	v_lshlrev_b32_e32 v32, 20, v32
	v_or3_b32 v32, v58, v57, v32
.LBB6_6436:                             ;   in Loop: Header=BB6_6112 Depth=3
	s_or_b32 exec_lo, exec_lo, s16
	v_and_b32_e32 v58, 0xff, v25
	s_mov_b32 s13, 0
	s_mov_b32 s17, exec_lo
                                        ; implicit-def: $sgpr16
	s_delay_alu instid0(VALU_DEP_1)
	v_cmpx_lt_i16_e32 0x7f, v58
	s_xor_b32 s17, exec_lo, s17
	s_cbranch_execnz .LBB6_7298
; %bb.6437:                             ;   in Loop: Header=BB6_6112 Depth=3
	s_or_saveexec_b32 s17, s17
	v_mov_b32_e32 v57, s16
	s_xor_b32 exec_lo, exec_lo, s17
	s_cbranch_execnz .LBB6_7301
.LBB6_6438:                             ;   in Loop: Header=BB6_6112 Depth=3
	s_or_b32 exec_lo, exec_lo, s17
	s_and_saveexec_b32 s16, s13
	s_cbranch_execz .LBB6_6440
.LBB6_6439:                             ;   in Loop: Header=BB6_6112 Depth=3
	v_bfe_u32 v60, v25, 3, 4
	v_lshlrev_b32_e32 v61, 24, v25
	s_delay_alu instid0(VALU_DEP_2) | instskip(SKIP_1) | instid1(VALU_DEP_1)
	v_cmp_eq_u32_e32 vcc_lo, 0, v60
	v_and_b32_e32 v57, 7, v25
	v_clz_i32_u32_e32 v58, v57
	s_delay_alu instid0(VALU_DEP_1) | instskip(NEXT) | instid1(VALU_DEP_1)
	v_min_u32_e32 v58, 32, v58
	v_subrev_nc_u32_e32 v59, 28, v58
	v_sub_nc_u32_e32 v58, 29, v58
	s_delay_alu instid0(VALU_DEP_1) | instskip(NEXT) | instid1(VALU_DEP_1)
	v_dual_cndmask_b32 v58, v60, v58 :: v_dual_lshlrev_b32 v59, v59, v25
	v_and_b32_e32 v59, 7, v59
	s_delay_alu instid0(VALU_DEP_2) | instskip(NEXT) | instid1(VALU_DEP_2)
	v_lshl_add_u32 v58, v58, 23, 0x3b800000
	v_cndmask_b32_e32 v57, v57, v59, vcc_lo
	v_and_b32_e32 v59, 0x80000000, v61
	s_delay_alu instid0(VALU_DEP_2) | instskip(NEXT) | instid1(VALU_DEP_1)
	v_lshlrev_b32_e32 v57, 20, v57
	v_or3_b32 v57, v59, v58, v57
.LBB6_6440:                             ;   in Loop: Header=BB6_6112 Depth=3
	s_or_b32 exec_lo, exec_lo, s16
	s_delay_alu instid0(VALU_DEP_1) | instskip(NEXT) | instid1(VALU_DEP_1)
	v_add_f32_e32 v57, v32, v57
	v_and_b32_e32 v32, 0x7f800000, v57
	s_delay_alu instid0(VALU_DEP_1)
	v_cmp_ne_u32_e32 vcc_lo, 0x7f800000, v32
	v_mov_b32_e32 v32, 0x80
	s_and_saveexec_b32 s16, vcc_lo
	s_cbranch_execz .LBB6_6448
; %bb.6441:                             ;   in Loop: Header=BB6_6112 Depth=3
	v_mov_b32_e32 v32, 0
	s_mov_b32 s17, exec_lo
	v_cmpx_ne_u32_e32 0, v57
	s_cbranch_execz .LBB6_6447
; %bb.6442:                             ;   in Loop: Header=BB6_6112 Depth=3
	v_bfe_u32 v32, v57, 23, 8
	s_delay_alu instid0(VALU_DEP_1) | instskip(SKIP_1) | instid1(VALU_DEP_2)
	v_sub_nc_u32_e32 v59, 0x78, v32
	v_cmp_gt_u32_e32 vcc_lo, 0x79, v32
	v_dual_cndmask_b32 v59, 0, v59 :: v_dual_and_b32 v58, 0x7fffff, v57
	s_delay_alu instid0(VALU_DEP_1) | instskip(SKIP_2) | instid1(VALU_DEP_4)
	v_or_b32_e32 v60, 0x800000, v58
	v_cmp_eq_u32_e32 vcc_lo, 0, v32
	v_add_nc_u32_e32 v32, 0xffffff89, v32
	v_cndmask_b32_e64 v59, v59, 0x77, vcc_lo
	s_delay_alu instid0(VALU_DEP_2) | instskip(SKIP_1) | instid1(VALU_DEP_3)
	v_cndmask_b32_e64 v32, v32, 0xffffff8a, vcc_lo
	v_cndmask_b32_e32 v58, v60, v58, vcc_lo
	v_lshl_add_u32 v60, 0x100000, v59, -1
	v_lshlrev_b32_e64 v63, v59, 0x80000
	s_delay_alu instid0(VALU_DEP_3) | instskip(SKIP_1) | instid1(VALU_DEP_4)
	v_lshrrev_b32_e32 v61, v59, v58
	v_add_nc_u32_e32 v59, v59, v32
	v_and_b32_e32 v58, v60, v58
	s_delay_alu instid0(VALU_DEP_3) | instskip(NEXT) | instid1(VALU_DEP_2)
	v_bfe_u32 v62, v61, 20, 1
	v_cmp_eq_u32_e64 s13, v58, v63
	s_delay_alu instid0(VALU_DEP_2) | instskip(NEXT) | instid1(VALU_DEP_1)
	v_add_nc_u32_e32 v60, -1, v62
	v_cndmask_b32_e64 v58, 0, v60, s13
	v_lshrrev_b32_e32 v60, 23, v61
	s_mov_b32 s13, exec_lo
	s_delay_alu instid0(VALU_DEP_2) | instskip(NEXT) | instid1(VALU_DEP_2)
	v_add_nc_u32_e32 v58, v58, v61
	v_xor_b32_e32 v60, 1, v60
	s_delay_alu instid0(VALU_DEP_2) | instskip(NEXT) | instid1(VALU_DEP_1)
	v_and_b32_e32 v32, 0xfffff, v58
	v_add_nc_u32_e32 v58, v32, v61
                                        ; implicit-def: $vgpr32
	s_delay_alu instid0(VALU_DEP_3)
	v_cmpx_ne_u32_e64 v59, v60
	s_xor_b32 s13, exec_lo, s13
; %bb.6443:                             ;   in Loop: Header=BB6_6112 Depth=3
	s_delay_alu instid0(VALU_DEP_2) | instskip(SKIP_2) | instid1(VALU_DEP_2)
	v_cmp_lt_u32_e32 vcc_lo, 0xffffff, v58
	v_sub_nc_u32_e32 v32, v59, v60
	v_cndmask_b32_e64 v59, 0, 1, vcc_lo
	v_add_co_ci_u32_e32 v32, vcc_lo, 0, v32, vcc_lo
	s_delay_alu instid0(VALU_DEP_2)
	v_lshrrev_b32_e32 v58, v59, v58
; %bb.6444:                             ;   in Loop: Header=BB6_6112 Depth=3
	s_and_not1_saveexec_b32 s13, s13
; %bb.6445:                             ;   in Loop: Header=BB6_6112 Depth=3
	s_delay_alu instid0(VALU_DEP_1)
	v_bfe_u32 v32, v58, 23, 1
; %bb.6446:                             ;   in Loop: Header=BB6_6112 Depth=3
	s_or_b32 exec_lo, exec_lo, s13
	v_lshrrev_b32_e32 v58, 20, v58
	s_delay_alu instid0(VALU_DEP_2) | instskip(SKIP_2) | instid1(VALU_DEP_2)
	v_cmp_gt_i32_e32 vcc_lo, 16, v32
	v_lshrrev_b32_e32 v57, 24, v57
	v_min_i32_e32 v59, 15, v32
	v_dual_cndmask_b32 v58, 7, v58 :: v_dual_and_b32 v57, 0x80, v57
	s_delay_alu instid0(VALU_DEP_1) | instskip(SKIP_1) | instid1(VALU_DEP_2)
	v_or_b32_e32 v32, v32, v58
	v_and_b32_e32 v60, 7, v58
	v_cmp_ne_u32_e32 vcc_lo, 0, v32
	v_lshlrev_b32_e32 v59, 3, v59
	s_delay_alu instid0(VALU_DEP_1) | instskip(NEXT) | instid1(VALU_DEP_1)
	v_or3_b32 v57, v59, v57, v60
	v_cndmask_b32_e32 v32, 0, v57, vcc_lo
.LBB6_6447:                             ;   in Loop: Header=BB6_6112 Depth=3
	s_or_b32 exec_lo, exec_lo, s17
.LBB6_6448:                             ;   in Loop: Header=BB6_6112 Depth=3
	s_delay_alu instid0(SALU_CYCLE_1) | instskip(SKIP_3) | instid1(VALU_DEP_1)
	s_or_b32 exec_lo, exec_lo, s16
	v_lshrrev_b16 v58, 8, v33
	s_mov_b32 s13, 0
	s_mov_b32 s17, exec_lo
                                        ; implicit-def: $sgpr16
	v_cmpx_lt_i16_e32 0x7f, v58
	s_xor_b32 s17, exec_lo, s17
	s_cbranch_execnz .LBB6_7302
; %bb.6449:                             ;   in Loop: Header=BB6_6112 Depth=3
	s_or_saveexec_b32 s17, s17
	v_mov_b32_e32 v57, s16
	s_xor_b32 exec_lo, exec_lo, s17
	s_cbranch_execnz .LBB6_7305
.LBB6_6450:                             ;   in Loop: Header=BB6_6112 Depth=3
	s_or_b32 exec_lo, exec_lo, s17
	s_and_saveexec_b32 s16, s13
	s_cbranch_execz .LBB6_6452
.LBB6_6451:                             ;   in Loop: Header=BB6_6112 Depth=3
	v_and_b32_e32 v57, 0xffff, v58
	s_delay_alu instid0(VALU_DEP_1) | instskip(NEXT) | instid1(VALU_DEP_1)
	v_and_b32_e32 v59, 7, v57
	v_clz_i32_u32_e32 v60, v59
	s_delay_alu instid0(VALU_DEP_1) | instskip(NEXT) | instid1(VALU_DEP_1)
	v_min_u32_e32 v60, 32, v60
	v_subrev_nc_u32_e32 v61, 28, v60
	v_sub_nc_u32_e32 v60, 29, v60
	s_delay_alu instid0(VALU_DEP_2) | instskip(SKIP_1) | instid1(VALU_DEP_2)
	v_lshlrev_b32_e32 v61, v61, v57
	v_bfe_u32 v57, v57, 3, 4
	v_and_b32_e32 v61, 7, v61
	s_delay_alu instid0(VALU_DEP_2) | instskip(SKIP_1) | instid1(VALU_DEP_1)
	v_cmp_eq_u32_e32 vcc_lo, 0, v57
	v_dual_cndmask_b32 v57, v57, v60 :: v_dual_lshlrev_b32 v58, 24, v58
	v_dual_cndmask_b32 v59, v59, v61 :: v_dual_and_b32 v58, 0x80000000, v58
	s_delay_alu instid0(VALU_DEP_2) | instskip(NEXT) | instid1(VALU_DEP_2)
	v_lshl_add_u32 v57, v57, 23, 0x3b800000
	v_lshlrev_b32_e32 v59, 20, v59
	s_delay_alu instid0(VALU_DEP_1)
	v_or3_b32 v57, v58, v57, v59
.LBB6_6452:                             ;   in Loop: Header=BB6_6112 Depth=3
	s_or_b32 exec_lo, exec_lo, s16
	v_lshrrev_b16 v58, 8, v25
	s_mov_b32 s13, 0
	s_mov_b32 s17, exec_lo
                                        ; implicit-def: $sgpr16
	s_delay_alu instid0(VALU_DEP_1)
	v_cmpx_lt_i16_e32 0x7f, v58
	s_xor_b32 s17, exec_lo, s17
	s_cbranch_execnz .LBB6_7306
; %bb.6453:                             ;   in Loop: Header=BB6_6112 Depth=3
	s_or_saveexec_b32 s17, s17
	v_mov_b32_e32 v59, s16
	s_xor_b32 exec_lo, exec_lo, s17
	s_cbranch_execnz .LBB6_7309
.LBB6_6454:                             ;   in Loop: Header=BB6_6112 Depth=3
	s_or_b32 exec_lo, exec_lo, s17
	s_and_saveexec_b32 s16, s13
	s_cbranch_execz .LBB6_6456
.LBB6_6455:                             ;   in Loop: Header=BB6_6112 Depth=3
	v_and_b32_e32 v59, 0xffff, v58
	v_lshlrev_b32_e32 v58, 24, v58
	s_delay_alu instid0(VALU_DEP_2) | instskip(NEXT) | instid1(VALU_DEP_2)
	v_and_b32_e32 v60, 7, v59
	v_and_b32_e32 v58, 0x80000000, v58
	s_delay_alu instid0(VALU_DEP_2) | instskip(NEXT) | instid1(VALU_DEP_1)
	v_clz_i32_u32_e32 v61, v60
	v_min_u32_e32 v61, 32, v61
	s_delay_alu instid0(VALU_DEP_1) | instskip(SKIP_1) | instid1(VALU_DEP_2)
	v_subrev_nc_u32_e32 v62, 28, v61
	v_sub_nc_u32_e32 v61, 29, v61
	v_lshlrev_b32_e32 v62, v62, v59
	v_bfe_u32 v59, v59, 3, 4
	s_delay_alu instid0(VALU_DEP_2) | instskip(NEXT) | instid1(VALU_DEP_2)
	v_and_b32_e32 v62, 7, v62
	v_cmp_eq_u32_e32 vcc_lo, 0, v59
	s_delay_alu instid0(VALU_DEP_2) | instskip(NEXT) | instid1(VALU_DEP_1)
	v_dual_cndmask_b32 v59, v59, v61 :: v_dual_cndmask_b32 v60, v60, v62
	v_lshl_add_u32 v59, v59, 23, 0x3b800000
	s_delay_alu instid0(VALU_DEP_2) | instskip(NEXT) | instid1(VALU_DEP_1)
	v_lshlrev_b32_e32 v60, 20, v60
	v_or3_b32 v59, v58, v59, v60
.LBB6_6456:                             ;   in Loop: Header=BB6_6112 Depth=3
	s_or_b32 exec_lo, exec_lo, s16
	s_delay_alu instid0(VALU_DEP_1) | instskip(NEXT) | instid1(VALU_DEP_1)
	v_add_f32_e32 v58, v57, v59
	v_and_b32_e32 v57, 0x7f800000, v58
	s_delay_alu instid0(VALU_DEP_1)
	v_cmp_ne_u32_e32 vcc_lo, 0x7f800000, v57
	v_mov_b32_e32 v57, 0x8000
	s_and_saveexec_b32 s16, vcc_lo
	s_cbranch_execz .LBB6_6464
; %bb.6457:                             ;   in Loop: Header=BB6_6112 Depth=3
	v_mov_b32_e32 v57, 0
	s_mov_b32 s17, exec_lo
	v_cmpx_ne_u32_e32 0, v58
	s_cbranch_execz .LBB6_6463
; %bb.6458:                             ;   in Loop: Header=BB6_6112 Depth=3
	v_bfe_u32 v57, v58, 23, 8
	s_delay_alu instid0(VALU_DEP_1) | instskip(SKIP_1) | instid1(VALU_DEP_2)
	v_sub_nc_u32_e32 v60, 0x78, v57
	v_cmp_gt_u32_e32 vcc_lo, 0x79, v57
	v_dual_cndmask_b32 v60, 0, v60 :: v_dual_and_b32 v59, 0x7fffff, v58
	s_delay_alu instid0(VALU_DEP_1) | instskip(SKIP_2) | instid1(VALU_DEP_4)
	v_or_b32_e32 v61, 0x800000, v59
	v_cmp_eq_u32_e32 vcc_lo, 0, v57
	v_add_nc_u32_e32 v57, 0xffffff89, v57
	v_cndmask_b32_e64 v60, v60, 0x77, vcc_lo
	s_delay_alu instid0(VALU_DEP_2) | instskip(SKIP_1) | instid1(VALU_DEP_3)
	v_cndmask_b32_e64 v57, v57, 0xffffff8a, vcc_lo
	v_cndmask_b32_e32 v59, v61, v59, vcc_lo
	v_lshl_add_u32 v61, 0x100000, v60, -1
	v_lshlrev_b32_e64 v72, v60, 0x80000
	s_delay_alu instid0(VALU_DEP_3) | instskip(SKIP_1) | instid1(VALU_DEP_4)
	v_lshrrev_b32_e32 v62, v60, v59
	v_add_nc_u32_e32 v60, v60, v57
	v_and_b32_e32 v59, v61, v59
	s_delay_alu instid0(VALU_DEP_3) | instskip(NEXT) | instid1(VALU_DEP_2)
	v_bfe_u32 v63, v62, 20, 1
	v_cmp_eq_u32_e64 s13, v59, v72
	s_delay_alu instid0(VALU_DEP_2) | instskip(NEXT) | instid1(VALU_DEP_1)
	v_add_nc_u32_e32 v61, -1, v63
	v_cndmask_b32_e64 v59, 0, v61, s13
	v_lshrrev_b32_e32 v61, 23, v62
	s_mov_b32 s13, exec_lo
	s_delay_alu instid0(VALU_DEP_2) | instskip(NEXT) | instid1(VALU_DEP_2)
	v_add_nc_u32_e32 v59, v59, v62
	v_xor_b32_e32 v61, 1, v61
	s_delay_alu instid0(VALU_DEP_2) | instskip(NEXT) | instid1(VALU_DEP_1)
	v_and_b32_e32 v57, 0xfffff, v59
	v_add_nc_u32_e32 v59, v57, v62
                                        ; implicit-def: $vgpr57
	s_delay_alu instid0(VALU_DEP_3)
	v_cmpx_ne_u32_e64 v60, v61
	s_xor_b32 s13, exec_lo, s13
; %bb.6459:                             ;   in Loop: Header=BB6_6112 Depth=3
	s_delay_alu instid0(VALU_DEP_2) | instskip(SKIP_2) | instid1(VALU_DEP_2)
	v_cmp_lt_u32_e32 vcc_lo, 0xffffff, v59
	v_sub_nc_u32_e32 v57, v60, v61
	v_cndmask_b32_e64 v60, 0, 1, vcc_lo
	v_add_co_ci_u32_e32 v57, vcc_lo, 0, v57, vcc_lo
	s_delay_alu instid0(VALU_DEP_2)
	v_lshrrev_b32_e32 v59, v60, v59
; %bb.6460:                             ;   in Loop: Header=BB6_6112 Depth=3
	s_and_not1_saveexec_b32 s13, s13
; %bb.6461:                             ;   in Loop: Header=BB6_6112 Depth=3
	s_delay_alu instid0(VALU_DEP_1)
	v_bfe_u32 v57, v59, 23, 1
; %bb.6462:                             ;   in Loop: Header=BB6_6112 Depth=3
	s_or_b32 exec_lo, exec_lo, s13
	v_lshrrev_b32_e32 v59, 20, v59
	s_delay_alu instid0(VALU_DEP_2) | instskip(SKIP_2) | instid1(VALU_DEP_2)
	v_cmp_gt_i32_e32 vcc_lo, 16, v57
	v_min_i32_e32 v60, 15, v57
	v_lshrrev_b32_e32 v58, 24, v58
	v_dual_cndmask_b32 v59, 7, v59 :: v_dual_lshlrev_b32 v60, 3, v60
	s_delay_alu instid0(VALU_DEP_2) | instskip(NEXT) | instid1(VALU_DEP_2)
	v_and_b32_e32 v58, 0x80, v58
	v_or_b32_e32 v57, v57, v59
	v_and_b32_e32 v61, 7, v59
	s_delay_alu instid0(VALU_DEP_2) | instskip(SKIP_1) | instid1(VALU_DEP_1)
	v_cmp_ne_u32_e32 vcc_lo, 0, v57
	v_and_b32_e32 v60, 0xf8, v60
	v_or3_b32 v58, v58, v60, v61
	s_delay_alu instid0(VALU_DEP_1) | instskip(NEXT) | instid1(VALU_DEP_1)
	v_lshlrev_b32_e32 v58, 8, v58
	v_cndmask_b32_e32 v57, 0, v58, vcc_lo
.LBB6_6463:                             ;   in Loop: Header=BB6_6112 Depth=3
	s_or_b32 exec_lo, exec_lo, s17
.LBB6_6464:                             ;   in Loop: Header=BB6_6112 Depth=3
	s_delay_alu instid0(SALU_CYCLE_1) | instskip(SKIP_3) | instid1(VALU_DEP_1)
	s_or_b32 exec_lo, exec_lo, s16
	v_lshrrev_b32_e32 v59, 16, v33
	s_mov_b32 s13, 0
	s_mov_b32 s17, exec_lo
                                        ; implicit-def: $sgpr16
	v_and_b32_e32 v60, 0xff, v59
	s_delay_alu instid0(VALU_DEP_1)
	v_cmpx_lt_i16_e32 0x7f, v60
	s_xor_b32 s17, exec_lo, s17
	s_cbranch_execnz .LBB6_7310
; %bb.6465:                             ;   in Loop: Header=BB6_6112 Depth=3
	s_or_saveexec_b32 s17, s17
	v_mov_b32_e32 v58, s16
	s_xor_b32 exec_lo, exec_lo, s17
	s_cbranch_execnz .LBB6_7313
.LBB6_6466:                             ;   in Loop: Header=BB6_6112 Depth=3
	s_or_b32 exec_lo, exec_lo, s17
	s_and_saveexec_b32 s16, s13
	s_cbranch_execz .LBB6_6468
.LBB6_6467:                             ;   in Loop: Header=BB6_6112 Depth=3
	v_bfe_u32 v58, v33, 16, 3
	v_lshlrev_b32_e32 v62, 8, v33
	s_delay_alu instid0(VALU_DEP_2) | instskip(NEXT) | instid1(VALU_DEP_1)
	v_clz_i32_u32_e32 v60, v58
	v_min_u32_e32 v60, 32, v60
	s_delay_alu instid0(VALU_DEP_1) | instskip(SKIP_1) | instid1(VALU_DEP_2)
	v_subrev_nc_u32_e32 v61, 28, v60
	v_sub_nc_u32_e32 v60, 29, v60
	v_lshlrev_b32_e32 v59, v61, v59
	v_bfe_u32 v61, v33, 19, 4
	s_delay_alu instid0(VALU_DEP_1) | instskip(NEXT) | instid1(VALU_DEP_3)
	v_cmp_eq_u32_e32 vcc_lo, 0, v61
	v_dual_cndmask_b32 v60, v61, v60 :: v_dual_and_b32 v59, 7, v59
	s_delay_alu instid0(VALU_DEP_1) | instskip(NEXT) | instid1(VALU_DEP_2)
	v_dual_cndmask_b32 v58, v58, v59 :: v_dual_and_b32 v59, 0x80000000, v62
	v_lshl_add_u32 v60, v60, 23, 0x3b800000
	s_delay_alu instid0(VALU_DEP_2) | instskip(NEXT) | instid1(VALU_DEP_1)
	v_lshlrev_b32_e32 v58, 20, v58
	v_or3_b32 v58, v59, v60, v58
.LBB6_6468:                             ;   in Loop: Header=BB6_6112 Depth=3
	s_or_b32 exec_lo, exec_lo, s16
	v_lshrrev_b32_e32 v59, 16, v25
	s_mov_b32 s13, 0
	s_mov_b32 s17, exec_lo
                                        ; implicit-def: $sgpr16
	s_delay_alu instid0(VALU_DEP_1) | instskip(NEXT) | instid1(VALU_DEP_1)
	v_and_b32_e32 v61, 0xff, v59
	v_cmpx_lt_i16_e32 0x7f, v61
	s_xor_b32 s17, exec_lo, s17
	s_cbranch_execnz .LBB6_7314
; %bb.6469:                             ;   in Loop: Header=BB6_6112 Depth=3
	s_or_saveexec_b32 s17, s17
	v_mov_b32_e32 v60, s16
	s_xor_b32 exec_lo, exec_lo, s17
	s_cbranch_execnz .LBB6_7317
.LBB6_6470:                             ;   in Loop: Header=BB6_6112 Depth=3
	s_or_b32 exec_lo, exec_lo, s17
	s_and_saveexec_b32 s16, s13
	s_cbranch_execz .LBB6_6472
.LBB6_6471:                             ;   in Loop: Header=BB6_6112 Depth=3
	v_bfe_u32 v60, v25, 16, 3
	v_lshlrev_b32_e32 v63, 8, v25
	s_delay_alu instid0(VALU_DEP_2) | instskip(NEXT) | instid1(VALU_DEP_1)
	v_clz_i32_u32_e32 v61, v60
	v_min_u32_e32 v61, 32, v61
	s_delay_alu instid0(VALU_DEP_1) | instskip(SKIP_1) | instid1(VALU_DEP_2)
	v_subrev_nc_u32_e32 v62, 28, v61
	v_sub_nc_u32_e32 v61, 29, v61
	v_lshlrev_b32_e32 v59, v62, v59
	v_bfe_u32 v62, v25, 19, 4
	s_delay_alu instid0(VALU_DEP_2) | instskip(NEXT) | instid1(VALU_DEP_2)
	v_and_b32_e32 v59, 7, v59
	v_cmp_eq_u32_e32 vcc_lo, 0, v62
	v_cndmask_b32_e32 v61, v62, v61, vcc_lo
	s_delay_alu instid0(VALU_DEP_3) | instskip(SKIP_1) | instid1(VALU_DEP_3)
	v_cndmask_b32_e32 v59, v60, v59, vcc_lo
	v_and_b32_e32 v60, 0x80000000, v63
	v_lshl_add_u32 v61, v61, 23, 0x3b800000
	s_delay_alu instid0(VALU_DEP_3) | instskip(NEXT) | instid1(VALU_DEP_1)
	v_lshlrev_b32_e32 v59, 20, v59
	v_or3_b32 v60, v60, v61, v59
.LBB6_6472:                             ;   in Loop: Header=BB6_6112 Depth=3
	s_or_b32 exec_lo, exec_lo, s16
	s_delay_alu instid0(VALU_DEP_1) | instskip(NEXT) | instid1(VALU_DEP_1)
	v_add_f32_e32 v59, v58, v60
	v_and_b32_e32 v58, 0x7f800000, v59
	s_delay_alu instid0(VALU_DEP_1)
	v_cmp_ne_u32_e32 vcc_lo, 0x7f800000, v58
	v_mov_b32_e32 v58, 0x80
	s_and_saveexec_b32 s16, vcc_lo
	s_cbranch_execz .LBB6_6480
; %bb.6473:                             ;   in Loop: Header=BB6_6112 Depth=3
	v_mov_b32_e32 v58, 0
	s_mov_b32 s17, exec_lo
	v_cmpx_ne_u32_e32 0, v59
	s_cbranch_execz .LBB6_6479
; %bb.6474:                             ;   in Loop: Header=BB6_6112 Depth=3
	v_bfe_u32 v58, v59, 23, 8
	s_delay_alu instid0(VALU_DEP_1) | instskip(SKIP_1) | instid1(VALU_DEP_2)
	v_sub_nc_u32_e32 v61, 0x78, v58
	v_cmp_gt_u32_e32 vcc_lo, 0x79, v58
	v_dual_cndmask_b32 v61, 0, v61 :: v_dual_and_b32 v60, 0x7fffff, v59
	s_delay_alu instid0(VALU_DEP_1) | instskip(SKIP_2) | instid1(VALU_DEP_4)
	v_or_b32_e32 v62, 0x800000, v60
	v_cmp_eq_u32_e32 vcc_lo, 0, v58
	v_add_nc_u32_e32 v58, 0xffffff89, v58
	v_cndmask_b32_e64 v61, v61, 0x77, vcc_lo
	s_delay_alu instid0(VALU_DEP_2) | instskip(SKIP_1) | instid1(VALU_DEP_3)
	v_cndmask_b32_e64 v58, v58, 0xffffff8a, vcc_lo
	v_cndmask_b32_e32 v60, v62, v60, vcc_lo
	v_lshl_add_u32 v62, 0x100000, v61, -1
	v_lshlrev_b32_e64 v73, v61, 0x80000
	s_delay_alu instid0(VALU_DEP_3) | instskip(SKIP_1) | instid1(VALU_DEP_4)
	v_lshrrev_b32_e32 v63, v61, v60
	v_add_nc_u32_e32 v61, v61, v58
	v_and_b32_e32 v60, v62, v60
	s_delay_alu instid0(VALU_DEP_3) | instskip(NEXT) | instid1(VALU_DEP_2)
	v_bfe_u32 v72, v63, 20, 1
	v_cmp_eq_u32_e64 s13, v60, v73
	s_delay_alu instid0(VALU_DEP_2) | instskip(NEXT) | instid1(VALU_DEP_1)
	v_add_nc_u32_e32 v62, -1, v72
	v_cndmask_b32_e64 v60, 0, v62, s13
	v_lshrrev_b32_e32 v62, 23, v63
	s_mov_b32 s13, exec_lo
	s_delay_alu instid0(VALU_DEP_2) | instskip(NEXT) | instid1(VALU_DEP_2)
	v_add_nc_u32_e32 v60, v60, v63
	v_xor_b32_e32 v62, 1, v62
	s_delay_alu instid0(VALU_DEP_2) | instskip(NEXT) | instid1(VALU_DEP_1)
	v_and_b32_e32 v58, 0xfffff, v60
	v_add_nc_u32_e32 v60, v58, v63
                                        ; implicit-def: $vgpr58
	s_delay_alu instid0(VALU_DEP_3)
	v_cmpx_ne_u32_e64 v61, v62
	s_xor_b32 s13, exec_lo, s13
; %bb.6475:                             ;   in Loop: Header=BB6_6112 Depth=3
	s_delay_alu instid0(VALU_DEP_2) | instskip(SKIP_2) | instid1(VALU_DEP_2)
	v_cmp_lt_u32_e32 vcc_lo, 0xffffff, v60
	v_sub_nc_u32_e32 v58, v61, v62
	v_cndmask_b32_e64 v61, 0, 1, vcc_lo
	v_add_co_ci_u32_e32 v58, vcc_lo, 0, v58, vcc_lo
	s_delay_alu instid0(VALU_DEP_2)
	v_lshrrev_b32_e32 v60, v61, v60
; %bb.6476:                             ;   in Loop: Header=BB6_6112 Depth=3
	s_and_not1_saveexec_b32 s13, s13
; %bb.6477:                             ;   in Loop: Header=BB6_6112 Depth=3
	s_delay_alu instid0(VALU_DEP_1)
	v_bfe_u32 v58, v60, 23, 1
; %bb.6478:                             ;   in Loop: Header=BB6_6112 Depth=3
	s_or_b32 exec_lo, exec_lo, s13
	v_lshrrev_b32_e32 v60, 20, v60
	s_delay_alu instid0(VALU_DEP_2) | instskip(SKIP_2) | instid1(VALU_DEP_2)
	v_cmp_gt_i32_e32 vcc_lo, 16, v58
	v_min_i32_e32 v61, 15, v58
	v_lshrrev_b32_e32 v59, 24, v59
	v_dual_cndmask_b32 v60, 7, v60 :: v_dual_lshlrev_b32 v61, 3, v61
	s_delay_alu instid0(VALU_DEP_2) | instskip(NEXT) | instid1(VALU_DEP_2)
	v_and_b32_e32 v59, 0x80, v59
	v_or_b32_e32 v58, v58, v60
	v_and_b32_e32 v62, 7, v60
	s_delay_alu instid0(VALU_DEP_2) | instskip(SKIP_1) | instid1(VALU_DEP_1)
	v_cmp_ne_u32_e32 vcc_lo, 0, v58
	v_and_b32_e32 v61, 0xf8, v61
	v_or3_b32 v59, v61, v59, v62
	s_delay_alu instid0(VALU_DEP_1)
	v_cndmask_b32_e32 v58, 0, v59, vcc_lo
.LBB6_6479:                             ;   in Loop: Header=BB6_6112 Depth=3
	s_or_b32 exec_lo, exec_lo, s17
.LBB6_6480:                             ;   in Loop: Header=BB6_6112 Depth=3
	s_delay_alu instid0(SALU_CYCLE_1) | instskip(SKIP_3) | instid1(VALU_DEP_1)
	s_or_b32 exec_lo, exec_lo, s16
	v_lshrrev_b32_e32 v60, 24, v33
	s_mov_b32 s13, 0
	s_mov_b32 s17, exec_lo
                                        ; implicit-def: $sgpr16
	v_cmpx_lt_i16_e32 0x7f, v60
	s_xor_b32 s17, exec_lo, s17
	s_cbranch_execnz .LBB6_7318
; %bb.6481:                             ;   in Loop: Header=BB6_6112 Depth=3
	s_or_saveexec_b32 s17, s17
	v_mov_b32_e32 v59, s16
	s_xor_b32 exec_lo, exec_lo, s17
	s_cbranch_execnz .LBB6_7321
.LBB6_6482:                             ;   in Loop: Header=BB6_6112 Depth=3
	s_or_b32 exec_lo, exec_lo, s17
	s_and_saveexec_b32 s16, s13
	s_cbranch_execz .LBB6_6484
.LBB6_6483:                             ;   in Loop: Header=BB6_6112 Depth=3
	v_bfe_u32 v59, v33, 24, 3
	s_delay_alu instid0(VALU_DEP_1) | instskip(NEXT) | instid1(VALU_DEP_1)
	v_clz_i32_u32_e32 v61, v59
	v_min_u32_e32 v61, 32, v61
	s_delay_alu instid0(VALU_DEP_1) | instskip(SKIP_1) | instid1(VALU_DEP_2)
	v_subrev_nc_u32_e32 v62, 28, v61
	v_sub_nc_u32_e32 v61, 29, v61
	v_lshlrev_b32_e32 v60, v62, v60
	v_bfe_u32 v62, v33, 27, 4
	v_and_b32_e32 v33, 0x80000000, v33
	s_delay_alu instid0(VALU_DEP_2) | instskip(NEXT) | instid1(VALU_DEP_4)
	v_cmp_eq_u32_e32 vcc_lo, 0, v62
	v_dual_cndmask_b32 v61, v62, v61 :: v_dual_and_b32 v60, 7, v60
	s_delay_alu instid0(VALU_DEP_1) | instskip(NEXT) | instid1(VALU_DEP_2)
	v_cndmask_b32_e32 v59, v59, v60, vcc_lo
	v_lshl_add_u32 v60, v61, 23, 0x3b800000
	s_delay_alu instid0(VALU_DEP_2) | instskip(NEXT) | instid1(VALU_DEP_1)
	v_lshlrev_b32_e32 v59, 20, v59
	v_or3_b32 v59, v33, v60, v59
.LBB6_6484:                             ;   in Loop: Header=BB6_6112 Depth=3
	s_or_b32 exec_lo, exec_lo, s16
	v_lshrrev_b32_e32 v33, 24, v25
	s_mov_b32 s13, 0
	s_mov_b32 s17, exec_lo
                                        ; implicit-def: $sgpr16
	s_delay_alu instid0(VALU_DEP_1)
	v_cmpx_lt_i16_e32 0x7f, v33
	s_xor_b32 s17, exec_lo, s17
	s_cbranch_execnz .LBB6_7322
; %bb.6485:                             ;   in Loop: Header=BB6_6112 Depth=3
	s_or_saveexec_b32 s17, s17
	v_mov_b32_e32 v60, s16
	s_xor_b32 exec_lo, exec_lo, s17
	s_cbranch_execnz .LBB6_7325
.LBB6_6486:                             ;   in Loop: Header=BB6_6112 Depth=3
	s_or_b32 exec_lo, exec_lo, s17
	s_and_saveexec_b32 s16, s13
	s_cbranch_execz .LBB6_6488
.LBB6_6487:                             ;   in Loop: Header=BB6_6112 Depth=3
	v_bfe_u32 v60, v25, 24, 3
	s_delay_alu instid0(VALU_DEP_1) | instskip(NEXT) | instid1(VALU_DEP_1)
	v_clz_i32_u32_e32 v61, v60
	v_min_u32_e32 v61, 32, v61
	s_delay_alu instid0(VALU_DEP_1) | instskip(SKIP_1) | instid1(VALU_DEP_2)
	v_subrev_nc_u32_e32 v62, 28, v61
	v_sub_nc_u32_e32 v61, 29, v61
	v_lshlrev_b32_e32 v33, v62, v33
	v_bfe_u32 v62, v25, 27, 4
	v_and_b32_e32 v25, 0x80000000, v25
	s_delay_alu instid0(VALU_DEP_3) | instskip(NEXT) | instid1(VALU_DEP_3)
	v_and_b32_e32 v33, 7, v33
	v_cmp_eq_u32_e32 vcc_lo, 0, v62
	v_cndmask_b32_e32 v61, v62, v61, vcc_lo
	s_delay_alu instid0(VALU_DEP_3) | instskip(NEXT) | instid1(VALU_DEP_2)
	v_cndmask_b32_e32 v33, v60, v33, vcc_lo
	v_lshl_add_u32 v60, v61, 23, 0x3b800000
	s_delay_alu instid0(VALU_DEP_2) | instskip(NEXT) | instid1(VALU_DEP_1)
	v_lshlrev_b32_e32 v33, 20, v33
	v_or3_b32 v60, v25, v60, v33
.LBB6_6488:                             ;   in Loop: Header=BB6_6112 Depth=3
	s_or_b32 exec_lo, exec_lo, s16
	s_delay_alu instid0(VALU_DEP_1) | instskip(NEXT) | instid1(VALU_DEP_1)
	v_add_f32_e32 v33, v59, v60
	v_and_b32_e32 v25, 0x7f800000, v33
	s_delay_alu instid0(VALU_DEP_1)
	v_cmp_ne_u32_e32 vcc_lo, 0x7f800000, v25
	v_mov_b32_e32 v25, 0x8000
	s_and_saveexec_b32 s16, vcc_lo
	s_cbranch_execz .LBB6_6496
; %bb.6489:                             ;   in Loop: Header=BB6_6112 Depth=3
	v_mov_b32_e32 v25, 0
	s_mov_b32 s17, exec_lo
	v_cmpx_ne_u32_e32 0, v33
	s_cbranch_execz .LBB6_6495
; %bb.6490:                             ;   in Loop: Header=BB6_6112 Depth=3
	v_bfe_u32 v25, v33, 23, 8
	s_delay_alu instid0(VALU_DEP_1) | instskip(SKIP_1) | instid1(VALU_DEP_2)
	v_sub_nc_u32_e32 v60, 0x78, v25
	v_cmp_gt_u32_e32 vcc_lo, 0x79, v25
	v_dual_cndmask_b32 v60, 0, v60 :: v_dual_and_b32 v59, 0x7fffff, v33
	s_delay_alu instid0(VALU_DEP_1) | instskip(SKIP_2) | instid1(VALU_DEP_4)
	v_or_b32_e32 v61, 0x800000, v59
	v_cmp_eq_u32_e32 vcc_lo, 0, v25
	v_add_nc_u32_e32 v25, 0xffffff89, v25
	v_cndmask_b32_e64 v60, v60, 0x77, vcc_lo
	s_delay_alu instid0(VALU_DEP_2) | instskip(SKIP_1) | instid1(VALU_DEP_3)
	v_cndmask_b32_e64 v25, v25, 0xffffff8a, vcc_lo
	v_cndmask_b32_e32 v59, v61, v59, vcc_lo
	v_lshl_add_u32 v61, 0x100000, v60, -1
	v_lshlrev_b32_e64 v72, v60, 0x80000
	s_delay_alu instid0(VALU_DEP_3) | instskip(SKIP_1) | instid1(VALU_DEP_4)
	v_lshrrev_b32_e32 v62, v60, v59
	v_add_nc_u32_e32 v60, v60, v25
	v_and_b32_e32 v59, v61, v59
	s_delay_alu instid0(VALU_DEP_3) | instskip(NEXT) | instid1(VALU_DEP_2)
	v_bfe_u32 v63, v62, 20, 1
	v_cmp_eq_u32_e64 s13, v59, v72
	s_delay_alu instid0(VALU_DEP_2) | instskip(NEXT) | instid1(VALU_DEP_1)
	v_add_nc_u32_e32 v61, -1, v63
	v_cndmask_b32_e64 v59, 0, v61, s13
	v_lshrrev_b32_e32 v61, 23, v62
	s_mov_b32 s13, exec_lo
	s_delay_alu instid0(VALU_DEP_2) | instskip(NEXT) | instid1(VALU_DEP_2)
	v_add_nc_u32_e32 v59, v59, v62
	v_xor_b32_e32 v61, 1, v61
	s_delay_alu instid0(VALU_DEP_2) | instskip(NEXT) | instid1(VALU_DEP_1)
	v_and_b32_e32 v25, 0xfffff, v59
	v_add_nc_u32_e32 v59, v25, v62
                                        ; implicit-def: $vgpr25
	s_delay_alu instid0(VALU_DEP_3)
	v_cmpx_ne_u32_e64 v60, v61
	s_xor_b32 s13, exec_lo, s13
; %bb.6491:                             ;   in Loop: Header=BB6_6112 Depth=3
	s_delay_alu instid0(VALU_DEP_2) | instskip(SKIP_2) | instid1(VALU_DEP_2)
	v_cmp_lt_u32_e32 vcc_lo, 0xffffff, v59
	v_sub_nc_u32_e32 v25, v60, v61
	v_cndmask_b32_e64 v60, 0, 1, vcc_lo
	v_add_co_ci_u32_e32 v25, vcc_lo, 0, v25, vcc_lo
	s_delay_alu instid0(VALU_DEP_2)
	v_lshrrev_b32_e32 v59, v60, v59
; %bb.6492:                             ;   in Loop: Header=BB6_6112 Depth=3
	s_and_not1_saveexec_b32 s13, s13
; %bb.6493:                             ;   in Loop: Header=BB6_6112 Depth=3
	s_delay_alu instid0(VALU_DEP_1)
	v_bfe_u32 v25, v59, 23, 1
; %bb.6494:                             ;   in Loop: Header=BB6_6112 Depth=3
	s_or_b32 exec_lo, exec_lo, s13
	v_lshrrev_b32_e32 v59, 20, v59
	s_delay_alu instid0(VALU_DEP_2) | instskip(SKIP_2) | instid1(VALU_DEP_2)
	v_cmp_gt_i32_e32 vcc_lo, 16, v25
	v_min_i32_e32 v60, 15, v25
	v_lshrrev_b32_e32 v33, 24, v33
	v_dual_cndmask_b32 v59, 7, v59 :: v_dual_lshlrev_b32 v60, 3, v60
	s_delay_alu instid0(VALU_DEP_2) | instskip(NEXT) | instid1(VALU_DEP_2)
	v_and_b32_e32 v33, 0x80, v33
	v_or_b32_e32 v25, v25, v59
	v_and_b32_e32 v61, 7, v59
	s_delay_alu instid0(VALU_DEP_2) | instskip(SKIP_1) | instid1(VALU_DEP_1)
	v_cmp_ne_u32_e32 vcc_lo, 0, v25
	v_and_b32_e32 v60, 0xf8, v60
	v_or3_b32 v33, v33, v60, v61
	s_delay_alu instid0(VALU_DEP_1) | instskip(NEXT) | instid1(VALU_DEP_1)
	v_lshlrev_b32_e32 v33, 8, v33
	v_cndmask_b32_e32 v25, 0, v33, vcc_lo
.LBB6_6495:                             ;   in Loop: Header=BB6_6112 Depth=3
	s_or_b32 exec_lo, exec_lo, s17
.LBB6_6496:                             ;   in Loop: Header=BB6_6112 Depth=3
	s_delay_alu instid0(SALU_CYCLE_1) | instskip(SKIP_3) | instid1(VALU_DEP_1)
	s_or_b32 exec_lo, exec_lo, s16
	v_and_b32_e32 v59, 0xff, v34
	s_mov_b32 s13, 0
	s_mov_b32 s17, exec_lo
                                        ; implicit-def: $sgpr16
	v_cmpx_lt_i16_e32 0x7f, v59
	s_xor_b32 s17, exec_lo, s17
	s_cbranch_execnz .LBB6_7326
; %bb.6497:                             ;   in Loop: Header=BB6_6112 Depth=3
	s_or_saveexec_b32 s17, s17
	v_mov_b32_e32 v33, s16
	s_xor_b32 exec_lo, exec_lo, s17
	s_cbranch_execnz .LBB6_7329
.LBB6_6498:                             ;   in Loop: Header=BB6_6112 Depth=3
	s_or_b32 exec_lo, exec_lo, s17
	s_and_saveexec_b32 s16, s13
	s_cbranch_execz .LBB6_6500
.LBB6_6499:                             ;   in Loop: Header=BB6_6112 Depth=3
	v_and_b32_e32 v33, 7, v34
	v_bfe_u32 v61, v34, 3, 4
	s_delay_alu instid0(VALU_DEP_2) | instskip(NEXT) | instid1(VALU_DEP_2)
	v_clz_i32_u32_e32 v59, v33
	v_cmp_eq_u32_e32 vcc_lo, 0, v61
	s_delay_alu instid0(VALU_DEP_2) | instskip(NEXT) | instid1(VALU_DEP_1)
	v_min_u32_e32 v59, 32, v59
	v_subrev_nc_u32_e32 v60, 28, v59
	v_sub_nc_u32_e32 v59, 29, v59
	s_delay_alu instid0(VALU_DEP_1) | instskip(NEXT) | instid1(VALU_DEP_1)
	v_dual_cndmask_b32 v59, v61, v59 :: v_dual_lshlrev_b32 v60, v60, v34
	v_and_b32_e32 v60, 7, v60
	v_lshlrev_b32_e32 v62, 24, v34
	s_delay_alu instid0(VALU_DEP_3) | instskip(NEXT) | instid1(VALU_DEP_2)
	v_lshl_add_u32 v59, v59, 23, 0x3b800000
	v_dual_cndmask_b32 v33, v33, v60 :: v_dual_and_b32 v60, 0x80000000, v62
	s_delay_alu instid0(VALU_DEP_1) | instskip(NEXT) | instid1(VALU_DEP_1)
	v_lshlrev_b32_e32 v33, 20, v33
	v_or3_b32 v33, v60, v59, v33
.LBB6_6500:                             ;   in Loop: Header=BB6_6112 Depth=3
	s_or_b32 exec_lo, exec_lo, s16
	v_and_b32_e32 v60, 0xff, v26
	s_mov_b32 s13, 0
	s_mov_b32 s17, exec_lo
                                        ; implicit-def: $sgpr16
	s_delay_alu instid0(VALU_DEP_1)
	v_cmpx_lt_i16_e32 0x7f, v60
	s_xor_b32 s17, exec_lo, s17
	s_cbranch_execnz .LBB6_7330
; %bb.6501:                             ;   in Loop: Header=BB6_6112 Depth=3
	s_or_saveexec_b32 s17, s17
	v_mov_b32_e32 v59, s16
	s_xor_b32 exec_lo, exec_lo, s17
	s_cbranch_execnz .LBB6_7333
.LBB6_6502:                             ;   in Loop: Header=BB6_6112 Depth=3
	s_or_b32 exec_lo, exec_lo, s17
	s_and_saveexec_b32 s16, s13
	s_cbranch_execz .LBB6_6504
.LBB6_6503:                             ;   in Loop: Header=BB6_6112 Depth=3
	v_bfe_u32 v62, v26, 3, 4
	v_lshlrev_b32_e32 v63, 24, v26
	s_delay_alu instid0(VALU_DEP_2) | instskip(SKIP_1) | instid1(VALU_DEP_1)
	v_cmp_eq_u32_e32 vcc_lo, 0, v62
	v_and_b32_e32 v59, 7, v26
	v_clz_i32_u32_e32 v60, v59
	s_delay_alu instid0(VALU_DEP_1) | instskip(NEXT) | instid1(VALU_DEP_1)
	v_min_u32_e32 v60, 32, v60
	v_subrev_nc_u32_e32 v61, 28, v60
	v_sub_nc_u32_e32 v60, 29, v60
	s_delay_alu instid0(VALU_DEP_1) | instskip(NEXT) | instid1(VALU_DEP_1)
	v_dual_cndmask_b32 v60, v62, v60 :: v_dual_lshlrev_b32 v61, v61, v26
	v_and_b32_e32 v61, 7, v61
	s_delay_alu instid0(VALU_DEP_2) | instskip(NEXT) | instid1(VALU_DEP_2)
	v_lshl_add_u32 v60, v60, 23, 0x3b800000
	v_cndmask_b32_e32 v59, v59, v61, vcc_lo
	v_and_b32_e32 v61, 0x80000000, v63
	s_delay_alu instid0(VALU_DEP_2) | instskip(NEXT) | instid1(VALU_DEP_1)
	v_lshlrev_b32_e32 v59, 20, v59
	v_or3_b32 v59, v61, v60, v59
.LBB6_6504:                             ;   in Loop: Header=BB6_6112 Depth=3
	s_or_b32 exec_lo, exec_lo, s16
	s_delay_alu instid0(VALU_DEP_1) | instskip(NEXT) | instid1(VALU_DEP_1)
	v_add_f32_e32 v59, v33, v59
	v_and_b32_e32 v33, 0x7f800000, v59
	s_delay_alu instid0(VALU_DEP_1)
	v_cmp_ne_u32_e32 vcc_lo, 0x7f800000, v33
	v_mov_b32_e32 v33, 0x80
	s_and_saveexec_b32 s16, vcc_lo
	s_cbranch_execz .LBB6_6512
; %bb.6505:                             ;   in Loop: Header=BB6_6112 Depth=3
	v_mov_b32_e32 v33, 0
	s_mov_b32 s17, exec_lo
	v_cmpx_ne_u32_e32 0, v59
	s_cbranch_execz .LBB6_6511
; %bb.6506:                             ;   in Loop: Header=BB6_6112 Depth=3
	v_bfe_u32 v33, v59, 23, 8
	s_delay_alu instid0(VALU_DEP_1) | instskip(SKIP_1) | instid1(VALU_DEP_2)
	v_sub_nc_u32_e32 v61, 0x78, v33
	v_cmp_gt_u32_e32 vcc_lo, 0x79, v33
	v_dual_cndmask_b32 v61, 0, v61 :: v_dual_and_b32 v60, 0x7fffff, v59
	s_delay_alu instid0(VALU_DEP_1) | instskip(SKIP_2) | instid1(VALU_DEP_4)
	v_or_b32_e32 v62, 0x800000, v60
	v_cmp_eq_u32_e32 vcc_lo, 0, v33
	v_add_nc_u32_e32 v33, 0xffffff89, v33
	v_cndmask_b32_e64 v61, v61, 0x77, vcc_lo
	s_delay_alu instid0(VALU_DEP_4) | instskip(NEXT) | instid1(VALU_DEP_3)
	v_cndmask_b32_e32 v60, v62, v60, vcc_lo
	v_cndmask_b32_e64 v33, v33, 0xffffff8a, vcc_lo
	s_delay_alu instid0(VALU_DEP_3) | instskip(NEXT) | instid1(VALU_DEP_3)
	v_lshl_add_u32 v62, 0x100000, v61, -1
	v_lshrrev_b32_e32 v63, v61, v60
	v_lshlrev_b32_e64 v73, v61, 0x80000
	s_delay_alu instid0(VALU_DEP_4) | instskip(NEXT) | instid1(VALU_DEP_4)
	v_add_nc_u32_e32 v61, v61, v33
	v_and_b32_e32 v60, v62, v60
	s_delay_alu instid0(VALU_DEP_4) | instskip(NEXT) | instid1(VALU_DEP_2)
	v_bfe_u32 v72, v63, 20, 1
	v_cmp_eq_u32_e64 s13, v60, v73
	s_delay_alu instid0(VALU_DEP_2) | instskip(NEXT) | instid1(VALU_DEP_1)
	v_add_nc_u32_e32 v62, -1, v72
	v_cndmask_b32_e64 v60, 0, v62, s13
	v_lshrrev_b32_e32 v62, 23, v63
	s_mov_b32 s13, exec_lo
	s_delay_alu instid0(VALU_DEP_2) | instskip(NEXT) | instid1(VALU_DEP_2)
	v_add_nc_u32_e32 v60, v60, v63
	v_xor_b32_e32 v62, 1, v62
	s_delay_alu instid0(VALU_DEP_2) | instskip(NEXT) | instid1(VALU_DEP_1)
	v_and_b32_e32 v33, 0xfffff, v60
	v_add_nc_u32_e32 v60, v33, v63
                                        ; implicit-def: $vgpr33
	s_delay_alu instid0(VALU_DEP_3)
	v_cmpx_ne_u32_e64 v61, v62
	s_xor_b32 s13, exec_lo, s13
; %bb.6507:                             ;   in Loop: Header=BB6_6112 Depth=3
	s_delay_alu instid0(VALU_DEP_2) | instskip(SKIP_2) | instid1(VALU_DEP_2)
	v_cmp_lt_u32_e32 vcc_lo, 0xffffff, v60
	v_sub_nc_u32_e32 v33, v61, v62
	v_cndmask_b32_e64 v61, 0, 1, vcc_lo
	v_add_co_ci_u32_e32 v33, vcc_lo, 0, v33, vcc_lo
	s_delay_alu instid0(VALU_DEP_2)
	v_lshrrev_b32_e32 v60, v61, v60
; %bb.6508:                             ;   in Loop: Header=BB6_6112 Depth=3
	s_and_not1_saveexec_b32 s13, s13
; %bb.6509:                             ;   in Loop: Header=BB6_6112 Depth=3
	s_delay_alu instid0(VALU_DEP_1)
	v_bfe_u32 v33, v60, 23, 1
; %bb.6510:                             ;   in Loop: Header=BB6_6112 Depth=3
	s_or_b32 exec_lo, exec_lo, s13
	v_lshrrev_b32_e32 v60, 20, v60
	s_delay_alu instid0(VALU_DEP_2) | instskip(SKIP_2) | instid1(VALU_DEP_2)
	v_cmp_gt_i32_e32 vcc_lo, 16, v33
	v_lshrrev_b32_e32 v59, 24, v59
	v_min_i32_e32 v61, 15, v33
	v_dual_cndmask_b32 v60, 7, v60 :: v_dual_and_b32 v59, 0x80, v59
	s_delay_alu instid0(VALU_DEP_2) | instskip(NEXT) | instid1(VALU_DEP_2)
	v_lshlrev_b32_e32 v61, 3, v61
	v_or_b32_e32 v33, v33, v60
	s_delay_alu instid0(VALU_DEP_1) | instskip(SKIP_1) | instid1(VALU_DEP_1)
	v_cmp_ne_u32_e32 vcc_lo, 0, v33
	v_and_b32_e32 v62, 7, v60
	v_or3_b32 v59, v61, v59, v62
	s_delay_alu instid0(VALU_DEP_1)
	v_cndmask_b32_e32 v33, 0, v59, vcc_lo
.LBB6_6511:                             ;   in Loop: Header=BB6_6112 Depth=3
	s_or_b32 exec_lo, exec_lo, s17
.LBB6_6512:                             ;   in Loop: Header=BB6_6112 Depth=3
	s_delay_alu instid0(SALU_CYCLE_1) | instskip(SKIP_3) | instid1(VALU_DEP_1)
	s_or_b32 exec_lo, exec_lo, s16
	v_lshrrev_b16 v60, 8, v34
	s_mov_b32 s13, 0
	s_mov_b32 s17, exec_lo
                                        ; implicit-def: $sgpr16
	v_cmpx_lt_i16_e32 0x7f, v60
	s_xor_b32 s17, exec_lo, s17
	s_cbranch_execnz .LBB6_7334
; %bb.6513:                             ;   in Loop: Header=BB6_6112 Depth=3
	s_or_saveexec_b32 s17, s17
	v_mov_b32_e32 v59, s16
	s_xor_b32 exec_lo, exec_lo, s17
	s_cbranch_execnz .LBB6_7337
.LBB6_6514:                             ;   in Loop: Header=BB6_6112 Depth=3
	s_or_b32 exec_lo, exec_lo, s17
	s_and_saveexec_b32 s16, s13
	s_cbranch_execz .LBB6_6516
.LBB6_6515:                             ;   in Loop: Header=BB6_6112 Depth=3
	v_and_b32_e32 v59, 0xffff, v60
	s_delay_alu instid0(VALU_DEP_1) | instskip(NEXT) | instid1(VALU_DEP_1)
	v_and_b32_e32 v61, 7, v59
	v_clz_i32_u32_e32 v62, v61
	s_delay_alu instid0(VALU_DEP_1) | instskip(NEXT) | instid1(VALU_DEP_1)
	v_min_u32_e32 v62, 32, v62
	v_subrev_nc_u32_e32 v63, 28, v62
	v_sub_nc_u32_e32 v62, 29, v62
	s_delay_alu instid0(VALU_DEP_2) | instskip(SKIP_1) | instid1(VALU_DEP_2)
	v_lshlrev_b32_e32 v63, v63, v59
	v_bfe_u32 v59, v59, 3, 4
	v_and_b32_e32 v63, 7, v63
	s_delay_alu instid0(VALU_DEP_2) | instskip(SKIP_1) | instid1(VALU_DEP_1)
	v_cmp_eq_u32_e32 vcc_lo, 0, v59
	v_dual_cndmask_b32 v59, v59, v62 :: v_dual_lshlrev_b32 v60, 24, v60
	v_dual_cndmask_b32 v61, v61, v63 :: v_dual_and_b32 v60, 0x80000000, v60
	s_delay_alu instid0(VALU_DEP_2) | instskip(NEXT) | instid1(VALU_DEP_2)
	v_lshl_add_u32 v59, v59, 23, 0x3b800000
	v_lshlrev_b32_e32 v61, 20, v61
	s_delay_alu instid0(VALU_DEP_1)
	v_or3_b32 v59, v60, v59, v61
.LBB6_6516:                             ;   in Loop: Header=BB6_6112 Depth=3
	s_or_b32 exec_lo, exec_lo, s16
	v_lshrrev_b16 v60, 8, v26
	s_mov_b32 s13, 0
	s_mov_b32 s17, exec_lo
                                        ; implicit-def: $sgpr16
	s_delay_alu instid0(VALU_DEP_1)
	v_cmpx_lt_i16_e32 0x7f, v60
	s_xor_b32 s17, exec_lo, s17
	s_cbranch_execnz .LBB6_7338
; %bb.6517:                             ;   in Loop: Header=BB6_6112 Depth=3
	s_or_saveexec_b32 s17, s17
	v_mov_b32_e32 v61, s16
	s_xor_b32 exec_lo, exec_lo, s17
	s_cbranch_execnz .LBB6_7341
.LBB6_6518:                             ;   in Loop: Header=BB6_6112 Depth=3
	s_or_b32 exec_lo, exec_lo, s17
	s_and_saveexec_b32 s16, s13
	s_cbranch_execz .LBB6_6520
.LBB6_6519:                             ;   in Loop: Header=BB6_6112 Depth=3
	v_and_b32_e32 v61, 0xffff, v60
	v_lshlrev_b32_e32 v60, 24, v60
	s_delay_alu instid0(VALU_DEP_2) | instskip(NEXT) | instid1(VALU_DEP_2)
	v_and_b32_e32 v62, 7, v61
	v_and_b32_e32 v60, 0x80000000, v60
	s_delay_alu instid0(VALU_DEP_2) | instskip(NEXT) | instid1(VALU_DEP_1)
	v_clz_i32_u32_e32 v63, v62
	v_min_u32_e32 v63, 32, v63
	s_delay_alu instid0(VALU_DEP_1) | instskip(SKIP_1) | instid1(VALU_DEP_2)
	v_subrev_nc_u32_e32 v72, 28, v63
	v_sub_nc_u32_e32 v63, 29, v63
	v_lshlrev_b32_e32 v72, v72, v61
	v_bfe_u32 v61, v61, 3, 4
	s_delay_alu instid0(VALU_DEP_2) | instskip(NEXT) | instid1(VALU_DEP_2)
	v_and_b32_e32 v72, 7, v72
	v_cmp_eq_u32_e32 vcc_lo, 0, v61
	s_delay_alu instid0(VALU_DEP_2) | instskip(NEXT) | instid1(VALU_DEP_1)
	v_dual_cndmask_b32 v61, v61, v63 :: v_dual_cndmask_b32 v62, v62, v72
	v_lshl_add_u32 v61, v61, 23, 0x3b800000
	s_delay_alu instid0(VALU_DEP_2) | instskip(NEXT) | instid1(VALU_DEP_1)
	v_lshlrev_b32_e32 v62, 20, v62
	v_or3_b32 v61, v60, v61, v62
.LBB6_6520:                             ;   in Loop: Header=BB6_6112 Depth=3
	s_or_b32 exec_lo, exec_lo, s16
	s_delay_alu instid0(VALU_DEP_1) | instskip(NEXT) | instid1(VALU_DEP_1)
	v_add_f32_e32 v60, v59, v61
	v_and_b32_e32 v59, 0x7f800000, v60
	s_delay_alu instid0(VALU_DEP_1)
	v_cmp_ne_u32_e32 vcc_lo, 0x7f800000, v59
	v_mov_b32_e32 v59, 0x80
	s_and_saveexec_b32 s16, vcc_lo
	s_cbranch_execz .LBB6_6528
; %bb.6521:                             ;   in Loop: Header=BB6_6112 Depth=3
	v_mov_b32_e32 v59, 0
	s_mov_b32 s17, exec_lo
	v_cmpx_ne_u32_e32 0, v60
	s_cbranch_execz .LBB6_6527
; %bb.6522:                             ;   in Loop: Header=BB6_6112 Depth=3
	v_bfe_u32 v59, v60, 23, 8
	s_delay_alu instid0(VALU_DEP_1) | instskip(SKIP_1) | instid1(VALU_DEP_2)
	v_sub_nc_u32_e32 v62, 0x78, v59
	v_cmp_gt_u32_e32 vcc_lo, 0x79, v59
	v_dual_cndmask_b32 v62, 0, v62 :: v_dual_and_b32 v61, 0x7fffff, v60
	s_delay_alu instid0(VALU_DEP_1) | instskip(SKIP_2) | instid1(VALU_DEP_4)
	v_or_b32_e32 v63, 0x800000, v61
	v_cmp_eq_u32_e32 vcc_lo, 0, v59
	v_add_nc_u32_e32 v59, 0xffffff89, v59
	v_cndmask_b32_e64 v62, v62, 0x77, vcc_lo
	s_delay_alu instid0(VALU_DEP_2) | instskip(SKIP_1) | instid1(VALU_DEP_3)
	v_cndmask_b32_e64 v59, v59, 0xffffff8a, vcc_lo
	v_cndmask_b32_e32 v61, v63, v61, vcc_lo
	v_lshl_add_u32 v63, 0x100000, v62, -1
	v_lshlrev_b32_e64 v74, v62, 0x80000
	s_delay_alu instid0(VALU_DEP_3) | instskip(SKIP_1) | instid1(VALU_DEP_4)
	v_lshrrev_b32_e32 v72, v62, v61
	v_add_nc_u32_e32 v62, v62, v59
	v_and_b32_e32 v61, v63, v61
	s_delay_alu instid0(VALU_DEP_3) | instskip(NEXT) | instid1(VALU_DEP_2)
	v_bfe_u32 v73, v72, 20, 1
	v_cmp_eq_u32_e64 s13, v61, v74
	s_delay_alu instid0(VALU_DEP_2) | instskip(NEXT) | instid1(VALU_DEP_1)
	v_add_nc_u32_e32 v63, -1, v73
	v_cndmask_b32_e64 v61, 0, v63, s13
	v_lshrrev_b32_e32 v63, 23, v72
	s_mov_b32 s13, exec_lo
	s_delay_alu instid0(VALU_DEP_2) | instskip(NEXT) | instid1(VALU_DEP_2)
	v_add_nc_u32_e32 v61, v61, v72
	v_xor_b32_e32 v63, 1, v63
	s_delay_alu instid0(VALU_DEP_2) | instskip(NEXT) | instid1(VALU_DEP_1)
	v_and_b32_e32 v59, 0xfffff, v61
	v_add_nc_u32_e32 v61, v59, v72
                                        ; implicit-def: $vgpr59
	s_delay_alu instid0(VALU_DEP_3)
	v_cmpx_ne_u32_e64 v62, v63
	s_xor_b32 s13, exec_lo, s13
; %bb.6523:                             ;   in Loop: Header=BB6_6112 Depth=3
	s_delay_alu instid0(VALU_DEP_2) | instskip(SKIP_2) | instid1(VALU_DEP_2)
	v_cmp_lt_u32_e32 vcc_lo, 0xffffff, v61
	v_sub_nc_u32_e32 v59, v62, v63
	v_cndmask_b32_e64 v62, 0, 1, vcc_lo
	v_add_co_ci_u32_e32 v59, vcc_lo, 0, v59, vcc_lo
	s_delay_alu instid0(VALU_DEP_2)
	v_lshrrev_b32_e32 v61, v62, v61
; %bb.6524:                             ;   in Loop: Header=BB6_6112 Depth=3
	s_and_not1_saveexec_b32 s13, s13
; %bb.6525:                             ;   in Loop: Header=BB6_6112 Depth=3
	s_delay_alu instid0(VALU_DEP_1)
	v_bfe_u32 v59, v61, 23, 1
; %bb.6526:                             ;   in Loop: Header=BB6_6112 Depth=3
	s_or_b32 exec_lo, exec_lo, s13
	v_lshrrev_b32_e32 v61, 20, v61
	s_delay_alu instid0(VALU_DEP_2) | instskip(SKIP_2) | instid1(VALU_DEP_2)
	v_cmp_gt_i32_e32 vcc_lo, 16, v59
	v_lshrrev_b32_e32 v60, 24, v60
	v_min_i32_e32 v62, 15, v59
	v_dual_cndmask_b32 v61, 7, v61 :: v_dual_and_b32 v60, 0x80, v60
	s_delay_alu instid0(VALU_DEP_1) | instskip(SKIP_1) | instid1(VALU_DEP_2)
	v_or_b32_e32 v59, v59, v61
	v_and_b32_e32 v63, 7, v61
	v_cmp_ne_u32_e32 vcc_lo, 0, v59
	v_lshlrev_b32_e32 v62, 3, v62
	s_delay_alu instid0(VALU_DEP_1) | instskip(NEXT) | instid1(VALU_DEP_1)
	v_or3_b32 v60, v62, v60, v63
	v_cndmask_b32_e32 v59, 0, v60, vcc_lo
.LBB6_6527:                             ;   in Loop: Header=BB6_6112 Depth=3
	s_or_b32 exec_lo, exec_lo, s17
.LBB6_6528:                             ;   in Loop: Header=BB6_6112 Depth=3
	s_delay_alu instid0(SALU_CYCLE_1) | instskip(SKIP_3) | instid1(VALU_DEP_1)
	s_or_b32 exec_lo, exec_lo, s16
	v_lshrrev_b32_e32 v61, 16, v34
	s_mov_b32 s13, 0
	s_mov_b32 s17, exec_lo
                                        ; implicit-def: $sgpr16
	v_and_b32_e32 v62, 0xff, v61
	s_delay_alu instid0(VALU_DEP_1)
	v_cmpx_lt_i16_e32 0x7f, v62
	s_xor_b32 s17, exec_lo, s17
	s_cbranch_execnz .LBB6_7342
; %bb.6529:                             ;   in Loop: Header=BB6_6112 Depth=3
	s_or_saveexec_b32 s17, s17
	v_mov_b32_e32 v60, s16
	s_xor_b32 exec_lo, exec_lo, s17
	s_cbranch_execnz .LBB6_7345
.LBB6_6530:                             ;   in Loop: Header=BB6_6112 Depth=3
	s_or_b32 exec_lo, exec_lo, s17
	s_and_saveexec_b32 s16, s13
	s_cbranch_execz .LBB6_6532
.LBB6_6531:                             ;   in Loop: Header=BB6_6112 Depth=3
	v_bfe_u32 v60, v34, 16, 3
	v_lshlrev_b32_e32 v72, 8, v34
	s_delay_alu instid0(VALU_DEP_2) | instskip(NEXT) | instid1(VALU_DEP_1)
	v_clz_i32_u32_e32 v62, v60
	v_min_u32_e32 v62, 32, v62
	s_delay_alu instid0(VALU_DEP_1) | instskip(SKIP_1) | instid1(VALU_DEP_2)
	v_subrev_nc_u32_e32 v63, 28, v62
	v_sub_nc_u32_e32 v62, 29, v62
	v_lshlrev_b32_e32 v61, v63, v61
	v_bfe_u32 v63, v34, 19, 4
	s_delay_alu instid0(VALU_DEP_1) | instskip(NEXT) | instid1(VALU_DEP_3)
	v_cmp_eq_u32_e32 vcc_lo, 0, v63
	v_dual_cndmask_b32 v62, v63, v62 :: v_dual_and_b32 v61, 7, v61
	s_delay_alu instid0(VALU_DEP_1) | instskip(NEXT) | instid1(VALU_DEP_2)
	v_dual_cndmask_b32 v60, v60, v61 :: v_dual_and_b32 v61, 0x80000000, v72
	v_lshl_add_u32 v62, v62, 23, 0x3b800000
	s_delay_alu instid0(VALU_DEP_2) | instskip(NEXT) | instid1(VALU_DEP_1)
	v_lshlrev_b32_e32 v60, 20, v60
	v_or3_b32 v60, v61, v62, v60
.LBB6_6532:                             ;   in Loop: Header=BB6_6112 Depth=3
	s_or_b32 exec_lo, exec_lo, s16
	v_lshrrev_b32_e32 v61, 16, v26
	s_mov_b32 s13, 0
	s_mov_b32 s17, exec_lo
                                        ; implicit-def: $sgpr16
	s_delay_alu instid0(VALU_DEP_1) | instskip(NEXT) | instid1(VALU_DEP_1)
	v_and_b32_e32 v63, 0xff, v61
	v_cmpx_lt_i16_e32 0x7f, v63
	s_xor_b32 s17, exec_lo, s17
	s_cbranch_execnz .LBB6_7346
; %bb.6533:                             ;   in Loop: Header=BB6_6112 Depth=3
	s_or_saveexec_b32 s17, s17
	v_mov_b32_e32 v62, s16
	s_xor_b32 exec_lo, exec_lo, s17
	s_cbranch_execnz .LBB6_7349
.LBB6_6534:                             ;   in Loop: Header=BB6_6112 Depth=3
	s_or_b32 exec_lo, exec_lo, s17
	s_and_saveexec_b32 s16, s13
	s_cbranch_execz .LBB6_6536
.LBB6_6535:                             ;   in Loop: Header=BB6_6112 Depth=3
	v_bfe_u32 v62, v26, 16, 3
	v_lshlrev_b32_e32 v73, 8, v26
	s_delay_alu instid0(VALU_DEP_2) | instskip(NEXT) | instid1(VALU_DEP_1)
	v_clz_i32_u32_e32 v63, v62
	v_min_u32_e32 v63, 32, v63
	s_delay_alu instid0(VALU_DEP_1) | instskip(SKIP_1) | instid1(VALU_DEP_2)
	v_subrev_nc_u32_e32 v72, 28, v63
	v_sub_nc_u32_e32 v63, 29, v63
	v_lshlrev_b32_e32 v61, v72, v61
	v_bfe_u32 v72, v26, 19, 4
	s_delay_alu instid0(VALU_DEP_2) | instskip(NEXT) | instid1(VALU_DEP_2)
	v_and_b32_e32 v61, 7, v61
	v_cmp_eq_u32_e32 vcc_lo, 0, v72
	v_cndmask_b32_e32 v63, v72, v63, vcc_lo
	s_delay_alu instid0(VALU_DEP_3) | instskip(SKIP_1) | instid1(VALU_DEP_3)
	v_cndmask_b32_e32 v61, v62, v61, vcc_lo
	v_and_b32_e32 v62, 0x80000000, v73
	v_lshl_add_u32 v63, v63, 23, 0x3b800000
	s_delay_alu instid0(VALU_DEP_3) | instskip(NEXT) | instid1(VALU_DEP_1)
	v_lshlrev_b32_e32 v61, 20, v61
	v_or3_b32 v62, v62, v63, v61
.LBB6_6536:                             ;   in Loop: Header=BB6_6112 Depth=3
	s_or_b32 exec_lo, exec_lo, s16
	s_delay_alu instid0(VALU_DEP_1) | instskip(NEXT) | instid1(VALU_DEP_1)
	v_add_f32_e32 v61, v60, v62
	v_and_b32_e32 v60, 0x7f800000, v61
	s_delay_alu instid0(VALU_DEP_1)
	v_cmp_ne_u32_e32 vcc_lo, 0x7f800000, v60
	v_mov_b32_e32 v60, 0x80
	s_and_saveexec_b32 s16, vcc_lo
	s_cbranch_execz .LBB6_6544
; %bb.6537:                             ;   in Loop: Header=BB6_6112 Depth=3
	v_mov_b32_e32 v60, 0
	s_mov_b32 s17, exec_lo
	v_cmpx_ne_u32_e32 0, v61
	s_cbranch_execz .LBB6_6543
; %bb.6538:                             ;   in Loop: Header=BB6_6112 Depth=3
	v_bfe_u32 v60, v61, 23, 8
	s_delay_alu instid0(VALU_DEP_1) | instskip(SKIP_1) | instid1(VALU_DEP_2)
	v_sub_nc_u32_e32 v63, 0x78, v60
	v_cmp_gt_u32_e32 vcc_lo, 0x79, v60
	v_dual_cndmask_b32 v63, 0, v63 :: v_dual_and_b32 v62, 0x7fffff, v61
	s_delay_alu instid0(VALU_DEP_1) | instskip(SKIP_2) | instid1(VALU_DEP_4)
	v_or_b32_e32 v72, 0x800000, v62
	v_cmp_eq_u32_e32 vcc_lo, 0, v60
	v_add_nc_u32_e32 v60, 0xffffff89, v60
	v_cndmask_b32_e64 v63, v63, 0x77, vcc_lo
	s_delay_alu instid0(VALU_DEP_2) | instskip(SKIP_1) | instid1(VALU_DEP_3)
	v_cndmask_b32_e64 v60, v60, 0xffffff8a, vcc_lo
	v_cndmask_b32_e32 v62, v72, v62, vcc_lo
	v_lshl_add_u32 v72, 0x100000, v63, -1
	v_lshlrev_b32_e64 v75, v63, 0x80000
	s_delay_alu instid0(VALU_DEP_3) | instskip(SKIP_1) | instid1(VALU_DEP_4)
	v_lshrrev_b32_e32 v73, v63, v62
	v_add_nc_u32_e32 v63, v63, v60
	v_and_b32_e32 v62, v72, v62
	s_delay_alu instid0(VALU_DEP_3) | instskip(NEXT) | instid1(VALU_DEP_2)
	v_bfe_u32 v74, v73, 20, 1
	v_cmp_eq_u32_e64 s13, v62, v75
	s_delay_alu instid0(VALU_DEP_2) | instskip(NEXT) | instid1(VALU_DEP_1)
	v_add_nc_u32_e32 v72, -1, v74
	v_cndmask_b32_e64 v62, 0, v72, s13
	v_lshrrev_b32_e32 v72, 23, v73
	s_mov_b32 s13, exec_lo
	s_delay_alu instid0(VALU_DEP_2) | instskip(NEXT) | instid1(VALU_DEP_2)
	v_add_nc_u32_e32 v62, v62, v73
	v_xor_b32_e32 v72, 1, v72
	s_delay_alu instid0(VALU_DEP_2) | instskip(NEXT) | instid1(VALU_DEP_1)
	v_and_b32_e32 v60, 0xfffff, v62
	v_add_nc_u32_e32 v62, v60, v73
                                        ; implicit-def: $vgpr60
	s_delay_alu instid0(VALU_DEP_3)
	v_cmpx_ne_u32_e64 v63, v72
	s_xor_b32 s13, exec_lo, s13
; %bb.6539:                             ;   in Loop: Header=BB6_6112 Depth=3
	s_delay_alu instid0(VALU_DEP_2) | instskip(SKIP_2) | instid1(VALU_DEP_2)
	v_cmp_lt_u32_e32 vcc_lo, 0xffffff, v62
	v_sub_nc_u32_e32 v60, v63, v72
	v_cndmask_b32_e64 v63, 0, 1, vcc_lo
	v_add_co_ci_u32_e32 v60, vcc_lo, 0, v60, vcc_lo
	s_delay_alu instid0(VALU_DEP_2)
	v_lshrrev_b32_e32 v62, v63, v62
; %bb.6540:                             ;   in Loop: Header=BB6_6112 Depth=3
	s_and_not1_saveexec_b32 s13, s13
; %bb.6541:                             ;   in Loop: Header=BB6_6112 Depth=3
	s_delay_alu instid0(VALU_DEP_1)
	v_bfe_u32 v60, v62, 23, 1
; %bb.6542:                             ;   in Loop: Header=BB6_6112 Depth=3
	s_or_b32 exec_lo, exec_lo, s13
	v_lshrrev_b32_e32 v62, 20, v62
	s_delay_alu instid0(VALU_DEP_2) | instskip(SKIP_2) | instid1(VALU_DEP_2)
	v_cmp_gt_i32_e32 vcc_lo, 16, v60
	v_lshrrev_b32_e32 v61, 24, v61
	v_min_i32_e32 v63, 15, v60
	v_dual_cndmask_b32 v62, 7, v62 :: v_dual_and_b32 v61, 0x80, v61
	s_delay_alu instid0(VALU_DEP_1) | instskip(SKIP_1) | instid1(VALU_DEP_2)
	v_or_b32_e32 v60, v60, v62
	v_and_b32_e32 v72, 7, v62
	v_cmp_ne_u32_e32 vcc_lo, 0, v60
	v_lshlrev_b32_e32 v63, 3, v63
	s_delay_alu instid0(VALU_DEP_1) | instskip(NEXT) | instid1(VALU_DEP_1)
	v_or3_b32 v61, v63, v61, v72
	v_cndmask_b32_e32 v60, 0, v61, vcc_lo
.LBB6_6543:                             ;   in Loop: Header=BB6_6112 Depth=3
	s_or_b32 exec_lo, exec_lo, s17
.LBB6_6544:                             ;   in Loop: Header=BB6_6112 Depth=3
	s_delay_alu instid0(SALU_CYCLE_1) | instskip(SKIP_3) | instid1(VALU_DEP_1)
	s_or_b32 exec_lo, exec_lo, s16
	v_lshrrev_b32_e32 v62, 24, v34
	s_mov_b32 s13, 0
	s_mov_b32 s17, exec_lo
                                        ; implicit-def: $sgpr16
	v_cmpx_lt_i16_e32 0x7f, v62
	s_xor_b32 s17, exec_lo, s17
	s_cbranch_execnz .LBB6_7350
; %bb.6545:                             ;   in Loop: Header=BB6_6112 Depth=3
	s_or_saveexec_b32 s17, s17
	v_mov_b32_e32 v61, s16
	s_xor_b32 exec_lo, exec_lo, s17
	s_cbranch_execnz .LBB6_7353
.LBB6_6546:                             ;   in Loop: Header=BB6_6112 Depth=3
	s_or_b32 exec_lo, exec_lo, s17
	s_and_saveexec_b32 s16, s13
	s_cbranch_execz .LBB6_6548
.LBB6_6547:                             ;   in Loop: Header=BB6_6112 Depth=3
	v_bfe_u32 v61, v34, 24, 3
	s_delay_alu instid0(VALU_DEP_1) | instskip(NEXT) | instid1(VALU_DEP_1)
	v_clz_i32_u32_e32 v63, v61
	v_min_u32_e32 v63, 32, v63
	s_delay_alu instid0(VALU_DEP_1) | instskip(SKIP_1) | instid1(VALU_DEP_2)
	v_subrev_nc_u32_e32 v72, 28, v63
	v_sub_nc_u32_e32 v63, 29, v63
	v_lshlrev_b32_e32 v62, v72, v62
	v_bfe_u32 v72, v34, 27, 4
	v_and_b32_e32 v34, 0x80000000, v34
	s_delay_alu instid0(VALU_DEP_2) | instskip(NEXT) | instid1(VALU_DEP_4)
	v_cmp_eq_u32_e32 vcc_lo, 0, v72
	v_dual_cndmask_b32 v63, v72, v63 :: v_dual_and_b32 v62, 7, v62
	s_delay_alu instid0(VALU_DEP_1) | instskip(NEXT) | instid1(VALU_DEP_2)
	v_cndmask_b32_e32 v61, v61, v62, vcc_lo
	v_lshl_add_u32 v62, v63, 23, 0x3b800000
	s_delay_alu instid0(VALU_DEP_2) | instskip(NEXT) | instid1(VALU_DEP_1)
	v_lshlrev_b32_e32 v61, 20, v61
	v_or3_b32 v61, v34, v62, v61
.LBB6_6548:                             ;   in Loop: Header=BB6_6112 Depth=3
	s_or_b32 exec_lo, exec_lo, s16
	v_lshrrev_b32_e32 v34, 24, v26
	s_mov_b32 s13, 0
	s_mov_b32 s17, exec_lo
                                        ; implicit-def: $sgpr16
	s_delay_alu instid0(VALU_DEP_1)
	v_cmpx_lt_i16_e32 0x7f, v34
	s_xor_b32 s17, exec_lo, s17
	s_cbranch_execnz .LBB6_7354
; %bb.6549:                             ;   in Loop: Header=BB6_6112 Depth=3
	s_or_saveexec_b32 s17, s17
	v_mov_b32_e32 v62, s16
	s_xor_b32 exec_lo, exec_lo, s17
	s_cbranch_execnz .LBB6_7357
.LBB6_6550:                             ;   in Loop: Header=BB6_6112 Depth=3
	s_or_b32 exec_lo, exec_lo, s17
	s_and_saveexec_b32 s16, s13
	s_cbranch_execz .LBB6_6552
.LBB6_6551:                             ;   in Loop: Header=BB6_6112 Depth=3
	v_bfe_u32 v62, v26, 24, 3
	s_delay_alu instid0(VALU_DEP_1) | instskip(NEXT) | instid1(VALU_DEP_1)
	v_clz_i32_u32_e32 v63, v62
	v_min_u32_e32 v63, 32, v63
	s_delay_alu instid0(VALU_DEP_1) | instskip(SKIP_1) | instid1(VALU_DEP_2)
	v_subrev_nc_u32_e32 v72, 28, v63
	v_sub_nc_u32_e32 v63, 29, v63
	v_lshlrev_b32_e32 v34, v72, v34
	v_bfe_u32 v72, v26, 27, 4
	v_and_b32_e32 v26, 0x80000000, v26
	s_delay_alu instid0(VALU_DEP_2) | instskip(NEXT) | instid1(VALU_DEP_4)
	v_cmp_eq_u32_e32 vcc_lo, 0, v72
	v_dual_cndmask_b32 v63, v72, v63 :: v_dual_and_b32 v34, 7, v34
	s_delay_alu instid0(VALU_DEP_1) | instskip(NEXT) | instid1(VALU_DEP_2)
	v_cndmask_b32_e32 v34, v62, v34, vcc_lo
	v_lshl_add_u32 v62, v63, 23, 0x3b800000
	s_delay_alu instid0(VALU_DEP_2) | instskip(NEXT) | instid1(VALU_DEP_1)
	v_lshlrev_b32_e32 v34, 20, v34
	v_or3_b32 v62, v26, v62, v34
.LBB6_6552:                             ;   in Loop: Header=BB6_6112 Depth=3
	s_or_b32 exec_lo, exec_lo, s16
	s_delay_alu instid0(VALU_DEP_1) | instskip(NEXT) | instid1(VALU_DEP_1)
	v_add_f32_e32 v34, v61, v62
	v_and_b32_e32 v26, 0x7f800000, v34
	s_delay_alu instid0(VALU_DEP_1)
	v_cmp_ne_u32_e32 vcc_lo, 0x7f800000, v26
	v_mov_b32_e32 v26, 0x80
	s_and_saveexec_b32 s16, vcc_lo
	s_cbranch_execz .LBB6_6560
; %bb.6553:                             ;   in Loop: Header=BB6_6112 Depth=3
	v_mov_b32_e32 v26, 0
	s_mov_b32 s17, exec_lo
	v_cmpx_ne_u32_e32 0, v34
	s_cbranch_execz .LBB6_6559
; %bb.6554:                             ;   in Loop: Header=BB6_6112 Depth=3
	v_bfe_u32 v26, v34, 23, 8
	v_and_b32_e32 v61, 0x7fffff, v34
	s_delay_alu instid0(VALU_DEP_2) | instskip(SKIP_1) | instid1(VALU_DEP_3)
	v_sub_nc_u32_e32 v62, 0x78, v26
	v_cmp_gt_u32_e32 vcc_lo, 0x79, v26
	v_or_b32_e32 v63, 0x800000, v61
	s_delay_alu instid0(VALU_DEP_3) | instskip(SKIP_1) | instid1(VALU_DEP_3)
	v_cndmask_b32_e32 v62, 0, v62, vcc_lo
	v_cmp_eq_u32_e32 vcc_lo, 0, v26
	v_dual_cndmask_b32 v61, v63, v61 :: v_dual_add_nc_u32 v26, 0xffffff89, v26
	s_delay_alu instid0(VALU_DEP_3) | instskip(NEXT) | instid1(VALU_DEP_2)
	v_cndmask_b32_e64 v62, v62, 0x77, vcc_lo
	v_cndmask_b32_e64 v26, v26, 0xffffff8a, vcc_lo
	s_delay_alu instid0(VALU_DEP_2) | instskip(SKIP_2) | instid1(VALU_DEP_4)
	v_lshrrev_b32_e32 v72, v62, v61
	v_lshl_add_u32 v63, 0x100000, v62, -1
	v_lshlrev_b32_e64 v74, v62, 0x80000
	v_add_nc_u32_e32 v62, v62, v26
	s_delay_alu instid0(VALU_DEP_4) | instskip(NEXT) | instid1(VALU_DEP_4)
	v_bfe_u32 v73, v72, 20, 1
	v_and_b32_e32 v61, v63, v61
	s_delay_alu instid0(VALU_DEP_2) | instskip(NEXT) | instid1(VALU_DEP_2)
	v_add_nc_u32_e32 v63, -1, v73
	v_cmp_eq_u32_e64 s13, v61, v74
	s_delay_alu instid0(VALU_DEP_1) | instskip(SKIP_2) | instid1(VALU_DEP_2)
	v_cndmask_b32_e64 v61, 0, v63, s13
	v_lshrrev_b32_e32 v63, 23, v72
	s_mov_b32 s13, exec_lo
	v_add_nc_u32_e32 v61, v61, v72
	s_delay_alu instid0(VALU_DEP_2) | instskip(NEXT) | instid1(VALU_DEP_2)
	v_xor_b32_e32 v63, 1, v63
	v_and_b32_e32 v26, 0xfffff, v61
	s_delay_alu instid0(VALU_DEP_1) | instskip(NEXT) | instid1(VALU_DEP_3)
	v_add_nc_u32_e32 v61, v26, v72
                                        ; implicit-def: $vgpr26
	v_cmpx_ne_u32_e64 v62, v63
	s_xor_b32 s13, exec_lo, s13
; %bb.6555:                             ;   in Loop: Header=BB6_6112 Depth=3
	s_delay_alu instid0(VALU_DEP_2) | instskip(SKIP_2) | instid1(VALU_DEP_2)
	v_cmp_lt_u32_e32 vcc_lo, 0xffffff, v61
	v_sub_nc_u32_e32 v26, v62, v63
	v_cndmask_b32_e64 v62, 0, 1, vcc_lo
	v_add_co_ci_u32_e32 v26, vcc_lo, 0, v26, vcc_lo
	s_delay_alu instid0(VALU_DEP_2)
	v_lshrrev_b32_e32 v61, v62, v61
; %bb.6556:                             ;   in Loop: Header=BB6_6112 Depth=3
	s_and_not1_saveexec_b32 s13, s13
; %bb.6557:                             ;   in Loop: Header=BB6_6112 Depth=3
	s_delay_alu instid0(VALU_DEP_1)
	v_bfe_u32 v26, v61, 23, 1
; %bb.6558:                             ;   in Loop: Header=BB6_6112 Depth=3
	s_or_b32 exec_lo, exec_lo, s13
	v_lshrrev_b32_e32 v61, 20, v61
	s_delay_alu instid0(VALU_DEP_2) | instskip(SKIP_2) | instid1(VALU_DEP_2)
	v_cmp_gt_i32_e32 vcc_lo, 16, v26
	v_lshrrev_b32_e32 v34, 24, v34
	v_min_i32_e32 v62, 15, v26
	v_dual_cndmask_b32 v61, 7, v61 :: v_dual_and_b32 v34, 0x80, v34
	s_delay_alu instid0(VALU_DEP_2) | instskip(NEXT) | instid1(VALU_DEP_2)
	v_lshlrev_b32_e32 v62, 3, v62
	v_or_b32_e32 v26, v26, v61
	s_delay_alu instid0(VALU_DEP_1) | instskip(SKIP_1) | instid1(VALU_DEP_1)
	v_cmp_ne_u32_e32 vcc_lo, 0, v26
	v_and_b32_e32 v63, 7, v61
	v_or3_b32 v34, v62, v34, v63
	s_delay_alu instid0(VALU_DEP_1)
	v_cndmask_b32_e32 v26, 0, v34, vcc_lo
.LBB6_6559:                             ;   in Loop: Header=BB6_6112 Depth=3
	s_or_b32 exec_lo, exec_lo, s17
.LBB6_6560:                             ;   in Loop: Header=BB6_6112 Depth=3
	s_delay_alu instid0(SALU_CYCLE_1) | instskip(SKIP_3) | instid1(VALU_DEP_1)
	s_or_b32 exec_lo, exec_lo, s16
	v_and_b32_e32 v61, 0xff, v35
	s_mov_b32 s13, 0
	s_mov_b32 s17, exec_lo
                                        ; implicit-def: $sgpr16
	v_cmpx_lt_i16_e32 0x7f, v61
	s_xor_b32 s17, exec_lo, s17
	s_cbranch_execnz .LBB6_7358
; %bb.6561:                             ;   in Loop: Header=BB6_6112 Depth=3
	s_or_saveexec_b32 s17, s17
	v_mov_b32_e32 v34, s16
	s_xor_b32 exec_lo, exec_lo, s17
	s_cbranch_execnz .LBB6_7361
.LBB6_6562:                             ;   in Loop: Header=BB6_6112 Depth=3
	s_or_b32 exec_lo, exec_lo, s17
	s_and_saveexec_b32 s16, s13
	s_cbranch_execz .LBB6_6564
.LBB6_6563:                             ;   in Loop: Header=BB6_6112 Depth=3
	v_bfe_u32 v63, v35, 3, 4
	v_lshlrev_b32_e32 v72, 24, v35
	s_delay_alu instid0(VALU_DEP_2) | instskip(SKIP_1) | instid1(VALU_DEP_1)
	v_cmp_eq_u32_e32 vcc_lo, 0, v63
	v_and_b32_e32 v34, 7, v35
	v_clz_i32_u32_e32 v61, v34
	s_delay_alu instid0(VALU_DEP_1) | instskip(NEXT) | instid1(VALU_DEP_1)
	v_min_u32_e32 v61, 32, v61
	v_subrev_nc_u32_e32 v62, 28, v61
	v_sub_nc_u32_e32 v61, 29, v61
	s_delay_alu instid0(VALU_DEP_1) | instskip(NEXT) | instid1(VALU_DEP_1)
	v_dual_cndmask_b32 v61, v63, v61 :: v_dual_lshlrev_b32 v62, v62, v35
	v_and_b32_e32 v62, 7, v62
	s_delay_alu instid0(VALU_DEP_2) | instskip(NEXT) | instid1(VALU_DEP_2)
	v_lshl_add_u32 v61, v61, 23, 0x3b800000
	v_cndmask_b32_e32 v34, v34, v62, vcc_lo
	v_and_b32_e32 v62, 0x80000000, v72
	s_delay_alu instid0(VALU_DEP_2) | instskip(NEXT) | instid1(VALU_DEP_1)
	v_lshlrev_b32_e32 v34, 20, v34
	v_or3_b32 v34, v62, v61, v34
.LBB6_6564:                             ;   in Loop: Header=BB6_6112 Depth=3
	s_or_b32 exec_lo, exec_lo, s16
	v_and_b32_e32 v62, 0xff, v27
	s_mov_b32 s13, 0
	s_mov_b32 s17, exec_lo
                                        ; implicit-def: $sgpr16
	s_delay_alu instid0(VALU_DEP_1)
	v_cmpx_lt_i16_e32 0x7f, v62
	s_xor_b32 s17, exec_lo, s17
	s_cbranch_execnz .LBB6_7362
; %bb.6565:                             ;   in Loop: Header=BB6_6112 Depth=3
	s_or_saveexec_b32 s17, s17
	v_mov_b32_e32 v61, s16
	s_xor_b32 exec_lo, exec_lo, s17
	s_cbranch_execnz .LBB6_7365
.LBB6_6566:                             ;   in Loop: Header=BB6_6112 Depth=3
	s_or_b32 exec_lo, exec_lo, s17
	s_and_saveexec_b32 s16, s13
	s_cbranch_execz .LBB6_6568
.LBB6_6567:                             ;   in Loop: Header=BB6_6112 Depth=3
	v_bfe_u32 v72, v27, 3, 4
	v_lshlrev_b32_e32 v73, 24, v27
	s_delay_alu instid0(VALU_DEP_2) | instskip(SKIP_1) | instid1(VALU_DEP_1)
	v_cmp_eq_u32_e32 vcc_lo, 0, v72
	v_and_b32_e32 v61, 7, v27
	v_clz_i32_u32_e32 v62, v61
	s_delay_alu instid0(VALU_DEP_1) | instskip(NEXT) | instid1(VALU_DEP_1)
	v_min_u32_e32 v62, 32, v62
	v_subrev_nc_u32_e32 v63, 28, v62
	v_sub_nc_u32_e32 v62, 29, v62
	s_delay_alu instid0(VALU_DEP_1) | instskip(NEXT) | instid1(VALU_DEP_1)
	v_dual_cndmask_b32 v62, v72, v62 :: v_dual_lshlrev_b32 v63, v63, v27
	v_and_b32_e32 v63, 7, v63
	s_delay_alu instid0(VALU_DEP_2) | instskip(NEXT) | instid1(VALU_DEP_2)
	v_lshl_add_u32 v62, v62, 23, 0x3b800000
	v_cndmask_b32_e32 v61, v61, v63, vcc_lo
	v_and_b32_e32 v63, 0x80000000, v73
	s_delay_alu instid0(VALU_DEP_2) | instskip(NEXT) | instid1(VALU_DEP_1)
	v_lshlrev_b32_e32 v61, 20, v61
	v_or3_b32 v61, v63, v62, v61
.LBB6_6568:                             ;   in Loop: Header=BB6_6112 Depth=3
	s_or_b32 exec_lo, exec_lo, s16
	s_delay_alu instid0(VALU_DEP_1) | instskip(NEXT) | instid1(VALU_DEP_1)
	v_add_f32_e32 v61, v34, v61
	v_and_b32_e32 v34, 0x7f800000, v61
	s_delay_alu instid0(VALU_DEP_1)
	v_cmp_ne_u32_e32 vcc_lo, 0x7f800000, v34
	v_mov_b32_e32 v34, 0x80
	s_and_saveexec_b32 s16, vcc_lo
	s_cbranch_execz .LBB6_6576
; %bb.6569:                             ;   in Loop: Header=BB6_6112 Depth=3
	v_mov_b32_e32 v34, 0
	s_mov_b32 s17, exec_lo
	v_cmpx_ne_u32_e32 0, v61
	s_cbranch_execz .LBB6_6575
; %bb.6570:                             ;   in Loop: Header=BB6_6112 Depth=3
	v_bfe_u32 v34, v61, 23, 8
	s_delay_alu instid0(VALU_DEP_1) | instskip(SKIP_1) | instid1(VALU_DEP_2)
	v_sub_nc_u32_e32 v63, 0x78, v34
	v_cmp_gt_u32_e32 vcc_lo, 0x79, v34
	v_dual_cndmask_b32 v63, 0, v63 :: v_dual_and_b32 v62, 0x7fffff, v61
	s_delay_alu instid0(VALU_DEP_1) | instskip(SKIP_2) | instid1(VALU_DEP_4)
	v_or_b32_e32 v72, 0x800000, v62
	v_cmp_eq_u32_e32 vcc_lo, 0, v34
	v_add_nc_u32_e32 v34, 0xffffff89, v34
	v_cndmask_b32_e64 v63, v63, 0x77, vcc_lo
	s_delay_alu instid0(VALU_DEP_4) | instskip(NEXT) | instid1(VALU_DEP_3)
	v_cndmask_b32_e32 v62, v72, v62, vcc_lo
	v_cndmask_b32_e64 v34, v34, 0xffffff8a, vcc_lo
	s_delay_alu instid0(VALU_DEP_3) | instskip(NEXT) | instid1(VALU_DEP_3)
	v_lshl_add_u32 v72, 0x100000, v63, -1
	v_lshrrev_b32_e32 v73, v63, v62
	v_lshlrev_b32_e64 v75, v63, 0x80000
	s_delay_alu instid0(VALU_DEP_4) | instskip(NEXT) | instid1(VALU_DEP_4)
	v_add_nc_u32_e32 v63, v63, v34
	v_and_b32_e32 v62, v72, v62
	s_delay_alu instid0(VALU_DEP_4) | instskip(NEXT) | instid1(VALU_DEP_2)
	v_bfe_u32 v74, v73, 20, 1
	v_cmp_eq_u32_e64 s13, v62, v75
	s_delay_alu instid0(VALU_DEP_2) | instskip(NEXT) | instid1(VALU_DEP_1)
	v_add_nc_u32_e32 v72, -1, v74
	v_cndmask_b32_e64 v62, 0, v72, s13
	v_lshrrev_b32_e32 v72, 23, v73
	s_mov_b32 s13, exec_lo
	s_delay_alu instid0(VALU_DEP_2) | instskip(NEXT) | instid1(VALU_DEP_2)
	v_add_nc_u32_e32 v62, v62, v73
	v_xor_b32_e32 v72, 1, v72
	s_delay_alu instid0(VALU_DEP_2) | instskip(NEXT) | instid1(VALU_DEP_1)
	v_and_b32_e32 v34, 0xfffff, v62
	v_add_nc_u32_e32 v62, v34, v73
                                        ; implicit-def: $vgpr34
	s_delay_alu instid0(VALU_DEP_3)
	v_cmpx_ne_u32_e64 v63, v72
	s_xor_b32 s13, exec_lo, s13
; %bb.6571:                             ;   in Loop: Header=BB6_6112 Depth=3
	s_delay_alu instid0(VALU_DEP_2) | instskip(SKIP_2) | instid1(VALU_DEP_2)
	v_cmp_lt_u32_e32 vcc_lo, 0xffffff, v62
	v_sub_nc_u32_e32 v34, v63, v72
	v_cndmask_b32_e64 v63, 0, 1, vcc_lo
	v_add_co_ci_u32_e32 v34, vcc_lo, 0, v34, vcc_lo
	s_delay_alu instid0(VALU_DEP_2)
	v_lshrrev_b32_e32 v62, v63, v62
; %bb.6572:                             ;   in Loop: Header=BB6_6112 Depth=3
	s_and_not1_saveexec_b32 s13, s13
; %bb.6573:                             ;   in Loop: Header=BB6_6112 Depth=3
	s_delay_alu instid0(VALU_DEP_1)
	v_bfe_u32 v34, v62, 23, 1
; %bb.6574:                             ;   in Loop: Header=BB6_6112 Depth=3
	s_or_b32 exec_lo, exec_lo, s13
	v_lshrrev_b32_e32 v62, 20, v62
	s_delay_alu instid0(VALU_DEP_2) | instskip(SKIP_2) | instid1(VALU_DEP_2)
	v_cmp_gt_i32_e32 vcc_lo, 16, v34
	v_lshrrev_b32_e32 v61, 24, v61
	v_min_i32_e32 v63, 15, v34
	v_dual_cndmask_b32 v62, 7, v62 :: v_dual_and_b32 v61, 0x80, v61
	s_delay_alu instid0(VALU_DEP_1) | instskip(SKIP_1) | instid1(VALU_DEP_2)
	v_or_b32_e32 v34, v34, v62
	v_and_b32_e32 v72, 7, v62
	v_cmp_ne_u32_e32 vcc_lo, 0, v34
	v_lshlrev_b32_e32 v63, 3, v63
	s_delay_alu instid0(VALU_DEP_1) | instskip(NEXT) | instid1(VALU_DEP_1)
	v_or3_b32 v61, v63, v61, v72
	v_cndmask_b32_e32 v34, 0, v61, vcc_lo
.LBB6_6575:                             ;   in Loop: Header=BB6_6112 Depth=3
	s_or_b32 exec_lo, exec_lo, s17
.LBB6_6576:                             ;   in Loop: Header=BB6_6112 Depth=3
	s_delay_alu instid0(SALU_CYCLE_1) | instskip(SKIP_3) | instid1(VALU_DEP_1)
	s_or_b32 exec_lo, exec_lo, s16
	v_lshrrev_b16 v62, 8, v35
	s_mov_b32 s13, 0
	s_mov_b32 s17, exec_lo
                                        ; implicit-def: $sgpr16
	v_cmpx_lt_i16_e32 0x7f, v62
	s_xor_b32 s17, exec_lo, s17
	s_cbranch_execnz .LBB6_7366
; %bb.6577:                             ;   in Loop: Header=BB6_6112 Depth=3
	s_or_saveexec_b32 s17, s17
	v_mov_b32_e32 v61, s16
	s_xor_b32 exec_lo, exec_lo, s17
	s_cbranch_execnz .LBB6_7369
.LBB6_6578:                             ;   in Loop: Header=BB6_6112 Depth=3
	s_or_b32 exec_lo, exec_lo, s17
	s_and_saveexec_b32 s16, s13
	s_cbranch_execz .LBB6_6580
.LBB6_6579:                             ;   in Loop: Header=BB6_6112 Depth=3
	v_and_b32_e32 v61, 0xffff, v62
	s_delay_alu instid0(VALU_DEP_1) | instskip(NEXT) | instid1(VALU_DEP_1)
	v_and_b32_e32 v63, 7, v61
	v_clz_i32_u32_e32 v72, v63
	s_delay_alu instid0(VALU_DEP_1) | instskip(NEXT) | instid1(VALU_DEP_1)
	v_min_u32_e32 v72, 32, v72
	v_subrev_nc_u32_e32 v73, 28, v72
	v_sub_nc_u32_e32 v72, 29, v72
	s_delay_alu instid0(VALU_DEP_2) | instskip(SKIP_1) | instid1(VALU_DEP_2)
	v_lshlrev_b32_e32 v73, v73, v61
	v_bfe_u32 v61, v61, 3, 4
	v_and_b32_e32 v73, 7, v73
	s_delay_alu instid0(VALU_DEP_2) | instskip(SKIP_1) | instid1(VALU_DEP_1)
	v_cmp_eq_u32_e32 vcc_lo, 0, v61
	v_dual_cndmask_b32 v61, v61, v72 :: v_dual_lshlrev_b32 v62, 24, v62
	v_dual_cndmask_b32 v63, v63, v73 :: v_dual_and_b32 v62, 0x80000000, v62
	s_delay_alu instid0(VALU_DEP_2) | instskip(NEXT) | instid1(VALU_DEP_2)
	v_lshl_add_u32 v61, v61, 23, 0x3b800000
	v_lshlrev_b32_e32 v63, 20, v63
	s_delay_alu instid0(VALU_DEP_1)
	v_or3_b32 v61, v62, v61, v63
.LBB6_6580:                             ;   in Loop: Header=BB6_6112 Depth=3
	s_or_b32 exec_lo, exec_lo, s16
	v_lshrrev_b16 v62, 8, v27
	s_mov_b32 s13, 0
	s_mov_b32 s17, exec_lo
                                        ; implicit-def: $sgpr16
	s_delay_alu instid0(VALU_DEP_1)
	v_cmpx_lt_i16_e32 0x7f, v62
	s_xor_b32 s17, exec_lo, s17
	s_cbranch_execnz .LBB6_7370
; %bb.6581:                             ;   in Loop: Header=BB6_6112 Depth=3
	s_or_saveexec_b32 s17, s17
	v_mov_b32_e32 v63, s16
	s_xor_b32 exec_lo, exec_lo, s17
	s_cbranch_execnz .LBB6_7373
.LBB6_6582:                             ;   in Loop: Header=BB6_6112 Depth=3
	s_or_b32 exec_lo, exec_lo, s17
	s_and_saveexec_b32 s16, s13
	s_cbranch_execz .LBB6_6584
.LBB6_6583:                             ;   in Loop: Header=BB6_6112 Depth=3
	v_and_b32_e32 v63, 0xffff, v62
	v_lshlrev_b32_e32 v62, 24, v62
	s_delay_alu instid0(VALU_DEP_2) | instskip(NEXT) | instid1(VALU_DEP_2)
	v_and_b32_e32 v72, 7, v63
	v_and_b32_e32 v62, 0x80000000, v62
	s_delay_alu instid0(VALU_DEP_2) | instskip(NEXT) | instid1(VALU_DEP_1)
	v_clz_i32_u32_e32 v73, v72
	v_min_u32_e32 v73, 32, v73
	s_delay_alu instid0(VALU_DEP_1) | instskip(SKIP_1) | instid1(VALU_DEP_2)
	v_subrev_nc_u32_e32 v74, 28, v73
	v_sub_nc_u32_e32 v73, 29, v73
	v_lshlrev_b32_e32 v74, v74, v63
	v_bfe_u32 v63, v63, 3, 4
	s_delay_alu instid0(VALU_DEP_2) | instskip(NEXT) | instid1(VALU_DEP_2)
	v_and_b32_e32 v74, 7, v74
	v_cmp_eq_u32_e32 vcc_lo, 0, v63
	s_delay_alu instid0(VALU_DEP_2) | instskip(NEXT) | instid1(VALU_DEP_1)
	v_dual_cndmask_b32 v63, v63, v73 :: v_dual_cndmask_b32 v72, v72, v74
	v_lshl_add_u32 v63, v63, 23, 0x3b800000
	s_delay_alu instid0(VALU_DEP_2) | instskip(NEXT) | instid1(VALU_DEP_1)
	v_lshlrev_b32_e32 v72, 20, v72
	v_or3_b32 v63, v62, v63, v72
.LBB6_6584:                             ;   in Loop: Header=BB6_6112 Depth=3
	s_or_b32 exec_lo, exec_lo, s16
	s_delay_alu instid0(VALU_DEP_1) | instskip(NEXT) | instid1(VALU_DEP_1)
	v_add_f32_e32 v62, v61, v63
	v_and_b32_e32 v61, 0x7f800000, v62
	s_delay_alu instid0(VALU_DEP_1)
	v_cmp_ne_u32_e32 vcc_lo, 0x7f800000, v61
	v_mov_b32_e32 v61, 0x8000
	s_and_saveexec_b32 s16, vcc_lo
	s_cbranch_execz .LBB6_6592
; %bb.6585:                             ;   in Loop: Header=BB6_6112 Depth=3
	v_mov_b32_e32 v61, 0
	s_mov_b32 s17, exec_lo
	v_cmpx_ne_u32_e32 0, v62
	s_cbranch_execz .LBB6_6591
; %bb.6586:                             ;   in Loop: Header=BB6_6112 Depth=3
	v_bfe_u32 v61, v62, 23, 8
	s_delay_alu instid0(VALU_DEP_1) | instskip(SKIP_1) | instid1(VALU_DEP_2)
	v_sub_nc_u32_e32 v72, 0x78, v61
	v_cmp_gt_u32_e32 vcc_lo, 0x79, v61
	v_dual_cndmask_b32 v72, 0, v72 :: v_dual_and_b32 v63, 0x7fffff, v62
	s_delay_alu instid0(VALU_DEP_1) | instskip(SKIP_2) | instid1(VALU_DEP_4)
	v_or_b32_e32 v73, 0x800000, v63
	v_cmp_eq_u32_e32 vcc_lo, 0, v61
	v_add_nc_u32_e32 v61, 0xffffff89, v61
	v_cndmask_b32_e64 v72, v72, 0x77, vcc_lo
	s_delay_alu instid0(VALU_DEP_2) | instskip(SKIP_1) | instid1(VALU_DEP_3)
	v_cndmask_b32_e64 v61, v61, 0xffffff8a, vcc_lo
	v_cndmask_b32_e32 v63, v73, v63, vcc_lo
	v_lshl_add_u32 v73, 0x100000, v72, -1
	v_lshlrev_b32_e64 v76, v72, 0x80000
	s_delay_alu instid0(VALU_DEP_3) | instskip(SKIP_1) | instid1(VALU_DEP_4)
	v_lshrrev_b32_e32 v74, v72, v63
	v_add_nc_u32_e32 v72, v72, v61
	v_and_b32_e32 v63, v73, v63
	s_delay_alu instid0(VALU_DEP_3) | instskip(NEXT) | instid1(VALU_DEP_2)
	v_bfe_u32 v75, v74, 20, 1
	v_cmp_eq_u32_e64 s13, v63, v76
	s_delay_alu instid0(VALU_DEP_2) | instskip(NEXT) | instid1(VALU_DEP_1)
	v_add_nc_u32_e32 v73, -1, v75
	v_cndmask_b32_e64 v63, 0, v73, s13
	v_lshrrev_b32_e32 v73, 23, v74
	s_mov_b32 s13, exec_lo
	s_delay_alu instid0(VALU_DEP_2) | instskip(NEXT) | instid1(VALU_DEP_2)
	v_add_nc_u32_e32 v63, v63, v74
	v_xor_b32_e32 v73, 1, v73
	s_delay_alu instid0(VALU_DEP_2) | instskip(NEXT) | instid1(VALU_DEP_1)
	v_and_b32_e32 v61, 0xfffff, v63
	v_add_nc_u32_e32 v63, v61, v74
                                        ; implicit-def: $vgpr61
	s_delay_alu instid0(VALU_DEP_3)
	v_cmpx_ne_u32_e64 v72, v73
	s_xor_b32 s13, exec_lo, s13
; %bb.6587:                             ;   in Loop: Header=BB6_6112 Depth=3
	s_delay_alu instid0(VALU_DEP_2) | instskip(SKIP_2) | instid1(VALU_DEP_2)
	v_cmp_lt_u32_e32 vcc_lo, 0xffffff, v63
	v_sub_nc_u32_e32 v61, v72, v73
	v_cndmask_b32_e64 v72, 0, 1, vcc_lo
	v_add_co_ci_u32_e32 v61, vcc_lo, 0, v61, vcc_lo
	s_delay_alu instid0(VALU_DEP_2)
	v_lshrrev_b32_e32 v63, v72, v63
; %bb.6588:                             ;   in Loop: Header=BB6_6112 Depth=3
	s_and_not1_saveexec_b32 s13, s13
; %bb.6589:                             ;   in Loop: Header=BB6_6112 Depth=3
	s_delay_alu instid0(VALU_DEP_1)
	v_bfe_u32 v61, v63, 23, 1
; %bb.6590:                             ;   in Loop: Header=BB6_6112 Depth=3
	s_or_b32 exec_lo, exec_lo, s13
	v_lshrrev_b32_e32 v63, 20, v63
	s_delay_alu instid0(VALU_DEP_2) | instskip(SKIP_2) | instid1(VALU_DEP_2)
	v_cmp_gt_i32_e32 vcc_lo, 16, v61
	v_min_i32_e32 v72, 15, v61
	v_lshrrev_b32_e32 v62, 24, v62
	v_dual_cndmask_b32 v63, 7, v63 :: v_dual_lshlrev_b32 v72, 3, v72
	s_delay_alu instid0(VALU_DEP_2) | instskip(NEXT) | instid1(VALU_DEP_2)
	v_and_b32_e32 v62, 0x80, v62
	v_or_b32_e32 v61, v61, v63
	v_and_b32_e32 v73, 7, v63
	s_delay_alu instid0(VALU_DEP_2) | instskip(SKIP_1) | instid1(VALU_DEP_1)
	v_cmp_ne_u32_e32 vcc_lo, 0, v61
	v_and_b32_e32 v72, 0xf8, v72
	v_or3_b32 v62, v62, v72, v73
	s_delay_alu instid0(VALU_DEP_1) | instskip(NEXT) | instid1(VALU_DEP_1)
	v_lshlrev_b32_e32 v62, 8, v62
	v_cndmask_b32_e32 v61, 0, v62, vcc_lo
.LBB6_6591:                             ;   in Loop: Header=BB6_6112 Depth=3
	s_or_b32 exec_lo, exec_lo, s17
.LBB6_6592:                             ;   in Loop: Header=BB6_6112 Depth=3
	s_delay_alu instid0(SALU_CYCLE_1) | instskip(SKIP_3) | instid1(VALU_DEP_1)
	s_or_b32 exec_lo, exec_lo, s16
	v_lshrrev_b32_e32 v63, 16, v35
	s_mov_b32 s13, 0
	s_mov_b32 s17, exec_lo
                                        ; implicit-def: $sgpr16
	v_and_b32_e32 v72, 0xff, v63
	s_delay_alu instid0(VALU_DEP_1)
	v_cmpx_lt_i16_e32 0x7f, v72
	s_xor_b32 s17, exec_lo, s17
	s_cbranch_execnz .LBB6_7374
; %bb.6593:                             ;   in Loop: Header=BB6_6112 Depth=3
	s_or_saveexec_b32 s17, s17
	v_mov_b32_e32 v62, s16
	s_xor_b32 exec_lo, exec_lo, s17
	s_cbranch_execnz .LBB6_7377
.LBB6_6594:                             ;   in Loop: Header=BB6_6112 Depth=3
	s_or_b32 exec_lo, exec_lo, s17
	s_and_saveexec_b32 s16, s13
	s_cbranch_execz .LBB6_6596
.LBB6_6595:                             ;   in Loop: Header=BB6_6112 Depth=3
	v_bfe_u32 v62, v35, 16, 3
	v_lshlrev_b32_e32 v74, 8, v35
	s_delay_alu instid0(VALU_DEP_2) | instskip(NEXT) | instid1(VALU_DEP_1)
	v_clz_i32_u32_e32 v72, v62
	v_min_u32_e32 v72, 32, v72
	s_delay_alu instid0(VALU_DEP_1) | instskip(SKIP_1) | instid1(VALU_DEP_2)
	v_subrev_nc_u32_e32 v73, 28, v72
	v_sub_nc_u32_e32 v72, 29, v72
	v_lshlrev_b32_e32 v63, v73, v63
	v_bfe_u32 v73, v35, 19, 4
	s_delay_alu instid0(VALU_DEP_1) | instskip(NEXT) | instid1(VALU_DEP_3)
	v_cmp_eq_u32_e32 vcc_lo, 0, v73
	v_dual_cndmask_b32 v72, v73, v72 :: v_dual_and_b32 v63, 7, v63
	s_delay_alu instid0(VALU_DEP_1) | instskip(NEXT) | instid1(VALU_DEP_2)
	v_dual_cndmask_b32 v62, v62, v63 :: v_dual_and_b32 v63, 0x80000000, v74
	v_lshl_add_u32 v72, v72, 23, 0x3b800000
	s_delay_alu instid0(VALU_DEP_2) | instskip(NEXT) | instid1(VALU_DEP_1)
	v_lshlrev_b32_e32 v62, 20, v62
	v_or3_b32 v62, v63, v72, v62
.LBB6_6596:                             ;   in Loop: Header=BB6_6112 Depth=3
	s_or_b32 exec_lo, exec_lo, s16
	v_lshrrev_b32_e32 v63, 16, v27
	s_mov_b32 s13, 0
	s_mov_b32 s17, exec_lo
                                        ; implicit-def: $sgpr16
	s_delay_alu instid0(VALU_DEP_1) | instskip(NEXT) | instid1(VALU_DEP_1)
	v_and_b32_e32 v73, 0xff, v63
	v_cmpx_lt_i16_e32 0x7f, v73
	s_xor_b32 s17, exec_lo, s17
	s_cbranch_execnz .LBB6_7378
; %bb.6597:                             ;   in Loop: Header=BB6_6112 Depth=3
	s_or_saveexec_b32 s17, s17
	v_mov_b32_e32 v72, s16
	s_xor_b32 exec_lo, exec_lo, s17
	s_cbranch_execnz .LBB6_7381
.LBB6_6598:                             ;   in Loop: Header=BB6_6112 Depth=3
	s_or_b32 exec_lo, exec_lo, s17
	s_and_saveexec_b32 s16, s13
	s_cbranch_execz .LBB6_6600
.LBB6_6599:                             ;   in Loop: Header=BB6_6112 Depth=3
	v_bfe_u32 v72, v27, 16, 3
	v_lshlrev_b32_e32 v75, 8, v27
	s_delay_alu instid0(VALU_DEP_2) | instskip(NEXT) | instid1(VALU_DEP_1)
	v_clz_i32_u32_e32 v73, v72
	v_min_u32_e32 v73, 32, v73
	s_delay_alu instid0(VALU_DEP_1) | instskip(SKIP_1) | instid1(VALU_DEP_2)
	v_subrev_nc_u32_e32 v74, 28, v73
	v_sub_nc_u32_e32 v73, 29, v73
	v_lshlrev_b32_e32 v63, v74, v63
	v_bfe_u32 v74, v27, 19, 4
	s_delay_alu instid0(VALU_DEP_2) | instskip(NEXT) | instid1(VALU_DEP_2)
	v_and_b32_e32 v63, 7, v63
	v_cmp_eq_u32_e32 vcc_lo, 0, v74
	v_cndmask_b32_e32 v73, v74, v73, vcc_lo
	s_delay_alu instid0(VALU_DEP_3) | instskip(SKIP_1) | instid1(VALU_DEP_3)
	v_cndmask_b32_e32 v63, v72, v63, vcc_lo
	v_and_b32_e32 v72, 0x80000000, v75
	v_lshl_add_u32 v73, v73, 23, 0x3b800000
	s_delay_alu instid0(VALU_DEP_3) | instskip(NEXT) | instid1(VALU_DEP_1)
	v_lshlrev_b32_e32 v63, 20, v63
	v_or3_b32 v72, v72, v73, v63
.LBB6_6600:                             ;   in Loop: Header=BB6_6112 Depth=3
	s_or_b32 exec_lo, exec_lo, s16
	s_delay_alu instid0(VALU_DEP_1) | instskip(NEXT) | instid1(VALU_DEP_1)
	v_add_f32_e32 v63, v62, v72
	v_and_b32_e32 v62, 0x7f800000, v63
	s_delay_alu instid0(VALU_DEP_1)
	v_cmp_ne_u32_e32 vcc_lo, 0x7f800000, v62
	v_mov_b32_e32 v62, 0x80
	s_and_saveexec_b32 s16, vcc_lo
	s_cbranch_execz .LBB6_6608
; %bb.6601:                             ;   in Loop: Header=BB6_6112 Depth=3
	v_mov_b32_e32 v62, 0
	s_mov_b32 s17, exec_lo
	v_cmpx_ne_u32_e32 0, v63
	s_cbranch_execz .LBB6_6607
; %bb.6602:                             ;   in Loop: Header=BB6_6112 Depth=3
	v_bfe_u32 v62, v63, 23, 8
	s_delay_alu instid0(VALU_DEP_1) | instskip(SKIP_1) | instid1(VALU_DEP_2)
	v_sub_nc_u32_e32 v73, 0x78, v62
	v_cmp_gt_u32_e32 vcc_lo, 0x79, v62
	v_dual_cndmask_b32 v73, 0, v73 :: v_dual_and_b32 v72, 0x7fffff, v63
	s_delay_alu instid0(VALU_DEP_1) | instskip(SKIP_2) | instid1(VALU_DEP_4)
	v_or_b32_e32 v74, 0x800000, v72
	v_cmp_eq_u32_e32 vcc_lo, 0, v62
	v_add_nc_u32_e32 v62, 0xffffff89, v62
	v_cndmask_b32_e64 v73, v73, 0x77, vcc_lo
	s_delay_alu instid0(VALU_DEP_2) | instskip(SKIP_1) | instid1(VALU_DEP_3)
	v_cndmask_b32_e64 v62, v62, 0xffffff8a, vcc_lo
	v_cndmask_b32_e32 v72, v74, v72, vcc_lo
	v_lshl_add_u32 v74, 0x100000, v73, -1
	v_lshlrev_b32_e64 v77, v73, 0x80000
	s_delay_alu instid0(VALU_DEP_3) | instskip(SKIP_1) | instid1(VALU_DEP_4)
	v_lshrrev_b32_e32 v75, v73, v72
	v_add_nc_u32_e32 v73, v73, v62
	v_and_b32_e32 v72, v74, v72
	s_delay_alu instid0(VALU_DEP_3) | instskip(NEXT) | instid1(VALU_DEP_2)
	v_bfe_u32 v76, v75, 20, 1
	v_cmp_eq_u32_e64 s13, v72, v77
	s_delay_alu instid0(VALU_DEP_2) | instskip(NEXT) | instid1(VALU_DEP_1)
	v_add_nc_u32_e32 v74, -1, v76
	v_cndmask_b32_e64 v72, 0, v74, s13
	v_lshrrev_b32_e32 v74, 23, v75
	s_mov_b32 s13, exec_lo
	s_delay_alu instid0(VALU_DEP_2) | instskip(NEXT) | instid1(VALU_DEP_2)
	v_add_nc_u32_e32 v72, v72, v75
	v_xor_b32_e32 v74, 1, v74
	s_delay_alu instid0(VALU_DEP_2) | instskip(NEXT) | instid1(VALU_DEP_1)
	v_and_b32_e32 v62, 0xfffff, v72
	v_add_nc_u32_e32 v72, v62, v75
                                        ; implicit-def: $vgpr62
	s_delay_alu instid0(VALU_DEP_3)
	v_cmpx_ne_u32_e64 v73, v74
	s_xor_b32 s13, exec_lo, s13
; %bb.6603:                             ;   in Loop: Header=BB6_6112 Depth=3
	s_delay_alu instid0(VALU_DEP_2) | instskip(SKIP_2) | instid1(VALU_DEP_2)
	v_cmp_lt_u32_e32 vcc_lo, 0xffffff, v72
	v_sub_nc_u32_e32 v62, v73, v74
	v_cndmask_b32_e64 v73, 0, 1, vcc_lo
	v_add_co_ci_u32_e32 v62, vcc_lo, 0, v62, vcc_lo
	s_delay_alu instid0(VALU_DEP_2)
	v_lshrrev_b32_e32 v72, v73, v72
; %bb.6604:                             ;   in Loop: Header=BB6_6112 Depth=3
	s_and_not1_saveexec_b32 s13, s13
; %bb.6605:                             ;   in Loop: Header=BB6_6112 Depth=3
	s_delay_alu instid0(VALU_DEP_1)
	v_bfe_u32 v62, v72, 23, 1
; %bb.6606:                             ;   in Loop: Header=BB6_6112 Depth=3
	s_or_b32 exec_lo, exec_lo, s13
	v_lshrrev_b32_e32 v72, 20, v72
	s_delay_alu instid0(VALU_DEP_2) | instskip(SKIP_2) | instid1(VALU_DEP_2)
	v_cmp_gt_i32_e32 vcc_lo, 16, v62
	v_min_i32_e32 v73, 15, v62
	v_lshrrev_b32_e32 v63, 24, v63
	v_dual_cndmask_b32 v72, 7, v72 :: v_dual_lshlrev_b32 v73, 3, v73
	s_delay_alu instid0(VALU_DEP_2) | instskip(NEXT) | instid1(VALU_DEP_2)
	v_and_b32_e32 v63, 0x80, v63
	v_or_b32_e32 v62, v62, v72
	v_and_b32_e32 v74, 7, v72
	s_delay_alu instid0(VALU_DEP_2) | instskip(SKIP_1) | instid1(VALU_DEP_1)
	v_cmp_ne_u32_e32 vcc_lo, 0, v62
	v_and_b32_e32 v73, 0xf8, v73
	v_or3_b32 v63, v73, v63, v74
	s_delay_alu instid0(VALU_DEP_1)
	v_cndmask_b32_e32 v62, 0, v63, vcc_lo
.LBB6_6607:                             ;   in Loop: Header=BB6_6112 Depth=3
	s_or_b32 exec_lo, exec_lo, s17
.LBB6_6608:                             ;   in Loop: Header=BB6_6112 Depth=3
	s_delay_alu instid0(SALU_CYCLE_1) | instskip(SKIP_3) | instid1(VALU_DEP_1)
	s_or_b32 exec_lo, exec_lo, s16
	v_lshrrev_b32_e32 v72, 24, v35
	s_mov_b32 s13, 0
	s_mov_b32 s17, exec_lo
                                        ; implicit-def: $sgpr16
	v_cmpx_lt_i16_e32 0x7f, v72
	s_xor_b32 s17, exec_lo, s17
	s_cbranch_execnz .LBB6_7382
; %bb.6609:                             ;   in Loop: Header=BB6_6112 Depth=3
	s_or_saveexec_b32 s17, s17
	v_mov_b32_e32 v63, s16
	s_xor_b32 exec_lo, exec_lo, s17
	s_cbranch_execnz .LBB6_7385
.LBB6_6610:                             ;   in Loop: Header=BB6_6112 Depth=3
	s_or_b32 exec_lo, exec_lo, s17
	s_and_saveexec_b32 s16, s13
	s_cbranch_execz .LBB6_6612
.LBB6_6611:                             ;   in Loop: Header=BB6_6112 Depth=3
	v_bfe_u32 v63, v35, 24, 3
	s_delay_alu instid0(VALU_DEP_1) | instskip(NEXT) | instid1(VALU_DEP_1)
	v_clz_i32_u32_e32 v73, v63
	v_min_u32_e32 v73, 32, v73
	s_delay_alu instid0(VALU_DEP_1) | instskip(SKIP_1) | instid1(VALU_DEP_2)
	v_subrev_nc_u32_e32 v74, 28, v73
	v_sub_nc_u32_e32 v73, 29, v73
	v_lshlrev_b32_e32 v72, v74, v72
	v_bfe_u32 v74, v35, 27, 4
	v_and_b32_e32 v35, 0x80000000, v35
	s_delay_alu instid0(VALU_DEP_2) | instskip(NEXT) | instid1(VALU_DEP_4)
	v_cmp_eq_u32_e32 vcc_lo, 0, v74
	v_dual_cndmask_b32 v73, v74, v73 :: v_dual_and_b32 v72, 7, v72
	s_delay_alu instid0(VALU_DEP_1) | instskip(NEXT) | instid1(VALU_DEP_2)
	v_cndmask_b32_e32 v63, v63, v72, vcc_lo
	v_lshl_add_u32 v72, v73, 23, 0x3b800000
	s_delay_alu instid0(VALU_DEP_2) | instskip(NEXT) | instid1(VALU_DEP_1)
	v_lshlrev_b32_e32 v63, 20, v63
	v_or3_b32 v63, v35, v72, v63
.LBB6_6612:                             ;   in Loop: Header=BB6_6112 Depth=3
	s_or_b32 exec_lo, exec_lo, s16
	v_lshrrev_b32_e32 v35, 24, v27
	s_mov_b32 s13, 0
	s_mov_b32 s17, exec_lo
                                        ; implicit-def: $sgpr16
	s_delay_alu instid0(VALU_DEP_1)
	v_cmpx_lt_i16_e32 0x7f, v35
	s_xor_b32 s17, exec_lo, s17
	s_cbranch_execnz .LBB6_7386
; %bb.6613:                             ;   in Loop: Header=BB6_6112 Depth=3
	s_or_saveexec_b32 s17, s17
	v_mov_b32_e32 v72, s16
	s_xor_b32 exec_lo, exec_lo, s17
	s_cbranch_execnz .LBB6_7389
.LBB6_6614:                             ;   in Loop: Header=BB6_6112 Depth=3
	s_or_b32 exec_lo, exec_lo, s17
	s_and_saveexec_b32 s16, s13
	s_cbranch_execz .LBB6_6616
.LBB6_6615:                             ;   in Loop: Header=BB6_6112 Depth=3
	v_bfe_u32 v72, v27, 24, 3
	s_delay_alu instid0(VALU_DEP_1) | instskip(NEXT) | instid1(VALU_DEP_1)
	v_clz_i32_u32_e32 v73, v72
	v_min_u32_e32 v73, 32, v73
	s_delay_alu instid0(VALU_DEP_1) | instskip(SKIP_1) | instid1(VALU_DEP_2)
	v_subrev_nc_u32_e32 v74, 28, v73
	v_sub_nc_u32_e32 v73, 29, v73
	v_lshlrev_b32_e32 v35, v74, v35
	v_bfe_u32 v74, v27, 27, 4
	v_and_b32_e32 v27, 0x80000000, v27
	s_delay_alu instid0(VALU_DEP_3) | instskip(NEXT) | instid1(VALU_DEP_3)
	v_and_b32_e32 v35, 7, v35
	v_cmp_eq_u32_e32 vcc_lo, 0, v74
	v_cndmask_b32_e32 v73, v74, v73, vcc_lo
	s_delay_alu instid0(VALU_DEP_3) | instskip(NEXT) | instid1(VALU_DEP_2)
	v_cndmask_b32_e32 v35, v72, v35, vcc_lo
	v_lshl_add_u32 v72, v73, 23, 0x3b800000
	s_delay_alu instid0(VALU_DEP_2) | instskip(NEXT) | instid1(VALU_DEP_1)
	v_lshlrev_b32_e32 v35, 20, v35
	v_or3_b32 v72, v27, v72, v35
.LBB6_6616:                             ;   in Loop: Header=BB6_6112 Depth=3
	s_or_b32 exec_lo, exec_lo, s16
	s_delay_alu instid0(VALU_DEP_1) | instskip(NEXT) | instid1(VALU_DEP_1)
	v_add_f32_e32 v35, v63, v72
	v_and_b32_e32 v27, 0x7f800000, v35
	s_delay_alu instid0(VALU_DEP_1)
	v_cmp_ne_u32_e32 vcc_lo, 0x7f800000, v27
	v_mov_b32_e32 v27, 0x8000
	s_and_saveexec_b32 s16, vcc_lo
	s_cbranch_execz .LBB6_6624
; %bb.6617:                             ;   in Loop: Header=BB6_6112 Depth=3
	v_mov_b32_e32 v27, 0
	s_mov_b32 s17, exec_lo
	v_cmpx_ne_u32_e32 0, v35
	s_cbranch_execz .LBB6_6623
; %bb.6618:                             ;   in Loop: Header=BB6_6112 Depth=3
	v_bfe_u32 v27, v35, 23, 8
	s_delay_alu instid0(VALU_DEP_1) | instskip(SKIP_1) | instid1(VALU_DEP_2)
	v_sub_nc_u32_e32 v72, 0x78, v27
	v_cmp_gt_u32_e32 vcc_lo, 0x79, v27
	v_dual_cndmask_b32 v72, 0, v72 :: v_dual_and_b32 v63, 0x7fffff, v35
	s_delay_alu instid0(VALU_DEP_1) | instskip(SKIP_2) | instid1(VALU_DEP_4)
	v_or_b32_e32 v73, 0x800000, v63
	v_cmp_eq_u32_e32 vcc_lo, 0, v27
	v_add_nc_u32_e32 v27, 0xffffff89, v27
	v_cndmask_b32_e64 v72, v72, 0x77, vcc_lo
	s_delay_alu instid0(VALU_DEP_4) | instskip(NEXT) | instid1(VALU_DEP_3)
	v_cndmask_b32_e32 v63, v73, v63, vcc_lo
	v_cndmask_b32_e64 v27, v27, 0xffffff8a, vcc_lo
	s_delay_alu instid0(VALU_DEP_3) | instskip(NEXT) | instid1(VALU_DEP_3)
	v_lshl_add_u32 v73, 0x100000, v72, -1
	v_lshrrev_b32_e32 v74, v72, v63
	v_lshlrev_b32_e64 v76, v72, 0x80000
	s_delay_alu instid0(VALU_DEP_4) | instskip(NEXT) | instid1(VALU_DEP_4)
	v_add_nc_u32_e32 v72, v72, v27
	v_and_b32_e32 v63, v73, v63
	s_delay_alu instid0(VALU_DEP_4) | instskip(NEXT) | instid1(VALU_DEP_2)
	v_bfe_u32 v75, v74, 20, 1
	v_cmp_eq_u32_e64 s13, v63, v76
	s_delay_alu instid0(VALU_DEP_2) | instskip(NEXT) | instid1(VALU_DEP_1)
	v_add_nc_u32_e32 v73, -1, v75
	v_cndmask_b32_e64 v63, 0, v73, s13
	v_lshrrev_b32_e32 v73, 23, v74
	s_mov_b32 s13, exec_lo
	s_delay_alu instid0(VALU_DEP_2) | instskip(NEXT) | instid1(VALU_DEP_2)
	v_add_nc_u32_e32 v63, v63, v74
	v_xor_b32_e32 v73, 1, v73
	s_delay_alu instid0(VALU_DEP_2) | instskip(NEXT) | instid1(VALU_DEP_1)
	v_and_b32_e32 v27, 0xfffff, v63
	v_add_nc_u32_e32 v63, v27, v74
                                        ; implicit-def: $vgpr27
	s_delay_alu instid0(VALU_DEP_3)
	v_cmpx_ne_u32_e64 v72, v73
	s_xor_b32 s13, exec_lo, s13
; %bb.6619:                             ;   in Loop: Header=BB6_6112 Depth=3
	s_delay_alu instid0(VALU_DEP_2) | instskip(SKIP_2) | instid1(VALU_DEP_2)
	v_cmp_lt_u32_e32 vcc_lo, 0xffffff, v63
	v_sub_nc_u32_e32 v27, v72, v73
	v_cndmask_b32_e64 v72, 0, 1, vcc_lo
	v_add_co_ci_u32_e32 v27, vcc_lo, 0, v27, vcc_lo
	s_delay_alu instid0(VALU_DEP_2)
	v_lshrrev_b32_e32 v63, v72, v63
; %bb.6620:                             ;   in Loop: Header=BB6_6112 Depth=3
	s_and_not1_saveexec_b32 s13, s13
; %bb.6621:                             ;   in Loop: Header=BB6_6112 Depth=3
	s_delay_alu instid0(VALU_DEP_1)
	v_bfe_u32 v27, v63, 23, 1
; %bb.6622:                             ;   in Loop: Header=BB6_6112 Depth=3
	s_or_b32 exec_lo, exec_lo, s13
	v_lshrrev_b32_e32 v63, 20, v63
	s_delay_alu instid0(VALU_DEP_2) | instskip(SKIP_2) | instid1(VALU_DEP_2)
	v_cmp_gt_i32_e32 vcc_lo, 16, v27
	v_min_i32_e32 v72, 15, v27
	v_lshrrev_b32_e32 v35, 24, v35
	v_dual_cndmask_b32 v63, 7, v63 :: v_dual_lshlrev_b32 v72, 3, v72
	s_delay_alu instid0(VALU_DEP_2) | instskip(NEXT) | instid1(VALU_DEP_2)
	v_and_b32_e32 v35, 0x80, v35
	v_or_b32_e32 v27, v27, v63
	v_and_b32_e32 v73, 7, v63
	s_delay_alu instid0(VALU_DEP_2) | instskip(SKIP_1) | instid1(VALU_DEP_1)
	v_cmp_ne_u32_e32 vcc_lo, 0, v27
	v_and_b32_e32 v72, 0xf8, v72
	v_or3_b32 v35, v35, v72, v73
	s_delay_alu instid0(VALU_DEP_1) | instskip(NEXT) | instid1(VALU_DEP_1)
	v_lshlrev_b32_e32 v35, 8, v35
	v_cndmask_b32_e32 v27, 0, v35, vcc_lo
.LBB6_6623:                             ;   in Loop: Header=BB6_6112 Depth=3
	s_or_b32 exec_lo, exec_lo, s17
.LBB6_6624:                             ;   in Loop: Header=BB6_6112 Depth=3
	s_delay_alu instid0(SALU_CYCLE_1) | instskip(SKIP_3) | instid1(VALU_DEP_1)
	s_or_b32 exec_lo, exec_lo, s16
	v_and_b32_e32 v63, 0xff, v20
	s_mov_b32 s13, 0
	s_mov_b32 s17, exec_lo
                                        ; implicit-def: $sgpr16
	v_cmpx_lt_i16_e32 0x7f, v63
	s_xor_b32 s17, exec_lo, s17
	s_cbranch_execnz .LBB6_7390
; %bb.6625:                             ;   in Loop: Header=BB6_6112 Depth=3
	s_or_saveexec_b32 s17, s17
	v_mov_b32_e32 v35, s16
	s_xor_b32 exec_lo, exec_lo, s17
	s_cbranch_execnz .LBB6_7393
.LBB6_6626:                             ;   in Loop: Header=BB6_6112 Depth=3
	s_or_b32 exec_lo, exec_lo, s17
	s_and_saveexec_b32 s16, s13
	s_cbranch_execz .LBB6_6628
.LBB6_6627:                             ;   in Loop: Header=BB6_6112 Depth=3
	v_and_b32_e32 v35, 7, v20
	v_bfe_u32 v73, v20, 3, 4
	v_lshlrev_b32_e32 v74, 24, v20
	s_delay_alu instid0(VALU_DEP_3) | instskip(NEXT) | instid1(VALU_DEP_3)
	v_clz_i32_u32_e32 v63, v35
	v_cmp_eq_u32_e32 vcc_lo, 0, v73
	s_delay_alu instid0(VALU_DEP_2) | instskip(NEXT) | instid1(VALU_DEP_1)
	v_min_u32_e32 v63, 32, v63
	v_subrev_nc_u32_e32 v72, 28, v63
	v_sub_nc_u32_e32 v63, 29, v63
	s_delay_alu instid0(VALU_DEP_1) | instskip(NEXT) | instid1(VALU_DEP_1)
	v_dual_cndmask_b32 v63, v73, v63 :: v_dual_lshlrev_b32 v72, v72, v20
	v_and_b32_e32 v72, 7, v72
	s_delay_alu instid0(VALU_DEP_2) | instskip(NEXT) | instid1(VALU_DEP_2)
	v_lshl_add_u32 v63, v63, 23, 0x3b800000
	v_dual_cndmask_b32 v35, v35, v72 :: v_dual_and_b32 v72, 0x80000000, v74
	s_delay_alu instid0(VALU_DEP_1) | instskip(NEXT) | instid1(VALU_DEP_1)
	v_lshlrev_b32_e32 v35, 20, v35
	v_or3_b32 v35, v72, v63, v35
.LBB6_6628:                             ;   in Loop: Header=BB6_6112 Depth=3
	s_or_b32 exec_lo, exec_lo, s16
	s_waitcnt vmcnt(1)
	v_and_b32_e32 v72, 0xff, v16
	s_mov_b32 s13, 0
	s_mov_b32 s17, exec_lo
                                        ; implicit-def: $sgpr16
	s_delay_alu instid0(VALU_DEP_1)
	v_cmpx_lt_i16_e32 0x7f, v72
	s_xor_b32 s17, exec_lo, s17
	s_cbranch_execnz .LBB6_7394
; %bb.6629:                             ;   in Loop: Header=BB6_6112 Depth=3
	s_or_saveexec_b32 s17, s17
	v_mov_b32_e32 v63, s16
	s_xor_b32 exec_lo, exec_lo, s17
	s_cbranch_execnz .LBB6_7397
.LBB6_6630:                             ;   in Loop: Header=BB6_6112 Depth=3
	s_or_b32 exec_lo, exec_lo, s17
	s_and_saveexec_b32 s16, s13
	s_cbranch_execz .LBB6_6632
.LBB6_6631:                             ;   in Loop: Header=BB6_6112 Depth=3
	v_and_b32_e32 v63, 7, v16
	v_bfe_u32 v74, v16, 3, 4
	v_lshlrev_b32_e32 v75, 24, v16
	s_delay_alu instid0(VALU_DEP_3) | instskip(NEXT) | instid1(VALU_DEP_3)
	v_clz_i32_u32_e32 v72, v63
	v_cmp_eq_u32_e32 vcc_lo, 0, v74
	s_delay_alu instid0(VALU_DEP_2) | instskip(NEXT) | instid1(VALU_DEP_1)
	v_min_u32_e32 v72, 32, v72
	v_subrev_nc_u32_e32 v73, 28, v72
	v_sub_nc_u32_e32 v72, 29, v72
	s_delay_alu instid0(VALU_DEP_2) | instskip(NEXT) | instid1(VALU_DEP_1)
	v_lshlrev_b32_e32 v73, v73, v16
	v_dual_cndmask_b32 v72, v74, v72 :: v_dual_and_b32 v73, 7, v73
	s_delay_alu instid0(VALU_DEP_1) | instskip(NEXT) | instid1(VALU_DEP_2)
	v_lshl_add_u32 v72, v72, 23, 0x3b800000
	v_cndmask_b32_e32 v63, v63, v73, vcc_lo
	v_and_b32_e32 v73, 0x80000000, v75
	s_delay_alu instid0(VALU_DEP_2) | instskip(NEXT) | instid1(VALU_DEP_1)
	v_lshlrev_b32_e32 v63, 20, v63
	v_or3_b32 v63, v73, v72, v63
.LBB6_6632:                             ;   in Loop: Header=BB6_6112 Depth=3
	s_or_b32 exec_lo, exec_lo, s16
	s_delay_alu instid0(VALU_DEP_1) | instskip(NEXT) | instid1(VALU_DEP_1)
	v_add_f32_e32 v63, v35, v63
	v_and_b32_e32 v35, 0x7f800000, v63
	s_delay_alu instid0(VALU_DEP_1)
	v_cmp_ne_u32_e32 vcc_lo, 0x7f800000, v35
	v_mov_b32_e32 v35, 0x80
	s_and_saveexec_b32 s16, vcc_lo
	s_cbranch_execz .LBB6_6640
; %bb.6633:                             ;   in Loop: Header=BB6_6112 Depth=3
	v_mov_b32_e32 v35, 0
	s_mov_b32 s17, exec_lo
	v_cmpx_ne_u32_e32 0, v63
	s_cbranch_execz .LBB6_6639
; %bb.6634:                             ;   in Loop: Header=BB6_6112 Depth=3
	v_bfe_u32 v35, v63, 23, 8
	s_delay_alu instid0(VALU_DEP_1) | instskip(SKIP_1) | instid1(VALU_DEP_2)
	v_sub_nc_u32_e32 v73, 0x78, v35
	v_cmp_gt_u32_e32 vcc_lo, 0x79, v35
	v_dual_cndmask_b32 v73, 0, v73 :: v_dual_and_b32 v72, 0x7fffff, v63
	s_delay_alu instid0(VALU_DEP_1) | instskip(SKIP_2) | instid1(VALU_DEP_4)
	v_or_b32_e32 v74, 0x800000, v72
	v_cmp_eq_u32_e32 vcc_lo, 0, v35
	v_add_nc_u32_e32 v35, 0xffffff89, v35
	v_cndmask_b32_e64 v73, v73, 0x77, vcc_lo
	s_delay_alu instid0(VALU_DEP_4) | instskip(NEXT) | instid1(VALU_DEP_3)
	v_cndmask_b32_e32 v72, v74, v72, vcc_lo
	v_cndmask_b32_e64 v35, v35, 0xffffff8a, vcc_lo
	s_delay_alu instid0(VALU_DEP_3) | instskip(NEXT) | instid1(VALU_DEP_3)
	v_lshl_add_u32 v74, 0x100000, v73, -1
	v_lshrrev_b32_e32 v75, v73, v72
	v_lshlrev_b32_e64 v77, v73, 0x80000
	s_delay_alu instid0(VALU_DEP_4) | instskip(NEXT) | instid1(VALU_DEP_4)
	v_add_nc_u32_e32 v73, v73, v35
	v_and_b32_e32 v72, v74, v72
	s_delay_alu instid0(VALU_DEP_4) | instskip(NEXT) | instid1(VALU_DEP_2)
	v_bfe_u32 v76, v75, 20, 1
	v_cmp_eq_u32_e64 s13, v72, v77
	s_delay_alu instid0(VALU_DEP_2) | instskip(NEXT) | instid1(VALU_DEP_1)
	v_add_nc_u32_e32 v74, -1, v76
	v_cndmask_b32_e64 v72, 0, v74, s13
	v_lshrrev_b32_e32 v74, 23, v75
	s_mov_b32 s13, exec_lo
	s_delay_alu instid0(VALU_DEP_2) | instskip(NEXT) | instid1(VALU_DEP_2)
	v_add_nc_u32_e32 v72, v72, v75
	v_xor_b32_e32 v74, 1, v74
	s_delay_alu instid0(VALU_DEP_2) | instskip(NEXT) | instid1(VALU_DEP_1)
	v_and_b32_e32 v35, 0xfffff, v72
	v_add_nc_u32_e32 v72, v35, v75
                                        ; implicit-def: $vgpr35
	s_delay_alu instid0(VALU_DEP_3)
	v_cmpx_ne_u32_e64 v73, v74
	s_xor_b32 s13, exec_lo, s13
; %bb.6635:                             ;   in Loop: Header=BB6_6112 Depth=3
	s_delay_alu instid0(VALU_DEP_2) | instskip(SKIP_2) | instid1(VALU_DEP_2)
	v_cmp_lt_u32_e32 vcc_lo, 0xffffff, v72
	v_sub_nc_u32_e32 v35, v73, v74
	v_cndmask_b32_e64 v73, 0, 1, vcc_lo
	v_add_co_ci_u32_e32 v35, vcc_lo, 0, v35, vcc_lo
	s_delay_alu instid0(VALU_DEP_2)
	v_lshrrev_b32_e32 v72, v73, v72
; %bb.6636:                             ;   in Loop: Header=BB6_6112 Depth=3
	s_and_not1_saveexec_b32 s13, s13
; %bb.6637:                             ;   in Loop: Header=BB6_6112 Depth=3
	s_delay_alu instid0(VALU_DEP_1)
	v_bfe_u32 v35, v72, 23, 1
; %bb.6638:                             ;   in Loop: Header=BB6_6112 Depth=3
	s_or_b32 exec_lo, exec_lo, s13
	v_lshrrev_b32_e32 v72, 20, v72
	s_delay_alu instid0(VALU_DEP_2) | instskip(SKIP_2) | instid1(VALU_DEP_2)
	v_cmp_gt_i32_e32 vcc_lo, 16, v35
	v_lshrrev_b32_e32 v63, 24, v63
	v_min_i32_e32 v73, 15, v35
	v_dual_cndmask_b32 v72, 7, v72 :: v_dual_and_b32 v63, 0x80, v63
	s_delay_alu instid0(VALU_DEP_2) | instskip(NEXT) | instid1(VALU_DEP_2)
	v_lshlrev_b32_e32 v73, 3, v73
	v_or_b32_e32 v35, v35, v72
	s_delay_alu instid0(VALU_DEP_1) | instskip(SKIP_1) | instid1(VALU_DEP_1)
	v_cmp_ne_u32_e32 vcc_lo, 0, v35
	v_and_b32_e32 v74, 7, v72
	v_or3_b32 v63, v73, v63, v74
	s_delay_alu instid0(VALU_DEP_1)
	v_cndmask_b32_e32 v35, 0, v63, vcc_lo
.LBB6_6639:                             ;   in Loop: Header=BB6_6112 Depth=3
	s_or_b32 exec_lo, exec_lo, s17
.LBB6_6640:                             ;   in Loop: Header=BB6_6112 Depth=3
	s_delay_alu instid0(SALU_CYCLE_1) | instskip(SKIP_3) | instid1(VALU_DEP_1)
	s_or_b32 exec_lo, exec_lo, s16
	v_lshrrev_b16 v72, 8, v20
	s_mov_b32 s13, 0
	s_mov_b32 s17, exec_lo
                                        ; implicit-def: $sgpr16
	v_cmpx_lt_i16_e32 0x7f, v72
	s_xor_b32 s17, exec_lo, s17
	s_cbranch_execnz .LBB6_7398
; %bb.6641:                             ;   in Loop: Header=BB6_6112 Depth=3
	s_or_saveexec_b32 s17, s17
	v_mov_b32_e32 v63, s16
	s_xor_b32 exec_lo, exec_lo, s17
	s_cbranch_execnz .LBB6_7401
.LBB6_6642:                             ;   in Loop: Header=BB6_6112 Depth=3
	s_or_b32 exec_lo, exec_lo, s17
	s_and_saveexec_b32 s16, s13
	s_cbranch_execz .LBB6_6644
.LBB6_6643:                             ;   in Loop: Header=BB6_6112 Depth=3
	v_and_b32_e32 v63, 0xffff, v72
	s_delay_alu instid0(VALU_DEP_1) | instskip(NEXT) | instid1(VALU_DEP_1)
	v_and_b32_e32 v73, 7, v63
	v_clz_i32_u32_e32 v74, v73
	s_delay_alu instid0(VALU_DEP_1) | instskip(NEXT) | instid1(VALU_DEP_1)
	v_min_u32_e32 v74, 32, v74
	v_subrev_nc_u32_e32 v75, 28, v74
	v_sub_nc_u32_e32 v74, 29, v74
	s_delay_alu instid0(VALU_DEP_2) | instskip(SKIP_1) | instid1(VALU_DEP_2)
	v_lshlrev_b32_e32 v75, v75, v63
	v_bfe_u32 v63, v63, 3, 4
	v_and_b32_e32 v75, 7, v75
	s_delay_alu instid0(VALU_DEP_2) | instskip(SKIP_1) | instid1(VALU_DEP_1)
	v_cmp_eq_u32_e32 vcc_lo, 0, v63
	v_dual_cndmask_b32 v63, v63, v74 :: v_dual_lshlrev_b32 v72, 24, v72
	v_dual_cndmask_b32 v73, v73, v75 :: v_dual_and_b32 v72, 0x80000000, v72
	s_delay_alu instid0(VALU_DEP_2) | instskip(NEXT) | instid1(VALU_DEP_2)
	v_lshl_add_u32 v63, v63, 23, 0x3b800000
	v_lshlrev_b32_e32 v73, 20, v73
	s_delay_alu instid0(VALU_DEP_1)
	v_or3_b32 v63, v72, v63, v73
.LBB6_6644:                             ;   in Loop: Header=BB6_6112 Depth=3
	s_or_b32 exec_lo, exec_lo, s16
	v_lshrrev_b16 v72, 8, v16
	s_mov_b32 s13, 0
	s_mov_b32 s17, exec_lo
                                        ; implicit-def: $sgpr16
	s_delay_alu instid0(VALU_DEP_1)
	v_cmpx_lt_i16_e32 0x7f, v72
	s_xor_b32 s17, exec_lo, s17
	s_cbranch_execnz .LBB6_7402
; %bb.6645:                             ;   in Loop: Header=BB6_6112 Depth=3
	s_or_saveexec_b32 s17, s17
	v_mov_b32_e32 v73, s16
	s_xor_b32 exec_lo, exec_lo, s17
	s_cbranch_execnz .LBB6_7405
.LBB6_6646:                             ;   in Loop: Header=BB6_6112 Depth=3
	s_or_b32 exec_lo, exec_lo, s17
	s_and_saveexec_b32 s16, s13
	s_cbranch_execz .LBB6_6648
.LBB6_6647:                             ;   in Loop: Header=BB6_6112 Depth=3
	v_and_b32_e32 v73, 0xffff, v72
	v_lshlrev_b32_e32 v72, 24, v72
	s_delay_alu instid0(VALU_DEP_2) | instskip(NEXT) | instid1(VALU_DEP_2)
	v_and_b32_e32 v74, 7, v73
	v_and_b32_e32 v72, 0x80000000, v72
	s_delay_alu instid0(VALU_DEP_2) | instskip(NEXT) | instid1(VALU_DEP_1)
	v_clz_i32_u32_e32 v75, v74
	v_min_u32_e32 v75, 32, v75
	s_delay_alu instid0(VALU_DEP_1) | instskip(SKIP_1) | instid1(VALU_DEP_2)
	v_subrev_nc_u32_e32 v76, 28, v75
	v_sub_nc_u32_e32 v75, 29, v75
	v_lshlrev_b32_e32 v76, v76, v73
	v_bfe_u32 v73, v73, 3, 4
	s_delay_alu instid0(VALU_DEP_2) | instskip(NEXT) | instid1(VALU_DEP_2)
	v_and_b32_e32 v76, 7, v76
	v_cmp_eq_u32_e32 vcc_lo, 0, v73
	s_delay_alu instid0(VALU_DEP_2) | instskip(NEXT) | instid1(VALU_DEP_1)
	v_dual_cndmask_b32 v73, v73, v75 :: v_dual_cndmask_b32 v74, v74, v76
	v_lshl_add_u32 v73, v73, 23, 0x3b800000
	s_delay_alu instid0(VALU_DEP_2) | instskip(NEXT) | instid1(VALU_DEP_1)
	v_lshlrev_b32_e32 v74, 20, v74
	v_or3_b32 v73, v72, v73, v74
.LBB6_6648:                             ;   in Loop: Header=BB6_6112 Depth=3
	s_or_b32 exec_lo, exec_lo, s16
	s_delay_alu instid0(VALU_DEP_1) | instskip(NEXT) | instid1(VALU_DEP_1)
	v_add_f32_e32 v72, v63, v73
	v_and_b32_e32 v63, 0x7f800000, v72
	s_delay_alu instid0(VALU_DEP_1)
	v_cmp_ne_u32_e32 vcc_lo, 0x7f800000, v63
	v_mov_b32_e32 v63, 0x80
	s_and_saveexec_b32 s16, vcc_lo
	s_cbranch_execz .LBB6_6656
; %bb.6649:                             ;   in Loop: Header=BB6_6112 Depth=3
	v_mov_b32_e32 v63, 0
	s_mov_b32 s17, exec_lo
	v_cmpx_ne_u32_e32 0, v72
	s_cbranch_execz .LBB6_6655
; %bb.6650:                             ;   in Loop: Header=BB6_6112 Depth=3
	v_bfe_u32 v63, v72, 23, 8
	s_delay_alu instid0(VALU_DEP_1) | instskip(SKIP_1) | instid1(VALU_DEP_2)
	v_sub_nc_u32_e32 v74, 0x78, v63
	v_cmp_gt_u32_e32 vcc_lo, 0x79, v63
	v_dual_cndmask_b32 v74, 0, v74 :: v_dual_and_b32 v73, 0x7fffff, v72
	s_delay_alu instid0(VALU_DEP_1) | instskip(SKIP_2) | instid1(VALU_DEP_4)
	v_or_b32_e32 v75, 0x800000, v73
	v_cmp_eq_u32_e32 vcc_lo, 0, v63
	v_add_nc_u32_e32 v63, 0xffffff89, v63
	v_cndmask_b32_e64 v74, v74, 0x77, vcc_lo
	s_delay_alu instid0(VALU_DEP_2) | instskip(SKIP_1) | instid1(VALU_DEP_3)
	v_cndmask_b32_e64 v63, v63, 0xffffff8a, vcc_lo
	v_cndmask_b32_e32 v73, v75, v73, vcc_lo
	v_lshl_add_u32 v75, 0x100000, v74, -1
	v_lshlrev_b32_e64 v78, v74, 0x80000
	s_delay_alu instid0(VALU_DEP_3) | instskip(SKIP_1) | instid1(VALU_DEP_4)
	v_lshrrev_b32_e32 v76, v74, v73
	v_add_nc_u32_e32 v74, v74, v63
	v_and_b32_e32 v73, v75, v73
	s_delay_alu instid0(VALU_DEP_3) | instskip(NEXT) | instid1(VALU_DEP_2)
	v_bfe_u32 v77, v76, 20, 1
	v_cmp_eq_u32_e64 s13, v73, v78
	s_delay_alu instid0(VALU_DEP_2) | instskip(NEXT) | instid1(VALU_DEP_1)
	v_add_nc_u32_e32 v75, -1, v77
	v_cndmask_b32_e64 v73, 0, v75, s13
	v_lshrrev_b32_e32 v75, 23, v76
	s_mov_b32 s13, exec_lo
	s_delay_alu instid0(VALU_DEP_2) | instskip(NEXT) | instid1(VALU_DEP_2)
	v_add_nc_u32_e32 v73, v73, v76
	v_xor_b32_e32 v75, 1, v75
	s_delay_alu instid0(VALU_DEP_2) | instskip(NEXT) | instid1(VALU_DEP_1)
	v_and_b32_e32 v63, 0xfffff, v73
	v_add_nc_u32_e32 v73, v63, v76
                                        ; implicit-def: $vgpr63
	s_delay_alu instid0(VALU_DEP_3)
	v_cmpx_ne_u32_e64 v74, v75
	s_xor_b32 s13, exec_lo, s13
; %bb.6651:                             ;   in Loop: Header=BB6_6112 Depth=3
	s_delay_alu instid0(VALU_DEP_2) | instskip(SKIP_2) | instid1(VALU_DEP_2)
	v_cmp_lt_u32_e32 vcc_lo, 0xffffff, v73
	v_sub_nc_u32_e32 v63, v74, v75
	v_cndmask_b32_e64 v74, 0, 1, vcc_lo
	v_add_co_ci_u32_e32 v63, vcc_lo, 0, v63, vcc_lo
	s_delay_alu instid0(VALU_DEP_2)
	v_lshrrev_b32_e32 v73, v74, v73
; %bb.6652:                             ;   in Loop: Header=BB6_6112 Depth=3
	s_and_not1_saveexec_b32 s13, s13
; %bb.6653:                             ;   in Loop: Header=BB6_6112 Depth=3
	s_delay_alu instid0(VALU_DEP_1)
	v_bfe_u32 v63, v73, 23, 1
; %bb.6654:                             ;   in Loop: Header=BB6_6112 Depth=3
	s_or_b32 exec_lo, exec_lo, s13
	v_lshrrev_b32_e32 v73, 20, v73
	s_delay_alu instid0(VALU_DEP_2) | instskip(SKIP_2) | instid1(VALU_DEP_2)
	v_cmp_gt_i32_e32 vcc_lo, 16, v63
	v_lshrrev_b32_e32 v72, 24, v72
	v_min_i32_e32 v74, 15, v63
	v_dual_cndmask_b32 v73, 7, v73 :: v_dual_and_b32 v72, 0x80, v72
	s_delay_alu instid0(VALU_DEP_1) | instskip(SKIP_1) | instid1(VALU_DEP_2)
	v_or_b32_e32 v63, v63, v73
	v_and_b32_e32 v75, 7, v73
	v_cmp_ne_u32_e32 vcc_lo, 0, v63
	v_lshlrev_b32_e32 v74, 3, v74
	s_delay_alu instid0(VALU_DEP_1) | instskip(NEXT) | instid1(VALU_DEP_1)
	v_or3_b32 v72, v74, v72, v75
	v_cndmask_b32_e32 v63, 0, v72, vcc_lo
.LBB6_6655:                             ;   in Loop: Header=BB6_6112 Depth=3
	s_or_b32 exec_lo, exec_lo, s17
.LBB6_6656:                             ;   in Loop: Header=BB6_6112 Depth=3
	s_delay_alu instid0(SALU_CYCLE_1) | instskip(SKIP_3) | instid1(VALU_DEP_1)
	s_or_b32 exec_lo, exec_lo, s16
	v_lshrrev_b32_e32 v73, 16, v20
	s_mov_b32 s13, 0
	s_mov_b32 s17, exec_lo
                                        ; implicit-def: $sgpr16
	v_and_b32_e32 v74, 0xff, v73
	s_delay_alu instid0(VALU_DEP_1)
	v_cmpx_lt_i16_e32 0x7f, v74
	s_xor_b32 s17, exec_lo, s17
	s_cbranch_execnz .LBB6_7406
; %bb.6657:                             ;   in Loop: Header=BB6_6112 Depth=3
	s_or_saveexec_b32 s17, s17
	v_mov_b32_e32 v72, s16
	s_xor_b32 exec_lo, exec_lo, s17
	s_cbranch_execnz .LBB6_7409
.LBB6_6658:                             ;   in Loop: Header=BB6_6112 Depth=3
	s_or_b32 exec_lo, exec_lo, s17
	s_and_saveexec_b32 s16, s13
	s_cbranch_execz .LBB6_6660
.LBB6_6659:                             ;   in Loop: Header=BB6_6112 Depth=3
	v_bfe_u32 v72, v20, 16, 3
	v_lshlrev_b32_e32 v76, 8, v20
	s_delay_alu instid0(VALU_DEP_2) | instskip(NEXT) | instid1(VALU_DEP_1)
	v_clz_i32_u32_e32 v74, v72
	v_min_u32_e32 v74, 32, v74
	s_delay_alu instid0(VALU_DEP_1) | instskip(SKIP_1) | instid1(VALU_DEP_2)
	v_subrev_nc_u32_e32 v75, 28, v74
	v_sub_nc_u32_e32 v74, 29, v74
	v_lshlrev_b32_e32 v73, v75, v73
	v_bfe_u32 v75, v20, 19, 4
	s_delay_alu instid0(VALU_DEP_1) | instskip(NEXT) | instid1(VALU_DEP_3)
	v_cmp_eq_u32_e32 vcc_lo, 0, v75
	v_dual_cndmask_b32 v74, v75, v74 :: v_dual_and_b32 v73, 7, v73
	s_delay_alu instid0(VALU_DEP_1) | instskip(NEXT) | instid1(VALU_DEP_2)
	v_dual_cndmask_b32 v72, v72, v73 :: v_dual_and_b32 v73, 0x80000000, v76
	v_lshl_add_u32 v74, v74, 23, 0x3b800000
	s_delay_alu instid0(VALU_DEP_2) | instskip(NEXT) | instid1(VALU_DEP_1)
	v_lshlrev_b32_e32 v72, 20, v72
	v_or3_b32 v72, v73, v74, v72
.LBB6_6660:                             ;   in Loop: Header=BB6_6112 Depth=3
	s_or_b32 exec_lo, exec_lo, s16
	v_lshrrev_b32_e32 v73, 16, v16
	s_mov_b32 s13, 0
	s_mov_b32 s17, exec_lo
                                        ; implicit-def: $sgpr16
	s_delay_alu instid0(VALU_DEP_1) | instskip(NEXT) | instid1(VALU_DEP_1)
	v_and_b32_e32 v75, 0xff, v73
	v_cmpx_lt_i16_e32 0x7f, v75
	s_xor_b32 s17, exec_lo, s17
	s_cbranch_execnz .LBB6_7410
; %bb.6661:                             ;   in Loop: Header=BB6_6112 Depth=3
	s_or_saveexec_b32 s17, s17
	v_mov_b32_e32 v74, s16
	s_xor_b32 exec_lo, exec_lo, s17
	s_cbranch_execnz .LBB6_7413
.LBB6_6662:                             ;   in Loop: Header=BB6_6112 Depth=3
	s_or_b32 exec_lo, exec_lo, s17
	s_and_saveexec_b32 s16, s13
	s_cbranch_execz .LBB6_6664
.LBB6_6663:                             ;   in Loop: Header=BB6_6112 Depth=3
	v_bfe_u32 v74, v16, 16, 3
	v_lshlrev_b32_e32 v77, 8, v16
	s_delay_alu instid0(VALU_DEP_2) | instskip(NEXT) | instid1(VALU_DEP_1)
	v_clz_i32_u32_e32 v75, v74
	v_min_u32_e32 v75, 32, v75
	s_delay_alu instid0(VALU_DEP_1) | instskip(SKIP_1) | instid1(VALU_DEP_2)
	v_subrev_nc_u32_e32 v76, 28, v75
	v_sub_nc_u32_e32 v75, 29, v75
	v_lshlrev_b32_e32 v73, v76, v73
	v_bfe_u32 v76, v16, 19, 4
	s_delay_alu instid0(VALU_DEP_2) | instskip(NEXT) | instid1(VALU_DEP_2)
	v_and_b32_e32 v73, 7, v73
	v_cmp_eq_u32_e32 vcc_lo, 0, v76
	v_cndmask_b32_e32 v75, v76, v75, vcc_lo
	s_delay_alu instid0(VALU_DEP_3) | instskip(SKIP_1) | instid1(VALU_DEP_3)
	v_cndmask_b32_e32 v73, v74, v73, vcc_lo
	v_and_b32_e32 v74, 0x80000000, v77
	v_lshl_add_u32 v75, v75, 23, 0x3b800000
	s_delay_alu instid0(VALU_DEP_3) | instskip(NEXT) | instid1(VALU_DEP_1)
	v_lshlrev_b32_e32 v73, 20, v73
	v_or3_b32 v74, v74, v75, v73
.LBB6_6664:                             ;   in Loop: Header=BB6_6112 Depth=3
	s_or_b32 exec_lo, exec_lo, s16
	s_delay_alu instid0(VALU_DEP_1) | instskip(NEXT) | instid1(VALU_DEP_1)
	v_add_f32_e32 v73, v72, v74
	v_and_b32_e32 v72, 0x7f800000, v73
	s_delay_alu instid0(VALU_DEP_1)
	v_cmp_ne_u32_e32 vcc_lo, 0x7f800000, v72
	v_mov_b32_e32 v72, 0x80
	s_and_saveexec_b32 s16, vcc_lo
	s_cbranch_execz .LBB6_6672
; %bb.6665:                             ;   in Loop: Header=BB6_6112 Depth=3
	v_mov_b32_e32 v72, 0
	s_mov_b32 s17, exec_lo
	v_cmpx_ne_u32_e32 0, v73
	s_cbranch_execz .LBB6_6671
; %bb.6666:                             ;   in Loop: Header=BB6_6112 Depth=3
	v_bfe_u32 v72, v73, 23, 8
	s_delay_alu instid0(VALU_DEP_1) | instskip(SKIP_1) | instid1(VALU_DEP_2)
	v_sub_nc_u32_e32 v75, 0x78, v72
	v_cmp_gt_u32_e32 vcc_lo, 0x79, v72
	v_dual_cndmask_b32 v75, 0, v75 :: v_dual_and_b32 v74, 0x7fffff, v73
	s_delay_alu instid0(VALU_DEP_1) | instskip(SKIP_2) | instid1(VALU_DEP_4)
	v_or_b32_e32 v76, 0x800000, v74
	v_cmp_eq_u32_e32 vcc_lo, 0, v72
	v_add_nc_u32_e32 v72, 0xffffff89, v72
	v_cndmask_b32_e64 v75, v75, 0x77, vcc_lo
	s_delay_alu instid0(VALU_DEP_2) | instskip(SKIP_1) | instid1(VALU_DEP_3)
	v_cndmask_b32_e64 v72, v72, 0xffffff8a, vcc_lo
	v_cndmask_b32_e32 v74, v76, v74, vcc_lo
	v_lshl_add_u32 v76, 0x100000, v75, -1
	v_lshlrev_b32_e64 v79, v75, 0x80000
	s_delay_alu instid0(VALU_DEP_3) | instskip(SKIP_1) | instid1(VALU_DEP_4)
	v_lshrrev_b32_e32 v77, v75, v74
	v_add_nc_u32_e32 v75, v75, v72
	v_and_b32_e32 v74, v76, v74
	s_delay_alu instid0(VALU_DEP_3) | instskip(NEXT) | instid1(VALU_DEP_2)
	v_bfe_u32 v78, v77, 20, 1
	v_cmp_eq_u32_e64 s13, v74, v79
	s_delay_alu instid0(VALU_DEP_2) | instskip(NEXT) | instid1(VALU_DEP_1)
	v_add_nc_u32_e32 v76, -1, v78
	v_cndmask_b32_e64 v74, 0, v76, s13
	v_lshrrev_b32_e32 v76, 23, v77
	s_mov_b32 s13, exec_lo
	s_delay_alu instid0(VALU_DEP_2) | instskip(NEXT) | instid1(VALU_DEP_2)
	v_add_nc_u32_e32 v74, v74, v77
	v_xor_b32_e32 v76, 1, v76
	s_delay_alu instid0(VALU_DEP_2) | instskip(NEXT) | instid1(VALU_DEP_1)
	v_and_b32_e32 v72, 0xfffff, v74
	v_add_nc_u32_e32 v74, v72, v77
                                        ; implicit-def: $vgpr72
	s_delay_alu instid0(VALU_DEP_3)
	v_cmpx_ne_u32_e64 v75, v76
	s_xor_b32 s13, exec_lo, s13
; %bb.6667:                             ;   in Loop: Header=BB6_6112 Depth=3
	s_delay_alu instid0(VALU_DEP_2) | instskip(SKIP_2) | instid1(VALU_DEP_2)
	v_cmp_lt_u32_e32 vcc_lo, 0xffffff, v74
	v_sub_nc_u32_e32 v72, v75, v76
	v_cndmask_b32_e64 v75, 0, 1, vcc_lo
	v_add_co_ci_u32_e32 v72, vcc_lo, 0, v72, vcc_lo
	s_delay_alu instid0(VALU_DEP_2)
	v_lshrrev_b32_e32 v74, v75, v74
; %bb.6668:                             ;   in Loop: Header=BB6_6112 Depth=3
	s_and_not1_saveexec_b32 s13, s13
; %bb.6669:                             ;   in Loop: Header=BB6_6112 Depth=3
	s_delay_alu instid0(VALU_DEP_1)
	v_bfe_u32 v72, v74, 23, 1
; %bb.6670:                             ;   in Loop: Header=BB6_6112 Depth=3
	s_or_b32 exec_lo, exec_lo, s13
	v_lshrrev_b32_e32 v74, 20, v74
	s_delay_alu instid0(VALU_DEP_2) | instskip(SKIP_2) | instid1(VALU_DEP_2)
	v_cmp_gt_i32_e32 vcc_lo, 16, v72
	v_lshrrev_b32_e32 v73, 24, v73
	v_min_i32_e32 v75, 15, v72
	v_dual_cndmask_b32 v74, 7, v74 :: v_dual_and_b32 v73, 0x80, v73
	s_delay_alu instid0(VALU_DEP_1) | instskip(SKIP_1) | instid1(VALU_DEP_2)
	v_or_b32_e32 v72, v72, v74
	v_and_b32_e32 v76, 7, v74
	v_cmp_ne_u32_e32 vcc_lo, 0, v72
	v_lshlrev_b32_e32 v75, 3, v75
	s_delay_alu instid0(VALU_DEP_1) | instskip(NEXT) | instid1(VALU_DEP_1)
	v_or3_b32 v73, v75, v73, v76
	v_cndmask_b32_e32 v72, 0, v73, vcc_lo
.LBB6_6671:                             ;   in Loop: Header=BB6_6112 Depth=3
	s_or_b32 exec_lo, exec_lo, s17
.LBB6_6672:                             ;   in Loop: Header=BB6_6112 Depth=3
	s_delay_alu instid0(SALU_CYCLE_1) | instskip(SKIP_3) | instid1(VALU_DEP_1)
	s_or_b32 exec_lo, exec_lo, s16
	v_lshrrev_b32_e32 v74, 24, v20
	s_mov_b32 s13, 0
	s_mov_b32 s17, exec_lo
                                        ; implicit-def: $sgpr16
	v_cmpx_lt_i16_e32 0x7f, v74
	s_xor_b32 s17, exec_lo, s17
	s_cbranch_execnz .LBB6_7414
; %bb.6673:                             ;   in Loop: Header=BB6_6112 Depth=3
	s_or_saveexec_b32 s17, s17
	v_mov_b32_e32 v73, s16
	s_xor_b32 exec_lo, exec_lo, s17
	s_cbranch_execnz .LBB6_7417
.LBB6_6674:                             ;   in Loop: Header=BB6_6112 Depth=3
	s_or_b32 exec_lo, exec_lo, s17
	s_and_saveexec_b32 s16, s13
	s_cbranch_execz .LBB6_6676
.LBB6_6675:                             ;   in Loop: Header=BB6_6112 Depth=3
	v_bfe_u32 v73, v20, 24, 3
	s_delay_alu instid0(VALU_DEP_1) | instskip(NEXT) | instid1(VALU_DEP_1)
	v_clz_i32_u32_e32 v75, v73
	v_min_u32_e32 v75, 32, v75
	s_delay_alu instid0(VALU_DEP_1) | instskip(SKIP_1) | instid1(VALU_DEP_2)
	v_subrev_nc_u32_e32 v76, 28, v75
	v_sub_nc_u32_e32 v75, 29, v75
	v_lshlrev_b32_e32 v74, v76, v74
	v_bfe_u32 v76, v20, 27, 4
	v_and_b32_e32 v20, 0x80000000, v20
	s_delay_alu instid0(VALU_DEP_2) | instskip(NEXT) | instid1(VALU_DEP_4)
	v_cmp_eq_u32_e32 vcc_lo, 0, v76
	v_dual_cndmask_b32 v75, v76, v75 :: v_dual_and_b32 v74, 7, v74
	s_delay_alu instid0(VALU_DEP_1) | instskip(NEXT) | instid1(VALU_DEP_2)
	v_cndmask_b32_e32 v73, v73, v74, vcc_lo
	v_lshl_add_u32 v74, v75, 23, 0x3b800000
	s_delay_alu instid0(VALU_DEP_2) | instskip(NEXT) | instid1(VALU_DEP_1)
	v_lshlrev_b32_e32 v73, 20, v73
	v_or3_b32 v73, v20, v74, v73
.LBB6_6676:                             ;   in Loop: Header=BB6_6112 Depth=3
	s_or_b32 exec_lo, exec_lo, s16
	v_lshrrev_b32_e32 v20, 24, v16
	s_mov_b32 s13, 0
	s_mov_b32 s17, exec_lo
                                        ; implicit-def: $sgpr16
	s_delay_alu instid0(VALU_DEP_1)
	v_cmpx_lt_i16_e32 0x7f, v20
	s_xor_b32 s17, exec_lo, s17
	s_cbranch_execnz .LBB6_7418
; %bb.6677:                             ;   in Loop: Header=BB6_6112 Depth=3
	s_or_saveexec_b32 s17, s17
	v_mov_b32_e32 v74, s16
	s_xor_b32 exec_lo, exec_lo, s17
	s_cbranch_execnz .LBB6_7421
.LBB6_6678:                             ;   in Loop: Header=BB6_6112 Depth=3
	s_or_b32 exec_lo, exec_lo, s17
	s_and_saveexec_b32 s16, s13
	s_cbranch_execz .LBB6_6680
.LBB6_6679:                             ;   in Loop: Header=BB6_6112 Depth=3
	v_bfe_u32 v74, v16, 24, 3
	s_delay_alu instid0(VALU_DEP_1) | instskip(NEXT) | instid1(VALU_DEP_1)
	v_clz_i32_u32_e32 v75, v74
	v_min_u32_e32 v75, 32, v75
	s_delay_alu instid0(VALU_DEP_1) | instskip(SKIP_1) | instid1(VALU_DEP_2)
	v_subrev_nc_u32_e32 v76, 28, v75
	v_sub_nc_u32_e32 v75, 29, v75
	v_lshlrev_b32_e32 v20, v76, v20
	v_bfe_u32 v76, v16, 27, 4
	v_and_b32_e32 v16, 0x80000000, v16
	s_delay_alu instid0(VALU_DEP_2) | instskip(NEXT) | instid1(VALU_DEP_4)
	v_cmp_eq_u32_e32 vcc_lo, 0, v76
	v_dual_cndmask_b32 v75, v76, v75 :: v_dual_and_b32 v20, 7, v20
	s_delay_alu instid0(VALU_DEP_1) | instskip(NEXT) | instid1(VALU_DEP_2)
	v_cndmask_b32_e32 v20, v74, v20, vcc_lo
	v_lshl_add_u32 v74, v75, 23, 0x3b800000
	s_delay_alu instid0(VALU_DEP_2) | instskip(NEXT) | instid1(VALU_DEP_1)
	v_lshlrev_b32_e32 v20, 20, v20
	v_or3_b32 v74, v16, v74, v20
.LBB6_6680:                             ;   in Loop: Header=BB6_6112 Depth=3
	s_or_b32 exec_lo, exec_lo, s16
	s_delay_alu instid0(VALU_DEP_1) | instskip(NEXT) | instid1(VALU_DEP_1)
	v_add_f32_e32 v20, v73, v74
	v_and_b32_e32 v16, 0x7f800000, v20
	s_delay_alu instid0(VALU_DEP_1)
	v_cmp_ne_u32_e32 vcc_lo, 0x7f800000, v16
	v_mov_b32_e32 v16, 0x80
	s_and_saveexec_b32 s16, vcc_lo
	s_cbranch_execz .LBB6_6688
; %bb.6681:                             ;   in Loop: Header=BB6_6112 Depth=3
	v_mov_b32_e32 v16, 0
	s_mov_b32 s17, exec_lo
	v_cmpx_ne_u32_e32 0, v20
	s_cbranch_execz .LBB6_6687
; %bb.6682:                             ;   in Loop: Header=BB6_6112 Depth=3
	v_bfe_u32 v16, v20, 23, 8
	s_delay_alu instid0(VALU_DEP_1) | instskip(SKIP_1) | instid1(VALU_DEP_2)
	v_sub_nc_u32_e32 v74, 0x78, v16
	v_cmp_gt_u32_e32 vcc_lo, 0x79, v16
	v_dual_cndmask_b32 v74, 0, v74 :: v_dual_and_b32 v73, 0x7fffff, v20
	s_delay_alu instid0(VALU_DEP_1) | instskip(SKIP_2) | instid1(VALU_DEP_4)
	v_or_b32_e32 v75, 0x800000, v73
	v_cmp_eq_u32_e32 vcc_lo, 0, v16
	v_add_nc_u32_e32 v16, 0xffffff89, v16
	v_cndmask_b32_e64 v74, v74, 0x77, vcc_lo
	s_delay_alu instid0(VALU_DEP_4) | instskip(NEXT) | instid1(VALU_DEP_3)
	v_cndmask_b32_e32 v73, v75, v73, vcc_lo
	v_cndmask_b32_e64 v16, v16, 0xffffff8a, vcc_lo
	s_delay_alu instid0(VALU_DEP_3) | instskip(NEXT) | instid1(VALU_DEP_3)
	v_lshl_add_u32 v75, 0x100000, v74, -1
	v_lshrrev_b32_e32 v76, v74, v73
	v_lshlrev_b32_e64 v78, v74, 0x80000
	s_delay_alu instid0(VALU_DEP_4) | instskip(NEXT) | instid1(VALU_DEP_4)
	v_add_nc_u32_e32 v74, v74, v16
	v_and_b32_e32 v73, v75, v73
	s_delay_alu instid0(VALU_DEP_4) | instskip(NEXT) | instid1(VALU_DEP_2)
	v_bfe_u32 v77, v76, 20, 1
	v_cmp_eq_u32_e64 s13, v73, v78
	s_delay_alu instid0(VALU_DEP_2) | instskip(NEXT) | instid1(VALU_DEP_1)
	v_add_nc_u32_e32 v75, -1, v77
	v_cndmask_b32_e64 v73, 0, v75, s13
	v_lshrrev_b32_e32 v75, 23, v76
	s_mov_b32 s13, exec_lo
	s_delay_alu instid0(VALU_DEP_2) | instskip(NEXT) | instid1(VALU_DEP_2)
	v_add_nc_u32_e32 v73, v73, v76
	v_xor_b32_e32 v75, 1, v75
	s_delay_alu instid0(VALU_DEP_2) | instskip(NEXT) | instid1(VALU_DEP_1)
	v_and_b32_e32 v16, 0xfffff, v73
	v_add_nc_u32_e32 v73, v16, v76
                                        ; implicit-def: $vgpr16
	s_delay_alu instid0(VALU_DEP_3)
	v_cmpx_ne_u32_e64 v74, v75
	s_xor_b32 s13, exec_lo, s13
; %bb.6683:                             ;   in Loop: Header=BB6_6112 Depth=3
	s_delay_alu instid0(VALU_DEP_2) | instskip(SKIP_2) | instid1(VALU_DEP_2)
	v_cmp_lt_u32_e32 vcc_lo, 0xffffff, v73
	v_sub_nc_u32_e32 v16, v74, v75
	v_cndmask_b32_e64 v74, 0, 1, vcc_lo
	v_add_co_ci_u32_e32 v16, vcc_lo, 0, v16, vcc_lo
	s_delay_alu instid0(VALU_DEP_2)
	v_lshrrev_b32_e32 v73, v74, v73
; %bb.6684:                             ;   in Loop: Header=BB6_6112 Depth=3
	s_and_not1_saveexec_b32 s13, s13
; %bb.6685:                             ;   in Loop: Header=BB6_6112 Depth=3
	s_delay_alu instid0(VALU_DEP_1)
	v_bfe_u32 v16, v73, 23, 1
; %bb.6686:                             ;   in Loop: Header=BB6_6112 Depth=3
	s_or_b32 exec_lo, exec_lo, s13
	v_lshrrev_b32_e32 v73, 20, v73
	s_delay_alu instid0(VALU_DEP_2) | instskip(SKIP_2) | instid1(VALU_DEP_2)
	v_cmp_gt_i32_e32 vcc_lo, 16, v16
	v_lshrrev_b32_e32 v20, 24, v20
	v_min_i32_e32 v74, 15, v16
	v_dual_cndmask_b32 v73, 7, v73 :: v_dual_and_b32 v20, 0x80, v20
	s_delay_alu instid0(VALU_DEP_2) | instskip(NEXT) | instid1(VALU_DEP_2)
	v_lshlrev_b32_e32 v74, 3, v74
	v_or_b32_e32 v16, v16, v73
	s_delay_alu instid0(VALU_DEP_1) | instskip(SKIP_1) | instid1(VALU_DEP_1)
	v_cmp_ne_u32_e32 vcc_lo, 0, v16
	v_and_b32_e32 v75, 7, v73
	v_or3_b32 v20, v74, v20, v75
	s_delay_alu instid0(VALU_DEP_1)
	v_cndmask_b32_e32 v16, 0, v20, vcc_lo
.LBB6_6687:                             ;   in Loop: Header=BB6_6112 Depth=3
	s_or_b32 exec_lo, exec_lo, s17
.LBB6_6688:                             ;   in Loop: Header=BB6_6112 Depth=3
	s_delay_alu instid0(SALU_CYCLE_1) | instskip(SKIP_3) | instid1(VALU_DEP_1)
	s_or_b32 exec_lo, exec_lo, s16
	v_and_b32_e32 v73, 0xff, v21
	s_mov_b32 s13, 0
	s_mov_b32 s17, exec_lo
                                        ; implicit-def: $sgpr16
	v_cmpx_lt_i16_e32 0x7f, v73
	s_xor_b32 s17, exec_lo, s17
	s_cbranch_execnz .LBB6_7422
; %bb.6689:                             ;   in Loop: Header=BB6_6112 Depth=3
	s_or_saveexec_b32 s17, s17
	v_mov_b32_e32 v20, s16
	s_xor_b32 exec_lo, exec_lo, s17
	s_cbranch_execnz .LBB6_7425
.LBB6_6690:                             ;   in Loop: Header=BB6_6112 Depth=3
	s_or_b32 exec_lo, exec_lo, s17
	s_and_saveexec_b32 s16, s13
	s_cbranch_execz .LBB6_6692
.LBB6_6691:                             ;   in Loop: Header=BB6_6112 Depth=3
	v_and_b32_e32 v20, 7, v21
	v_bfe_u32 v75, v21, 3, 4
	v_lshlrev_b32_e32 v76, 24, v21
	s_delay_alu instid0(VALU_DEP_3) | instskip(NEXT) | instid1(VALU_DEP_3)
	v_clz_i32_u32_e32 v73, v20
	v_cmp_eq_u32_e32 vcc_lo, 0, v75
	s_delay_alu instid0(VALU_DEP_2) | instskip(NEXT) | instid1(VALU_DEP_1)
	v_min_u32_e32 v73, 32, v73
	v_subrev_nc_u32_e32 v74, 28, v73
	v_sub_nc_u32_e32 v73, 29, v73
	s_delay_alu instid0(VALU_DEP_2) | instskip(NEXT) | instid1(VALU_DEP_1)
	v_lshlrev_b32_e32 v74, v74, v21
	v_dual_cndmask_b32 v73, v75, v73 :: v_dual_and_b32 v74, 7, v74
	s_delay_alu instid0(VALU_DEP_1) | instskip(NEXT) | instid1(VALU_DEP_2)
	v_lshl_add_u32 v73, v73, 23, 0x3b800000
	v_cndmask_b32_e32 v20, v20, v74, vcc_lo
	v_and_b32_e32 v74, 0x80000000, v76
	s_delay_alu instid0(VALU_DEP_2) | instskip(NEXT) | instid1(VALU_DEP_1)
	v_lshlrev_b32_e32 v20, 20, v20
	v_or3_b32 v20, v74, v73, v20
.LBB6_6692:                             ;   in Loop: Header=BB6_6112 Depth=3
	s_or_b32 exec_lo, exec_lo, s16
	v_and_b32_e32 v74, 0xff, v17
	s_mov_b32 s13, 0
	s_mov_b32 s17, exec_lo
                                        ; implicit-def: $sgpr16
	s_delay_alu instid0(VALU_DEP_1)
	v_cmpx_lt_i16_e32 0x7f, v74
	s_xor_b32 s17, exec_lo, s17
	s_cbranch_execnz .LBB6_7426
; %bb.6693:                             ;   in Loop: Header=BB6_6112 Depth=3
	s_or_saveexec_b32 s17, s17
	v_mov_b32_e32 v73, s16
	s_xor_b32 exec_lo, exec_lo, s17
	s_cbranch_execnz .LBB6_7429
.LBB6_6694:                             ;   in Loop: Header=BB6_6112 Depth=3
	s_or_b32 exec_lo, exec_lo, s17
	s_and_saveexec_b32 s16, s13
	s_cbranch_execz .LBB6_6696
.LBB6_6695:                             ;   in Loop: Header=BB6_6112 Depth=3
	v_bfe_u32 v76, v17, 3, 4
	v_lshlrev_b32_e32 v77, 24, v17
	s_delay_alu instid0(VALU_DEP_2) | instskip(SKIP_1) | instid1(VALU_DEP_1)
	v_cmp_eq_u32_e32 vcc_lo, 0, v76
	v_and_b32_e32 v73, 7, v17
	v_clz_i32_u32_e32 v74, v73
	s_delay_alu instid0(VALU_DEP_1) | instskip(NEXT) | instid1(VALU_DEP_1)
	v_min_u32_e32 v74, 32, v74
	v_subrev_nc_u32_e32 v75, 28, v74
	v_sub_nc_u32_e32 v74, 29, v74
	s_delay_alu instid0(VALU_DEP_1) | instskip(NEXT) | instid1(VALU_DEP_1)
	v_dual_cndmask_b32 v74, v76, v74 :: v_dual_lshlrev_b32 v75, v75, v17
	v_and_b32_e32 v75, 7, v75
	s_delay_alu instid0(VALU_DEP_2) | instskip(NEXT) | instid1(VALU_DEP_2)
	v_lshl_add_u32 v74, v74, 23, 0x3b800000
	v_cndmask_b32_e32 v73, v73, v75, vcc_lo
	v_and_b32_e32 v75, 0x80000000, v77
	s_delay_alu instid0(VALU_DEP_2) | instskip(NEXT) | instid1(VALU_DEP_1)
	v_lshlrev_b32_e32 v73, 20, v73
	v_or3_b32 v73, v75, v74, v73
.LBB6_6696:                             ;   in Loop: Header=BB6_6112 Depth=3
	s_or_b32 exec_lo, exec_lo, s16
	s_delay_alu instid0(VALU_DEP_1) | instskip(NEXT) | instid1(VALU_DEP_1)
	v_add_f32_e32 v73, v20, v73
	v_and_b32_e32 v20, 0x7f800000, v73
	s_delay_alu instid0(VALU_DEP_1)
	v_cmp_ne_u32_e32 vcc_lo, 0x7f800000, v20
	v_mov_b32_e32 v20, 0x80
	s_and_saveexec_b32 s16, vcc_lo
	s_cbranch_execz .LBB6_6704
; %bb.6697:                             ;   in Loop: Header=BB6_6112 Depth=3
	v_mov_b32_e32 v20, 0
	s_mov_b32 s17, exec_lo
	v_cmpx_ne_u32_e32 0, v73
	s_cbranch_execz .LBB6_6703
; %bb.6698:                             ;   in Loop: Header=BB6_6112 Depth=3
	v_bfe_u32 v20, v73, 23, 8
	s_delay_alu instid0(VALU_DEP_1) | instskip(SKIP_1) | instid1(VALU_DEP_2)
	v_sub_nc_u32_e32 v75, 0x78, v20
	v_cmp_gt_u32_e32 vcc_lo, 0x79, v20
	v_dual_cndmask_b32 v75, 0, v75 :: v_dual_and_b32 v74, 0x7fffff, v73
	s_delay_alu instid0(VALU_DEP_1) | instskip(SKIP_2) | instid1(VALU_DEP_4)
	v_or_b32_e32 v76, 0x800000, v74
	v_cmp_eq_u32_e32 vcc_lo, 0, v20
	v_add_nc_u32_e32 v20, 0xffffff89, v20
	v_cndmask_b32_e64 v75, v75, 0x77, vcc_lo
	s_delay_alu instid0(VALU_DEP_2) | instskip(SKIP_1) | instid1(VALU_DEP_3)
	v_cndmask_b32_e64 v20, v20, 0xffffff8a, vcc_lo
	v_cndmask_b32_e32 v74, v76, v74, vcc_lo
	v_lshl_add_u32 v76, 0x100000, v75, -1
	v_lshlrev_b32_e64 v79, v75, 0x80000
	s_delay_alu instid0(VALU_DEP_3) | instskip(SKIP_1) | instid1(VALU_DEP_4)
	v_lshrrev_b32_e32 v77, v75, v74
	v_add_nc_u32_e32 v75, v75, v20
	v_and_b32_e32 v74, v76, v74
	s_delay_alu instid0(VALU_DEP_3) | instskip(NEXT) | instid1(VALU_DEP_2)
	v_bfe_u32 v78, v77, 20, 1
	v_cmp_eq_u32_e64 s13, v74, v79
	s_delay_alu instid0(VALU_DEP_2) | instskip(NEXT) | instid1(VALU_DEP_1)
	v_add_nc_u32_e32 v76, -1, v78
	v_cndmask_b32_e64 v74, 0, v76, s13
	v_lshrrev_b32_e32 v76, 23, v77
	s_mov_b32 s13, exec_lo
	s_delay_alu instid0(VALU_DEP_2) | instskip(NEXT) | instid1(VALU_DEP_2)
	v_add_nc_u32_e32 v74, v74, v77
	v_xor_b32_e32 v76, 1, v76
	s_delay_alu instid0(VALU_DEP_2) | instskip(NEXT) | instid1(VALU_DEP_1)
	v_and_b32_e32 v20, 0xfffff, v74
	v_add_nc_u32_e32 v74, v20, v77
                                        ; implicit-def: $vgpr20
	s_delay_alu instid0(VALU_DEP_3)
	v_cmpx_ne_u32_e64 v75, v76
	s_xor_b32 s13, exec_lo, s13
; %bb.6699:                             ;   in Loop: Header=BB6_6112 Depth=3
	s_delay_alu instid0(VALU_DEP_2) | instskip(SKIP_2) | instid1(VALU_DEP_2)
	v_cmp_lt_u32_e32 vcc_lo, 0xffffff, v74
	v_sub_nc_u32_e32 v20, v75, v76
	v_cndmask_b32_e64 v75, 0, 1, vcc_lo
	v_add_co_ci_u32_e32 v20, vcc_lo, 0, v20, vcc_lo
	s_delay_alu instid0(VALU_DEP_2)
	v_lshrrev_b32_e32 v74, v75, v74
; %bb.6700:                             ;   in Loop: Header=BB6_6112 Depth=3
	s_and_not1_saveexec_b32 s13, s13
; %bb.6701:                             ;   in Loop: Header=BB6_6112 Depth=3
	s_delay_alu instid0(VALU_DEP_1)
	v_bfe_u32 v20, v74, 23, 1
; %bb.6702:                             ;   in Loop: Header=BB6_6112 Depth=3
	s_or_b32 exec_lo, exec_lo, s13
	v_lshrrev_b32_e32 v74, 20, v74
	s_delay_alu instid0(VALU_DEP_2) | instskip(SKIP_2) | instid1(VALU_DEP_2)
	v_cmp_gt_i32_e32 vcc_lo, 16, v20
	v_lshrrev_b32_e32 v73, 24, v73
	v_min_i32_e32 v75, 15, v20
	v_dual_cndmask_b32 v74, 7, v74 :: v_dual_and_b32 v73, 0x80, v73
	s_delay_alu instid0(VALU_DEP_1) | instskip(SKIP_1) | instid1(VALU_DEP_2)
	v_or_b32_e32 v20, v20, v74
	v_and_b32_e32 v76, 7, v74
	v_cmp_ne_u32_e32 vcc_lo, 0, v20
	v_lshlrev_b32_e32 v75, 3, v75
	s_delay_alu instid0(VALU_DEP_1) | instskip(NEXT) | instid1(VALU_DEP_1)
	v_or3_b32 v73, v75, v73, v76
	v_cndmask_b32_e32 v20, 0, v73, vcc_lo
.LBB6_6703:                             ;   in Loop: Header=BB6_6112 Depth=3
	s_or_b32 exec_lo, exec_lo, s17
.LBB6_6704:                             ;   in Loop: Header=BB6_6112 Depth=3
	s_delay_alu instid0(SALU_CYCLE_1) | instskip(SKIP_3) | instid1(VALU_DEP_1)
	s_or_b32 exec_lo, exec_lo, s16
	v_lshrrev_b16 v74, 8, v21
	s_mov_b32 s13, 0
	s_mov_b32 s17, exec_lo
                                        ; implicit-def: $sgpr16
	v_cmpx_lt_i16_e32 0x7f, v74
	s_xor_b32 s17, exec_lo, s17
	s_cbranch_execnz .LBB6_7430
; %bb.6705:                             ;   in Loop: Header=BB6_6112 Depth=3
	s_or_saveexec_b32 s17, s17
	v_mov_b32_e32 v73, s16
	s_xor_b32 exec_lo, exec_lo, s17
	s_cbranch_execnz .LBB6_7433
.LBB6_6706:                             ;   in Loop: Header=BB6_6112 Depth=3
	s_or_b32 exec_lo, exec_lo, s17
	s_and_saveexec_b32 s16, s13
	s_cbranch_execz .LBB6_6708
.LBB6_6707:                             ;   in Loop: Header=BB6_6112 Depth=3
	v_and_b32_e32 v73, 0xffff, v74
	s_delay_alu instid0(VALU_DEP_1) | instskip(NEXT) | instid1(VALU_DEP_1)
	v_and_b32_e32 v75, 7, v73
	v_clz_i32_u32_e32 v76, v75
	s_delay_alu instid0(VALU_DEP_1) | instskip(NEXT) | instid1(VALU_DEP_1)
	v_min_u32_e32 v76, 32, v76
	v_subrev_nc_u32_e32 v77, 28, v76
	v_sub_nc_u32_e32 v76, 29, v76
	s_delay_alu instid0(VALU_DEP_2) | instskip(SKIP_1) | instid1(VALU_DEP_2)
	v_lshlrev_b32_e32 v77, v77, v73
	v_bfe_u32 v73, v73, 3, 4
	v_and_b32_e32 v77, 7, v77
	s_delay_alu instid0(VALU_DEP_2) | instskip(SKIP_1) | instid1(VALU_DEP_1)
	v_cmp_eq_u32_e32 vcc_lo, 0, v73
	v_dual_cndmask_b32 v73, v73, v76 :: v_dual_lshlrev_b32 v74, 24, v74
	v_dual_cndmask_b32 v75, v75, v77 :: v_dual_and_b32 v74, 0x80000000, v74
	s_delay_alu instid0(VALU_DEP_2) | instskip(NEXT) | instid1(VALU_DEP_2)
	v_lshl_add_u32 v73, v73, 23, 0x3b800000
	v_lshlrev_b32_e32 v75, 20, v75
	s_delay_alu instid0(VALU_DEP_1)
	v_or3_b32 v73, v74, v73, v75
.LBB6_6708:                             ;   in Loop: Header=BB6_6112 Depth=3
	s_or_b32 exec_lo, exec_lo, s16
	v_lshrrev_b16 v74, 8, v17
	s_mov_b32 s13, 0
	s_mov_b32 s17, exec_lo
                                        ; implicit-def: $sgpr16
	s_delay_alu instid0(VALU_DEP_1)
	v_cmpx_lt_i16_e32 0x7f, v74
	s_xor_b32 s17, exec_lo, s17
	s_cbranch_execnz .LBB6_7434
; %bb.6709:                             ;   in Loop: Header=BB6_6112 Depth=3
	s_or_saveexec_b32 s17, s17
	v_mov_b32_e32 v75, s16
	s_xor_b32 exec_lo, exec_lo, s17
	s_cbranch_execnz .LBB6_7437
.LBB6_6710:                             ;   in Loop: Header=BB6_6112 Depth=3
	s_or_b32 exec_lo, exec_lo, s17
	s_and_saveexec_b32 s16, s13
	s_cbranch_execz .LBB6_6712
.LBB6_6711:                             ;   in Loop: Header=BB6_6112 Depth=3
	v_and_b32_e32 v75, 0xffff, v74
	v_lshlrev_b32_e32 v74, 24, v74
	s_delay_alu instid0(VALU_DEP_2) | instskip(NEXT) | instid1(VALU_DEP_2)
	v_and_b32_e32 v76, 7, v75
	v_and_b32_e32 v74, 0x80000000, v74
	s_delay_alu instid0(VALU_DEP_2) | instskip(NEXT) | instid1(VALU_DEP_1)
	v_clz_i32_u32_e32 v77, v76
	v_min_u32_e32 v77, 32, v77
	s_delay_alu instid0(VALU_DEP_1) | instskip(SKIP_1) | instid1(VALU_DEP_2)
	v_subrev_nc_u32_e32 v78, 28, v77
	v_sub_nc_u32_e32 v77, 29, v77
	v_lshlrev_b32_e32 v78, v78, v75
	v_bfe_u32 v75, v75, 3, 4
	s_delay_alu instid0(VALU_DEP_2) | instskip(NEXT) | instid1(VALU_DEP_2)
	v_and_b32_e32 v78, 7, v78
	v_cmp_eq_u32_e32 vcc_lo, 0, v75
	s_delay_alu instid0(VALU_DEP_2) | instskip(NEXT) | instid1(VALU_DEP_1)
	v_dual_cndmask_b32 v75, v75, v77 :: v_dual_cndmask_b32 v76, v76, v78
	v_lshl_add_u32 v75, v75, 23, 0x3b800000
	s_delay_alu instid0(VALU_DEP_2) | instskip(NEXT) | instid1(VALU_DEP_1)
	v_lshlrev_b32_e32 v76, 20, v76
	v_or3_b32 v75, v74, v75, v76
.LBB6_6712:                             ;   in Loop: Header=BB6_6112 Depth=3
	s_or_b32 exec_lo, exec_lo, s16
	s_delay_alu instid0(VALU_DEP_1) | instskip(NEXT) | instid1(VALU_DEP_1)
	v_add_f32_e32 v74, v73, v75
	v_and_b32_e32 v73, 0x7f800000, v74
	s_delay_alu instid0(VALU_DEP_1)
	v_cmp_ne_u32_e32 vcc_lo, 0x7f800000, v73
	v_mov_b32_e32 v73, 0x8000
	s_and_saveexec_b32 s16, vcc_lo
	s_cbranch_execz .LBB6_6720
; %bb.6713:                             ;   in Loop: Header=BB6_6112 Depth=3
	v_mov_b32_e32 v73, 0
	s_mov_b32 s17, exec_lo
	v_cmpx_ne_u32_e32 0, v74
	s_cbranch_execz .LBB6_6719
; %bb.6714:                             ;   in Loop: Header=BB6_6112 Depth=3
	v_bfe_u32 v73, v74, 23, 8
	s_delay_alu instid0(VALU_DEP_1) | instskip(SKIP_1) | instid1(VALU_DEP_2)
	v_sub_nc_u32_e32 v76, 0x78, v73
	v_cmp_gt_u32_e32 vcc_lo, 0x79, v73
	v_dual_cndmask_b32 v76, 0, v76 :: v_dual_and_b32 v75, 0x7fffff, v74
	s_delay_alu instid0(VALU_DEP_1) | instskip(SKIP_2) | instid1(VALU_DEP_4)
	v_or_b32_e32 v77, 0x800000, v75
	v_cmp_eq_u32_e32 vcc_lo, 0, v73
	v_add_nc_u32_e32 v73, 0xffffff89, v73
	v_cndmask_b32_e64 v76, v76, 0x77, vcc_lo
	s_delay_alu instid0(VALU_DEP_2) | instskip(SKIP_1) | instid1(VALU_DEP_3)
	v_cndmask_b32_e64 v73, v73, 0xffffff8a, vcc_lo
	v_cndmask_b32_e32 v75, v77, v75, vcc_lo
	v_lshl_add_u32 v77, 0x100000, v76, -1
	v_lshlrev_b32_e64 v88, v76, 0x80000
	s_delay_alu instid0(VALU_DEP_3) | instskip(SKIP_1) | instid1(VALU_DEP_4)
	v_lshrrev_b32_e32 v78, v76, v75
	v_add_nc_u32_e32 v76, v76, v73
	v_and_b32_e32 v75, v77, v75
	s_delay_alu instid0(VALU_DEP_3) | instskip(NEXT) | instid1(VALU_DEP_2)
	v_bfe_u32 v79, v78, 20, 1
	v_cmp_eq_u32_e64 s13, v75, v88
	s_delay_alu instid0(VALU_DEP_2) | instskip(NEXT) | instid1(VALU_DEP_1)
	v_add_nc_u32_e32 v77, -1, v79
	v_cndmask_b32_e64 v75, 0, v77, s13
	v_lshrrev_b32_e32 v77, 23, v78
	s_mov_b32 s13, exec_lo
	s_delay_alu instid0(VALU_DEP_2) | instskip(NEXT) | instid1(VALU_DEP_2)
	v_add_nc_u32_e32 v75, v75, v78
	v_xor_b32_e32 v77, 1, v77
	s_delay_alu instid0(VALU_DEP_2) | instskip(NEXT) | instid1(VALU_DEP_1)
	v_and_b32_e32 v73, 0xfffff, v75
	v_add_nc_u32_e32 v75, v73, v78
                                        ; implicit-def: $vgpr73
	s_delay_alu instid0(VALU_DEP_3)
	v_cmpx_ne_u32_e64 v76, v77
	s_xor_b32 s13, exec_lo, s13
; %bb.6715:                             ;   in Loop: Header=BB6_6112 Depth=3
	s_delay_alu instid0(VALU_DEP_2) | instskip(SKIP_2) | instid1(VALU_DEP_2)
	v_cmp_lt_u32_e32 vcc_lo, 0xffffff, v75
	v_sub_nc_u32_e32 v73, v76, v77
	v_cndmask_b32_e64 v76, 0, 1, vcc_lo
	v_add_co_ci_u32_e32 v73, vcc_lo, 0, v73, vcc_lo
	s_delay_alu instid0(VALU_DEP_2)
	v_lshrrev_b32_e32 v75, v76, v75
; %bb.6716:                             ;   in Loop: Header=BB6_6112 Depth=3
	s_and_not1_saveexec_b32 s13, s13
; %bb.6717:                             ;   in Loop: Header=BB6_6112 Depth=3
	s_delay_alu instid0(VALU_DEP_1)
	v_bfe_u32 v73, v75, 23, 1
; %bb.6718:                             ;   in Loop: Header=BB6_6112 Depth=3
	s_or_b32 exec_lo, exec_lo, s13
	v_lshrrev_b32_e32 v75, 20, v75
	s_delay_alu instid0(VALU_DEP_2) | instskip(SKIP_2) | instid1(VALU_DEP_2)
	v_cmp_gt_i32_e32 vcc_lo, 16, v73
	v_min_i32_e32 v76, 15, v73
	v_lshrrev_b32_e32 v74, 24, v74
	v_dual_cndmask_b32 v75, 7, v75 :: v_dual_lshlrev_b32 v76, 3, v76
	s_delay_alu instid0(VALU_DEP_2) | instskip(NEXT) | instid1(VALU_DEP_2)
	v_and_b32_e32 v74, 0x80, v74
	v_or_b32_e32 v73, v73, v75
	v_and_b32_e32 v77, 7, v75
	s_delay_alu instid0(VALU_DEP_2) | instskip(SKIP_1) | instid1(VALU_DEP_1)
	v_cmp_ne_u32_e32 vcc_lo, 0, v73
	v_and_b32_e32 v76, 0xf8, v76
	v_or3_b32 v74, v74, v76, v77
	s_delay_alu instid0(VALU_DEP_1) | instskip(NEXT) | instid1(VALU_DEP_1)
	v_lshlrev_b32_e32 v74, 8, v74
	v_cndmask_b32_e32 v73, 0, v74, vcc_lo
.LBB6_6719:                             ;   in Loop: Header=BB6_6112 Depth=3
	s_or_b32 exec_lo, exec_lo, s17
.LBB6_6720:                             ;   in Loop: Header=BB6_6112 Depth=3
	s_delay_alu instid0(SALU_CYCLE_1) | instskip(SKIP_3) | instid1(VALU_DEP_1)
	s_or_b32 exec_lo, exec_lo, s16
	v_lshrrev_b32_e32 v75, 16, v21
	s_mov_b32 s13, 0
	s_mov_b32 s17, exec_lo
                                        ; implicit-def: $sgpr16
	v_and_b32_e32 v76, 0xff, v75
	s_delay_alu instid0(VALU_DEP_1)
	v_cmpx_lt_i16_e32 0x7f, v76
	s_xor_b32 s17, exec_lo, s17
	s_cbranch_execnz .LBB6_7438
; %bb.6721:                             ;   in Loop: Header=BB6_6112 Depth=3
	s_or_saveexec_b32 s17, s17
	v_mov_b32_e32 v74, s16
	s_xor_b32 exec_lo, exec_lo, s17
	s_cbranch_execnz .LBB6_7441
.LBB6_6722:                             ;   in Loop: Header=BB6_6112 Depth=3
	s_or_b32 exec_lo, exec_lo, s17
	s_and_saveexec_b32 s16, s13
	s_cbranch_execz .LBB6_6724
.LBB6_6723:                             ;   in Loop: Header=BB6_6112 Depth=3
	v_bfe_u32 v74, v21, 16, 3
	v_lshlrev_b32_e32 v78, 8, v21
	s_delay_alu instid0(VALU_DEP_2) | instskip(NEXT) | instid1(VALU_DEP_1)
	v_clz_i32_u32_e32 v76, v74
	v_min_u32_e32 v76, 32, v76
	s_delay_alu instid0(VALU_DEP_1) | instskip(SKIP_1) | instid1(VALU_DEP_2)
	v_subrev_nc_u32_e32 v77, 28, v76
	v_sub_nc_u32_e32 v76, 29, v76
	v_lshlrev_b32_e32 v75, v77, v75
	v_bfe_u32 v77, v21, 19, 4
	s_delay_alu instid0(VALU_DEP_1) | instskip(NEXT) | instid1(VALU_DEP_3)
	v_cmp_eq_u32_e32 vcc_lo, 0, v77
	v_dual_cndmask_b32 v76, v77, v76 :: v_dual_and_b32 v75, 7, v75
	s_delay_alu instid0(VALU_DEP_1) | instskip(NEXT) | instid1(VALU_DEP_2)
	v_dual_cndmask_b32 v74, v74, v75 :: v_dual_and_b32 v75, 0x80000000, v78
	v_lshl_add_u32 v76, v76, 23, 0x3b800000
	s_delay_alu instid0(VALU_DEP_2) | instskip(NEXT) | instid1(VALU_DEP_1)
	v_lshlrev_b32_e32 v74, 20, v74
	v_or3_b32 v74, v75, v76, v74
.LBB6_6724:                             ;   in Loop: Header=BB6_6112 Depth=3
	s_or_b32 exec_lo, exec_lo, s16
	v_lshrrev_b32_e32 v75, 16, v17
	s_mov_b32 s13, 0
	s_mov_b32 s17, exec_lo
                                        ; implicit-def: $sgpr16
	s_delay_alu instid0(VALU_DEP_1) | instskip(NEXT) | instid1(VALU_DEP_1)
	v_and_b32_e32 v77, 0xff, v75
	v_cmpx_lt_i16_e32 0x7f, v77
	s_xor_b32 s17, exec_lo, s17
	s_cbranch_execnz .LBB6_7442
; %bb.6725:                             ;   in Loop: Header=BB6_6112 Depth=3
	s_or_saveexec_b32 s17, s17
	v_mov_b32_e32 v76, s16
	s_xor_b32 exec_lo, exec_lo, s17
	s_cbranch_execnz .LBB6_7445
.LBB6_6726:                             ;   in Loop: Header=BB6_6112 Depth=3
	s_or_b32 exec_lo, exec_lo, s17
	s_and_saveexec_b32 s16, s13
	s_cbranch_execz .LBB6_6728
.LBB6_6727:                             ;   in Loop: Header=BB6_6112 Depth=3
	v_bfe_u32 v76, v17, 16, 3
	v_lshlrev_b32_e32 v79, 8, v17
	s_delay_alu instid0(VALU_DEP_2) | instskip(NEXT) | instid1(VALU_DEP_1)
	v_clz_i32_u32_e32 v77, v76
	v_min_u32_e32 v77, 32, v77
	s_delay_alu instid0(VALU_DEP_1) | instskip(SKIP_1) | instid1(VALU_DEP_2)
	v_subrev_nc_u32_e32 v78, 28, v77
	v_sub_nc_u32_e32 v77, 29, v77
	v_lshlrev_b32_e32 v75, v78, v75
	v_bfe_u32 v78, v17, 19, 4
	s_delay_alu instid0(VALU_DEP_2) | instskip(NEXT) | instid1(VALU_DEP_2)
	v_and_b32_e32 v75, 7, v75
	v_cmp_eq_u32_e32 vcc_lo, 0, v78
	v_cndmask_b32_e32 v77, v78, v77, vcc_lo
	s_delay_alu instid0(VALU_DEP_3) | instskip(SKIP_1) | instid1(VALU_DEP_3)
	v_cndmask_b32_e32 v75, v76, v75, vcc_lo
	v_and_b32_e32 v76, 0x80000000, v79
	v_lshl_add_u32 v77, v77, 23, 0x3b800000
	s_delay_alu instid0(VALU_DEP_3) | instskip(NEXT) | instid1(VALU_DEP_1)
	v_lshlrev_b32_e32 v75, 20, v75
	v_or3_b32 v76, v76, v77, v75
.LBB6_6728:                             ;   in Loop: Header=BB6_6112 Depth=3
	s_or_b32 exec_lo, exec_lo, s16
	s_delay_alu instid0(VALU_DEP_1) | instskip(NEXT) | instid1(VALU_DEP_1)
	v_add_f32_e32 v75, v74, v76
	v_and_b32_e32 v74, 0x7f800000, v75
	s_delay_alu instid0(VALU_DEP_1)
	v_cmp_ne_u32_e32 vcc_lo, 0x7f800000, v74
	v_mov_b32_e32 v74, 0x80
	s_and_saveexec_b32 s16, vcc_lo
	s_cbranch_execz .LBB6_6736
; %bb.6729:                             ;   in Loop: Header=BB6_6112 Depth=3
	v_mov_b32_e32 v74, 0
	s_mov_b32 s17, exec_lo
	v_cmpx_ne_u32_e32 0, v75
	s_cbranch_execz .LBB6_6735
; %bb.6730:                             ;   in Loop: Header=BB6_6112 Depth=3
	v_bfe_u32 v74, v75, 23, 8
	s_delay_alu instid0(VALU_DEP_1) | instskip(SKIP_1) | instid1(VALU_DEP_2)
	v_sub_nc_u32_e32 v77, 0x78, v74
	v_cmp_gt_u32_e32 vcc_lo, 0x79, v74
	v_dual_cndmask_b32 v77, 0, v77 :: v_dual_and_b32 v76, 0x7fffff, v75
	s_delay_alu instid0(VALU_DEP_1) | instskip(SKIP_2) | instid1(VALU_DEP_4)
	v_or_b32_e32 v78, 0x800000, v76
	v_cmp_eq_u32_e32 vcc_lo, 0, v74
	v_add_nc_u32_e32 v74, 0xffffff89, v74
	v_cndmask_b32_e64 v77, v77, 0x77, vcc_lo
	s_delay_alu instid0(VALU_DEP_2) | instskip(SKIP_1) | instid1(VALU_DEP_3)
	v_cndmask_b32_e64 v74, v74, 0xffffff8a, vcc_lo
	v_cndmask_b32_e32 v76, v78, v76, vcc_lo
	v_lshl_add_u32 v78, 0x100000, v77, -1
	v_lshlrev_b32_e64 v89, v77, 0x80000
	s_delay_alu instid0(VALU_DEP_3) | instskip(SKIP_1) | instid1(VALU_DEP_4)
	v_lshrrev_b32_e32 v79, v77, v76
	v_add_nc_u32_e32 v77, v77, v74
	v_and_b32_e32 v76, v78, v76
	s_delay_alu instid0(VALU_DEP_3) | instskip(NEXT) | instid1(VALU_DEP_2)
	v_bfe_u32 v88, v79, 20, 1
	v_cmp_eq_u32_e64 s13, v76, v89
	s_delay_alu instid0(VALU_DEP_2) | instskip(NEXT) | instid1(VALU_DEP_1)
	v_add_nc_u32_e32 v78, -1, v88
	v_cndmask_b32_e64 v76, 0, v78, s13
	v_lshrrev_b32_e32 v78, 23, v79
	s_mov_b32 s13, exec_lo
	s_delay_alu instid0(VALU_DEP_2) | instskip(NEXT) | instid1(VALU_DEP_2)
	v_add_nc_u32_e32 v76, v76, v79
	v_xor_b32_e32 v78, 1, v78
	s_delay_alu instid0(VALU_DEP_2) | instskip(NEXT) | instid1(VALU_DEP_1)
	v_and_b32_e32 v74, 0xfffff, v76
	v_add_nc_u32_e32 v76, v74, v79
                                        ; implicit-def: $vgpr74
	s_delay_alu instid0(VALU_DEP_3)
	v_cmpx_ne_u32_e64 v77, v78
	s_xor_b32 s13, exec_lo, s13
; %bb.6731:                             ;   in Loop: Header=BB6_6112 Depth=3
	s_delay_alu instid0(VALU_DEP_2) | instskip(SKIP_2) | instid1(VALU_DEP_2)
	v_cmp_lt_u32_e32 vcc_lo, 0xffffff, v76
	v_sub_nc_u32_e32 v74, v77, v78
	v_cndmask_b32_e64 v77, 0, 1, vcc_lo
	v_add_co_ci_u32_e32 v74, vcc_lo, 0, v74, vcc_lo
	s_delay_alu instid0(VALU_DEP_2)
	v_lshrrev_b32_e32 v76, v77, v76
; %bb.6732:                             ;   in Loop: Header=BB6_6112 Depth=3
	s_and_not1_saveexec_b32 s13, s13
; %bb.6733:                             ;   in Loop: Header=BB6_6112 Depth=3
	s_delay_alu instid0(VALU_DEP_1)
	v_bfe_u32 v74, v76, 23, 1
; %bb.6734:                             ;   in Loop: Header=BB6_6112 Depth=3
	s_or_b32 exec_lo, exec_lo, s13
	v_lshrrev_b32_e32 v76, 20, v76
	s_delay_alu instid0(VALU_DEP_2) | instskip(SKIP_2) | instid1(VALU_DEP_2)
	v_cmp_gt_i32_e32 vcc_lo, 16, v74
	v_min_i32_e32 v77, 15, v74
	v_lshrrev_b32_e32 v75, 24, v75
	v_dual_cndmask_b32 v76, 7, v76 :: v_dual_lshlrev_b32 v77, 3, v77
	s_delay_alu instid0(VALU_DEP_2) | instskip(NEXT) | instid1(VALU_DEP_2)
	v_and_b32_e32 v75, 0x80, v75
	v_or_b32_e32 v74, v74, v76
	v_and_b32_e32 v78, 7, v76
	s_delay_alu instid0(VALU_DEP_2) | instskip(SKIP_1) | instid1(VALU_DEP_1)
	v_cmp_ne_u32_e32 vcc_lo, 0, v74
	v_and_b32_e32 v77, 0xf8, v77
	v_or3_b32 v75, v77, v75, v78
	s_delay_alu instid0(VALU_DEP_1)
	v_cndmask_b32_e32 v74, 0, v75, vcc_lo
.LBB6_6735:                             ;   in Loop: Header=BB6_6112 Depth=3
	s_or_b32 exec_lo, exec_lo, s17
.LBB6_6736:                             ;   in Loop: Header=BB6_6112 Depth=3
	s_delay_alu instid0(SALU_CYCLE_1) | instskip(SKIP_3) | instid1(VALU_DEP_1)
	s_or_b32 exec_lo, exec_lo, s16
	v_lshrrev_b32_e32 v76, 24, v21
	s_mov_b32 s13, 0
	s_mov_b32 s17, exec_lo
                                        ; implicit-def: $sgpr16
	v_cmpx_lt_i16_e32 0x7f, v76
	s_xor_b32 s17, exec_lo, s17
	s_cbranch_execnz .LBB6_7446
; %bb.6737:                             ;   in Loop: Header=BB6_6112 Depth=3
	s_or_saveexec_b32 s17, s17
	v_mov_b32_e32 v75, s16
	s_xor_b32 exec_lo, exec_lo, s17
	s_cbranch_execnz .LBB6_7449
.LBB6_6738:                             ;   in Loop: Header=BB6_6112 Depth=3
	s_or_b32 exec_lo, exec_lo, s17
	s_and_saveexec_b32 s16, s13
	s_cbranch_execz .LBB6_6740
.LBB6_6739:                             ;   in Loop: Header=BB6_6112 Depth=3
	v_bfe_u32 v75, v21, 24, 3
	s_delay_alu instid0(VALU_DEP_1) | instskip(NEXT) | instid1(VALU_DEP_1)
	v_clz_i32_u32_e32 v77, v75
	v_min_u32_e32 v77, 32, v77
	s_delay_alu instid0(VALU_DEP_1) | instskip(SKIP_1) | instid1(VALU_DEP_2)
	v_subrev_nc_u32_e32 v78, 28, v77
	v_sub_nc_u32_e32 v77, 29, v77
	v_lshlrev_b32_e32 v76, v78, v76
	v_bfe_u32 v78, v21, 27, 4
	v_and_b32_e32 v21, 0x80000000, v21
	s_delay_alu instid0(VALU_DEP_2) | instskip(NEXT) | instid1(VALU_DEP_4)
	v_cmp_eq_u32_e32 vcc_lo, 0, v78
	v_dual_cndmask_b32 v77, v78, v77 :: v_dual_and_b32 v76, 7, v76
	s_delay_alu instid0(VALU_DEP_1) | instskip(NEXT) | instid1(VALU_DEP_2)
	v_cndmask_b32_e32 v75, v75, v76, vcc_lo
	v_lshl_add_u32 v76, v77, 23, 0x3b800000
	s_delay_alu instid0(VALU_DEP_2) | instskip(NEXT) | instid1(VALU_DEP_1)
	v_lshlrev_b32_e32 v75, 20, v75
	v_or3_b32 v75, v21, v76, v75
.LBB6_6740:                             ;   in Loop: Header=BB6_6112 Depth=3
	s_or_b32 exec_lo, exec_lo, s16
	v_lshrrev_b32_e32 v21, 24, v17
	s_mov_b32 s13, 0
	s_mov_b32 s17, exec_lo
                                        ; implicit-def: $sgpr16
	s_delay_alu instid0(VALU_DEP_1)
	v_cmpx_lt_i16_e32 0x7f, v21
	s_xor_b32 s17, exec_lo, s17
	s_cbranch_execnz .LBB6_7450
; %bb.6741:                             ;   in Loop: Header=BB6_6112 Depth=3
	s_or_saveexec_b32 s17, s17
	v_mov_b32_e32 v76, s16
	s_xor_b32 exec_lo, exec_lo, s17
	s_cbranch_execnz .LBB6_7453
.LBB6_6742:                             ;   in Loop: Header=BB6_6112 Depth=3
	s_or_b32 exec_lo, exec_lo, s17
	s_and_saveexec_b32 s16, s13
	s_cbranch_execz .LBB6_6744
.LBB6_6743:                             ;   in Loop: Header=BB6_6112 Depth=3
	v_bfe_u32 v76, v17, 24, 3
	s_delay_alu instid0(VALU_DEP_1) | instskip(NEXT) | instid1(VALU_DEP_1)
	v_clz_i32_u32_e32 v77, v76
	v_min_u32_e32 v77, 32, v77
	s_delay_alu instid0(VALU_DEP_1) | instskip(SKIP_1) | instid1(VALU_DEP_2)
	v_subrev_nc_u32_e32 v78, 28, v77
	v_sub_nc_u32_e32 v77, 29, v77
	v_lshlrev_b32_e32 v21, v78, v21
	v_bfe_u32 v78, v17, 27, 4
	v_and_b32_e32 v17, 0x80000000, v17
	s_delay_alu instid0(VALU_DEP_3) | instskip(NEXT) | instid1(VALU_DEP_3)
	v_and_b32_e32 v21, 7, v21
	v_cmp_eq_u32_e32 vcc_lo, 0, v78
	v_cndmask_b32_e32 v77, v78, v77, vcc_lo
	s_delay_alu instid0(VALU_DEP_3) | instskip(NEXT) | instid1(VALU_DEP_2)
	v_cndmask_b32_e32 v21, v76, v21, vcc_lo
	v_lshl_add_u32 v76, v77, 23, 0x3b800000
	s_delay_alu instid0(VALU_DEP_2) | instskip(NEXT) | instid1(VALU_DEP_1)
	v_lshlrev_b32_e32 v21, 20, v21
	v_or3_b32 v76, v17, v76, v21
.LBB6_6744:                             ;   in Loop: Header=BB6_6112 Depth=3
	s_or_b32 exec_lo, exec_lo, s16
	s_delay_alu instid0(VALU_DEP_1) | instskip(NEXT) | instid1(VALU_DEP_1)
	v_add_f32_e32 v21, v75, v76
	v_and_b32_e32 v17, 0x7f800000, v21
	s_delay_alu instid0(VALU_DEP_1)
	v_cmp_ne_u32_e32 vcc_lo, 0x7f800000, v17
	v_mov_b32_e32 v17, 0x8000
	s_and_saveexec_b32 s16, vcc_lo
	s_cbranch_execz .LBB6_6752
; %bb.6745:                             ;   in Loop: Header=BB6_6112 Depth=3
	v_mov_b32_e32 v17, 0
	s_mov_b32 s17, exec_lo
	v_cmpx_ne_u32_e32 0, v21
	s_cbranch_execz .LBB6_6751
; %bb.6746:                             ;   in Loop: Header=BB6_6112 Depth=3
	v_bfe_u32 v17, v21, 23, 8
	s_delay_alu instid0(VALU_DEP_1) | instskip(SKIP_1) | instid1(VALU_DEP_2)
	v_sub_nc_u32_e32 v76, 0x78, v17
	v_cmp_gt_u32_e32 vcc_lo, 0x79, v17
	v_dual_cndmask_b32 v76, 0, v76 :: v_dual_and_b32 v75, 0x7fffff, v21
	s_delay_alu instid0(VALU_DEP_1) | instskip(SKIP_2) | instid1(VALU_DEP_4)
	v_or_b32_e32 v77, 0x800000, v75
	v_cmp_eq_u32_e32 vcc_lo, 0, v17
	v_add_nc_u32_e32 v17, 0xffffff89, v17
	v_cndmask_b32_e64 v76, v76, 0x77, vcc_lo
	s_delay_alu instid0(VALU_DEP_2) | instskip(SKIP_1) | instid1(VALU_DEP_3)
	v_cndmask_b32_e64 v17, v17, 0xffffff8a, vcc_lo
	v_cndmask_b32_e32 v75, v77, v75, vcc_lo
	v_lshl_add_u32 v77, 0x100000, v76, -1
	v_lshlrev_b32_e64 v88, v76, 0x80000
	s_delay_alu instid0(VALU_DEP_3) | instskip(SKIP_1) | instid1(VALU_DEP_4)
	v_lshrrev_b32_e32 v78, v76, v75
	v_add_nc_u32_e32 v76, v76, v17
	v_and_b32_e32 v75, v77, v75
	s_delay_alu instid0(VALU_DEP_3) | instskip(NEXT) | instid1(VALU_DEP_2)
	v_bfe_u32 v79, v78, 20, 1
	v_cmp_eq_u32_e64 s13, v75, v88
	s_delay_alu instid0(VALU_DEP_2) | instskip(NEXT) | instid1(VALU_DEP_1)
	v_add_nc_u32_e32 v77, -1, v79
	v_cndmask_b32_e64 v75, 0, v77, s13
	v_lshrrev_b32_e32 v77, 23, v78
	s_mov_b32 s13, exec_lo
	s_delay_alu instid0(VALU_DEP_2) | instskip(NEXT) | instid1(VALU_DEP_2)
	v_add_nc_u32_e32 v75, v75, v78
	v_xor_b32_e32 v77, 1, v77
	s_delay_alu instid0(VALU_DEP_2) | instskip(NEXT) | instid1(VALU_DEP_1)
	v_and_b32_e32 v17, 0xfffff, v75
	v_add_nc_u32_e32 v75, v17, v78
                                        ; implicit-def: $vgpr17
	s_delay_alu instid0(VALU_DEP_3)
	v_cmpx_ne_u32_e64 v76, v77
	s_xor_b32 s13, exec_lo, s13
; %bb.6747:                             ;   in Loop: Header=BB6_6112 Depth=3
	s_delay_alu instid0(VALU_DEP_2) | instskip(SKIP_2) | instid1(VALU_DEP_2)
	v_cmp_lt_u32_e32 vcc_lo, 0xffffff, v75
	v_sub_nc_u32_e32 v17, v76, v77
	v_cndmask_b32_e64 v76, 0, 1, vcc_lo
	v_add_co_ci_u32_e32 v17, vcc_lo, 0, v17, vcc_lo
	s_delay_alu instid0(VALU_DEP_2)
	v_lshrrev_b32_e32 v75, v76, v75
; %bb.6748:                             ;   in Loop: Header=BB6_6112 Depth=3
	s_and_not1_saveexec_b32 s13, s13
; %bb.6749:                             ;   in Loop: Header=BB6_6112 Depth=3
	s_delay_alu instid0(VALU_DEP_1)
	v_bfe_u32 v17, v75, 23, 1
; %bb.6750:                             ;   in Loop: Header=BB6_6112 Depth=3
	s_or_b32 exec_lo, exec_lo, s13
	v_lshrrev_b32_e32 v75, 20, v75
	s_delay_alu instid0(VALU_DEP_2) | instskip(SKIP_2) | instid1(VALU_DEP_2)
	v_cmp_gt_i32_e32 vcc_lo, 16, v17
	v_min_i32_e32 v76, 15, v17
	v_lshrrev_b32_e32 v21, 24, v21
	v_dual_cndmask_b32 v75, 7, v75 :: v_dual_lshlrev_b32 v76, 3, v76
	s_delay_alu instid0(VALU_DEP_2) | instskip(NEXT) | instid1(VALU_DEP_2)
	v_and_b32_e32 v21, 0x80, v21
	v_or_b32_e32 v17, v17, v75
	v_and_b32_e32 v77, 7, v75
	s_delay_alu instid0(VALU_DEP_2) | instskip(SKIP_1) | instid1(VALU_DEP_1)
	v_cmp_ne_u32_e32 vcc_lo, 0, v17
	v_and_b32_e32 v76, 0xf8, v76
	v_or3_b32 v21, v21, v76, v77
	s_delay_alu instid0(VALU_DEP_1) | instskip(NEXT) | instid1(VALU_DEP_1)
	v_lshlrev_b32_e32 v21, 8, v21
	v_cndmask_b32_e32 v17, 0, v21, vcc_lo
.LBB6_6751:                             ;   in Loop: Header=BB6_6112 Depth=3
	s_or_b32 exec_lo, exec_lo, s17
.LBB6_6752:                             ;   in Loop: Header=BB6_6112 Depth=3
	s_delay_alu instid0(SALU_CYCLE_1) | instskip(SKIP_3) | instid1(VALU_DEP_1)
	s_or_b32 exec_lo, exec_lo, s16
	v_and_b32_e32 v75, 0xff, v22
	s_mov_b32 s13, 0
	s_mov_b32 s17, exec_lo
                                        ; implicit-def: $sgpr16
	v_cmpx_lt_i16_e32 0x7f, v75
	s_xor_b32 s17, exec_lo, s17
	s_cbranch_execnz .LBB6_7454
; %bb.6753:                             ;   in Loop: Header=BB6_6112 Depth=3
	s_or_saveexec_b32 s17, s17
	v_mov_b32_e32 v21, s16
	s_xor_b32 exec_lo, exec_lo, s17
	s_cbranch_execnz .LBB6_7457
.LBB6_6754:                             ;   in Loop: Header=BB6_6112 Depth=3
	s_or_b32 exec_lo, exec_lo, s17
	s_and_saveexec_b32 s16, s13
	s_cbranch_execz .LBB6_6756
.LBB6_6755:                             ;   in Loop: Header=BB6_6112 Depth=3
	v_and_b32_e32 v21, 7, v22
	v_bfe_u32 v77, v22, 3, 4
	s_delay_alu instid0(VALU_DEP_2) | instskip(NEXT) | instid1(VALU_DEP_2)
	v_clz_i32_u32_e32 v75, v21
	v_cmp_eq_u32_e32 vcc_lo, 0, v77
	s_delay_alu instid0(VALU_DEP_2) | instskip(NEXT) | instid1(VALU_DEP_1)
	v_min_u32_e32 v75, 32, v75
	v_subrev_nc_u32_e32 v76, 28, v75
	v_sub_nc_u32_e32 v75, 29, v75
	s_delay_alu instid0(VALU_DEP_1) | instskip(NEXT) | instid1(VALU_DEP_1)
	v_dual_cndmask_b32 v75, v77, v75 :: v_dual_lshlrev_b32 v76, v76, v22
	v_and_b32_e32 v76, 7, v76
	v_lshlrev_b32_e32 v78, 24, v22
	s_delay_alu instid0(VALU_DEP_3) | instskip(NEXT) | instid1(VALU_DEP_2)
	v_lshl_add_u32 v75, v75, 23, 0x3b800000
	v_dual_cndmask_b32 v21, v21, v76 :: v_dual_and_b32 v76, 0x80000000, v78
	s_delay_alu instid0(VALU_DEP_1) | instskip(NEXT) | instid1(VALU_DEP_1)
	v_lshlrev_b32_e32 v21, 20, v21
	v_or3_b32 v21, v76, v75, v21
.LBB6_6756:                             ;   in Loop: Header=BB6_6112 Depth=3
	s_or_b32 exec_lo, exec_lo, s16
	v_and_b32_e32 v76, 0xff, v18
	s_mov_b32 s13, 0
	s_mov_b32 s17, exec_lo
                                        ; implicit-def: $sgpr16
	s_delay_alu instid0(VALU_DEP_1)
	v_cmpx_lt_i16_e32 0x7f, v76
	s_xor_b32 s17, exec_lo, s17
	s_cbranch_execnz .LBB6_7458
; %bb.6757:                             ;   in Loop: Header=BB6_6112 Depth=3
	s_or_saveexec_b32 s17, s17
	v_mov_b32_e32 v75, s16
	s_xor_b32 exec_lo, exec_lo, s17
	s_cbranch_execnz .LBB6_7461
.LBB6_6758:                             ;   in Loop: Header=BB6_6112 Depth=3
	s_or_b32 exec_lo, exec_lo, s17
	s_and_saveexec_b32 s16, s13
	s_cbranch_execz .LBB6_6760
.LBB6_6759:                             ;   in Loop: Header=BB6_6112 Depth=3
	v_bfe_u32 v78, v18, 3, 4
	v_lshlrev_b32_e32 v79, 24, v18
	s_delay_alu instid0(VALU_DEP_2) | instskip(SKIP_1) | instid1(VALU_DEP_1)
	v_cmp_eq_u32_e32 vcc_lo, 0, v78
	v_and_b32_e32 v75, 7, v18
	v_clz_i32_u32_e32 v76, v75
	s_delay_alu instid0(VALU_DEP_1) | instskip(NEXT) | instid1(VALU_DEP_1)
	v_min_u32_e32 v76, 32, v76
	v_subrev_nc_u32_e32 v77, 28, v76
	v_sub_nc_u32_e32 v76, 29, v76
	s_delay_alu instid0(VALU_DEP_1) | instskip(NEXT) | instid1(VALU_DEP_1)
	v_dual_cndmask_b32 v76, v78, v76 :: v_dual_lshlrev_b32 v77, v77, v18
	v_and_b32_e32 v77, 7, v77
	s_delay_alu instid0(VALU_DEP_2) | instskip(NEXT) | instid1(VALU_DEP_2)
	v_lshl_add_u32 v76, v76, 23, 0x3b800000
	v_cndmask_b32_e32 v75, v75, v77, vcc_lo
	v_and_b32_e32 v77, 0x80000000, v79
	s_delay_alu instid0(VALU_DEP_2) | instskip(NEXT) | instid1(VALU_DEP_1)
	v_lshlrev_b32_e32 v75, 20, v75
	v_or3_b32 v75, v77, v76, v75
.LBB6_6760:                             ;   in Loop: Header=BB6_6112 Depth=3
	s_or_b32 exec_lo, exec_lo, s16
	s_delay_alu instid0(VALU_DEP_1) | instskip(NEXT) | instid1(VALU_DEP_1)
	v_add_f32_e32 v75, v21, v75
	v_and_b32_e32 v21, 0x7f800000, v75
	s_delay_alu instid0(VALU_DEP_1)
	v_cmp_ne_u32_e32 vcc_lo, 0x7f800000, v21
	v_mov_b32_e32 v21, 0x80
	s_and_saveexec_b32 s16, vcc_lo
	s_cbranch_execz .LBB6_6768
; %bb.6761:                             ;   in Loop: Header=BB6_6112 Depth=3
	v_mov_b32_e32 v21, 0
	s_mov_b32 s17, exec_lo
	v_cmpx_ne_u32_e32 0, v75
	s_cbranch_execz .LBB6_6767
; %bb.6762:                             ;   in Loop: Header=BB6_6112 Depth=3
	v_bfe_u32 v21, v75, 23, 8
	s_delay_alu instid0(VALU_DEP_1) | instskip(SKIP_1) | instid1(VALU_DEP_2)
	v_sub_nc_u32_e32 v77, 0x78, v21
	v_cmp_gt_u32_e32 vcc_lo, 0x79, v21
	v_dual_cndmask_b32 v77, 0, v77 :: v_dual_and_b32 v76, 0x7fffff, v75
	s_delay_alu instid0(VALU_DEP_1) | instskip(SKIP_2) | instid1(VALU_DEP_4)
	v_or_b32_e32 v78, 0x800000, v76
	v_cmp_eq_u32_e32 vcc_lo, 0, v21
	v_add_nc_u32_e32 v21, 0xffffff89, v21
	v_cndmask_b32_e64 v77, v77, 0x77, vcc_lo
	s_delay_alu instid0(VALU_DEP_4) | instskip(NEXT) | instid1(VALU_DEP_3)
	v_cndmask_b32_e32 v76, v78, v76, vcc_lo
	v_cndmask_b32_e64 v21, v21, 0xffffff8a, vcc_lo
	s_delay_alu instid0(VALU_DEP_3) | instskip(NEXT) | instid1(VALU_DEP_3)
	v_lshl_add_u32 v78, 0x100000, v77, -1
	v_lshrrev_b32_e32 v79, v77, v76
	v_lshlrev_b32_e64 v89, v77, 0x80000
	s_delay_alu instid0(VALU_DEP_4) | instskip(NEXT) | instid1(VALU_DEP_4)
	v_add_nc_u32_e32 v77, v77, v21
	v_and_b32_e32 v76, v78, v76
	s_delay_alu instid0(VALU_DEP_4) | instskip(NEXT) | instid1(VALU_DEP_2)
	v_bfe_u32 v88, v79, 20, 1
	v_cmp_eq_u32_e64 s13, v76, v89
	s_delay_alu instid0(VALU_DEP_2) | instskip(NEXT) | instid1(VALU_DEP_1)
	v_add_nc_u32_e32 v78, -1, v88
	v_cndmask_b32_e64 v76, 0, v78, s13
	v_lshrrev_b32_e32 v78, 23, v79
	s_mov_b32 s13, exec_lo
	s_delay_alu instid0(VALU_DEP_2) | instskip(NEXT) | instid1(VALU_DEP_2)
	v_add_nc_u32_e32 v76, v76, v79
	v_xor_b32_e32 v78, 1, v78
	s_delay_alu instid0(VALU_DEP_2) | instskip(NEXT) | instid1(VALU_DEP_1)
	v_and_b32_e32 v21, 0xfffff, v76
	v_add_nc_u32_e32 v76, v21, v79
                                        ; implicit-def: $vgpr21
	s_delay_alu instid0(VALU_DEP_3)
	v_cmpx_ne_u32_e64 v77, v78
	s_xor_b32 s13, exec_lo, s13
; %bb.6763:                             ;   in Loop: Header=BB6_6112 Depth=3
	s_delay_alu instid0(VALU_DEP_2) | instskip(SKIP_2) | instid1(VALU_DEP_2)
	v_cmp_lt_u32_e32 vcc_lo, 0xffffff, v76
	v_sub_nc_u32_e32 v21, v77, v78
	v_cndmask_b32_e64 v77, 0, 1, vcc_lo
	v_add_co_ci_u32_e32 v21, vcc_lo, 0, v21, vcc_lo
	s_delay_alu instid0(VALU_DEP_2)
	v_lshrrev_b32_e32 v76, v77, v76
; %bb.6764:                             ;   in Loop: Header=BB6_6112 Depth=3
	s_and_not1_saveexec_b32 s13, s13
; %bb.6765:                             ;   in Loop: Header=BB6_6112 Depth=3
	s_delay_alu instid0(VALU_DEP_1)
	v_bfe_u32 v21, v76, 23, 1
; %bb.6766:                             ;   in Loop: Header=BB6_6112 Depth=3
	s_or_b32 exec_lo, exec_lo, s13
	v_lshrrev_b32_e32 v76, 20, v76
	s_delay_alu instid0(VALU_DEP_2) | instskip(SKIP_2) | instid1(VALU_DEP_2)
	v_cmp_gt_i32_e32 vcc_lo, 16, v21
	v_lshrrev_b32_e32 v75, 24, v75
	v_min_i32_e32 v77, 15, v21
	v_dual_cndmask_b32 v76, 7, v76 :: v_dual_and_b32 v75, 0x80, v75
	s_delay_alu instid0(VALU_DEP_2) | instskip(NEXT) | instid1(VALU_DEP_2)
	v_lshlrev_b32_e32 v77, 3, v77
	v_or_b32_e32 v21, v21, v76
	s_delay_alu instid0(VALU_DEP_1) | instskip(SKIP_1) | instid1(VALU_DEP_1)
	v_cmp_ne_u32_e32 vcc_lo, 0, v21
	v_and_b32_e32 v78, 7, v76
	v_or3_b32 v75, v77, v75, v78
	s_delay_alu instid0(VALU_DEP_1)
	v_cndmask_b32_e32 v21, 0, v75, vcc_lo
.LBB6_6767:                             ;   in Loop: Header=BB6_6112 Depth=3
	s_or_b32 exec_lo, exec_lo, s17
.LBB6_6768:                             ;   in Loop: Header=BB6_6112 Depth=3
	s_delay_alu instid0(SALU_CYCLE_1) | instskip(SKIP_3) | instid1(VALU_DEP_1)
	s_or_b32 exec_lo, exec_lo, s16
	v_lshrrev_b16 v76, 8, v22
	s_mov_b32 s13, 0
	s_mov_b32 s17, exec_lo
                                        ; implicit-def: $sgpr16
	v_cmpx_lt_i16_e32 0x7f, v76
	s_xor_b32 s17, exec_lo, s17
	s_cbranch_execnz .LBB6_7462
; %bb.6769:                             ;   in Loop: Header=BB6_6112 Depth=3
	s_or_saveexec_b32 s17, s17
	v_mov_b32_e32 v75, s16
	s_xor_b32 exec_lo, exec_lo, s17
	s_cbranch_execnz .LBB6_7465
.LBB6_6770:                             ;   in Loop: Header=BB6_6112 Depth=3
	s_or_b32 exec_lo, exec_lo, s17
	s_and_saveexec_b32 s16, s13
	s_cbranch_execz .LBB6_6772
.LBB6_6771:                             ;   in Loop: Header=BB6_6112 Depth=3
	v_and_b32_e32 v75, 0xffff, v76
	s_delay_alu instid0(VALU_DEP_1) | instskip(NEXT) | instid1(VALU_DEP_1)
	v_and_b32_e32 v77, 7, v75
	v_clz_i32_u32_e32 v78, v77
	s_delay_alu instid0(VALU_DEP_1) | instskip(NEXT) | instid1(VALU_DEP_1)
	v_min_u32_e32 v78, 32, v78
	v_subrev_nc_u32_e32 v79, 28, v78
	v_sub_nc_u32_e32 v78, 29, v78
	s_delay_alu instid0(VALU_DEP_2) | instskip(SKIP_1) | instid1(VALU_DEP_2)
	v_lshlrev_b32_e32 v79, v79, v75
	v_bfe_u32 v75, v75, 3, 4
	v_and_b32_e32 v79, 7, v79
	s_delay_alu instid0(VALU_DEP_2) | instskip(SKIP_1) | instid1(VALU_DEP_1)
	v_cmp_eq_u32_e32 vcc_lo, 0, v75
	v_dual_cndmask_b32 v75, v75, v78 :: v_dual_lshlrev_b32 v76, 24, v76
	v_dual_cndmask_b32 v77, v77, v79 :: v_dual_and_b32 v76, 0x80000000, v76
	s_delay_alu instid0(VALU_DEP_2) | instskip(NEXT) | instid1(VALU_DEP_2)
	v_lshl_add_u32 v75, v75, 23, 0x3b800000
	v_lshlrev_b32_e32 v77, 20, v77
	s_delay_alu instid0(VALU_DEP_1)
	v_or3_b32 v75, v76, v75, v77
.LBB6_6772:                             ;   in Loop: Header=BB6_6112 Depth=3
	s_or_b32 exec_lo, exec_lo, s16
	v_lshrrev_b16 v76, 8, v18
	s_mov_b32 s13, 0
	s_mov_b32 s17, exec_lo
                                        ; implicit-def: $sgpr16
	s_delay_alu instid0(VALU_DEP_1)
	v_cmpx_lt_i16_e32 0x7f, v76
	s_xor_b32 s17, exec_lo, s17
	s_cbranch_execnz .LBB6_7466
; %bb.6773:                             ;   in Loop: Header=BB6_6112 Depth=3
	s_or_saveexec_b32 s17, s17
	v_mov_b32_e32 v77, s16
	s_xor_b32 exec_lo, exec_lo, s17
	s_cbranch_execnz .LBB6_7469
.LBB6_6774:                             ;   in Loop: Header=BB6_6112 Depth=3
	s_or_b32 exec_lo, exec_lo, s17
	s_and_saveexec_b32 s16, s13
	s_cbranch_execz .LBB6_6776
.LBB6_6775:                             ;   in Loop: Header=BB6_6112 Depth=3
	v_and_b32_e32 v77, 0xffff, v76
	v_lshlrev_b32_e32 v76, 24, v76
	s_delay_alu instid0(VALU_DEP_2) | instskip(NEXT) | instid1(VALU_DEP_2)
	v_and_b32_e32 v78, 7, v77
	v_and_b32_e32 v76, 0x80000000, v76
	s_delay_alu instid0(VALU_DEP_2) | instskip(NEXT) | instid1(VALU_DEP_1)
	v_clz_i32_u32_e32 v79, v78
	v_min_u32_e32 v79, 32, v79
	s_delay_alu instid0(VALU_DEP_1) | instskip(SKIP_1) | instid1(VALU_DEP_2)
	v_subrev_nc_u32_e32 v88, 28, v79
	v_sub_nc_u32_e32 v79, 29, v79
	v_lshlrev_b32_e32 v88, v88, v77
	v_bfe_u32 v77, v77, 3, 4
	s_delay_alu instid0(VALU_DEP_2) | instskip(NEXT) | instid1(VALU_DEP_2)
	v_and_b32_e32 v88, 7, v88
	v_cmp_eq_u32_e32 vcc_lo, 0, v77
	s_delay_alu instid0(VALU_DEP_2) | instskip(NEXT) | instid1(VALU_DEP_1)
	v_dual_cndmask_b32 v77, v77, v79 :: v_dual_cndmask_b32 v78, v78, v88
	v_lshl_add_u32 v77, v77, 23, 0x3b800000
	s_delay_alu instid0(VALU_DEP_2) | instskip(NEXT) | instid1(VALU_DEP_1)
	v_lshlrev_b32_e32 v78, 20, v78
	v_or3_b32 v77, v76, v77, v78
.LBB6_6776:                             ;   in Loop: Header=BB6_6112 Depth=3
	s_or_b32 exec_lo, exec_lo, s16
	s_delay_alu instid0(VALU_DEP_1) | instskip(NEXT) | instid1(VALU_DEP_1)
	v_add_f32_e32 v76, v75, v77
	v_and_b32_e32 v75, 0x7f800000, v76
	s_delay_alu instid0(VALU_DEP_1)
	v_cmp_ne_u32_e32 vcc_lo, 0x7f800000, v75
	v_mov_b32_e32 v75, 0x80
	s_and_saveexec_b32 s16, vcc_lo
	s_cbranch_execz .LBB6_6784
; %bb.6777:                             ;   in Loop: Header=BB6_6112 Depth=3
	v_mov_b32_e32 v75, 0
	s_mov_b32 s17, exec_lo
	v_cmpx_ne_u32_e32 0, v76
	s_cbranch_execz .LBB6_6783
; %bb.6778:                             ;   in Loop: Header=BB6_6112 Depth=3
	v_bfe_u32 v75, v76, 23, 8
	s_delay_alu instid0(VALU_DEP_1) | instskip(SKIP_1) | instid1(VALU_DEP_2)
	v_sub_nc_u32_e32 v78, 0x78, v75
	v_cmp_gt_u32_e32 vcc_lo, 0x79, v75
	v_dual_cndmask_b32 v78, 0, v78 :: v_dual_and_b32 v77, 0x7fffff, v76
	s_delay_alu instid0(VALU_DEP_1) | instskip(SKIP_2) | instid1(VALU_DEP_4)
	v_or_b32_e32 v79, 0x800000, v77
	v_cmp_eq_u32_e32 vcc_lo, 0, v75
	v_add_nc_u32_e32 v75, 0xffffff89, v75
	v_cndmask_b32_e64 v78, v78, 0x77, vcc_lo
	s_delay_alu instid0(VALU_DEP_2) | instskip(SKIP_1) | instid1(VALU_DEP_3)
	v_cndmask_b32_e64 v75, v75, 0xffffff8a, vcc_lo
	v_cndmask_b32_e32 v77, v79, v77, vcc_lo
	v_lshl_add_u32 v79, 0x100000, v78, -1
	v_lshlrev_b32_e64 v90, v78, 0x80000
	s_delay_alu instid0(VALU_DEP_3) | instskip(SKIP_1) | instid1(VALU_DEP_4)
	v_lshrrev_b32_e32 v88, v78, v77
	v_add_nc_u32_e32 v78, v78, v75
	v_and_b32_e32 v77, v79, v77
	s_delay_alu instid0(VALU_DEP_3) | instskip(NEXT) | instid1(VALU_DEP_2)
	v_bfe_u32 v89, v88, 20, 1
	v_cmp_eq_u32_e64 s13, v77, v90
	s_delay_alu instid0(VALU_DEP_2) | instskip(NEXT) | instid1(VALU_DEP_1)
	v_add_nc_u32_e32 v79, -1, v89
	v_cndmask_b32_e64 v77, 0, v79, s13
	v_lshrrev_b32_e32 v79, 23, v88
	s_mov_b32 s13, exec_lo
	s_delay_alu instid0(VALU_DEP_2) | instskip(NEXT) | instid1(VALU_DEP_2)
	v_add_nc_u32_e32 v77, v77, v88
	v_xor_b32_e32 v79, 1, v79
	s_delay_alu instid0(VALU_DEP_2) | instskip(NEXT) | instid1(VALU_DEP_1)
	v_and_b32_e32 v75, 0xfffff, v77
	v_add_nc_u32_e32 v77, v75, v88
                                        ; implicit-def: $vgpr75
	s_delay_alu instid0(VALU_DEP_3)
	v_cmpx_ne_u32_e64 v78, v79
	s_xor_b32 s13, exec_lo, s13
; %bb.6779:                             ;   in Loop: Header=BB6_6112 Depth=3
	s_delay_alu instid0(VALU_DEP_2) | instskip(SKIP_2) | instid1(VALU_DEP_2)
	v_cmp_lt_u32_e32 vcc_lo, 0xffffff, v77
	v_sub_nc_u32_e32 v75, v78, v79
	v_cndmask_b32_e64 v78, 0, 1, vcc_lo
	v_add_co_ci_u32_e32 v75, vcc_lo, 0, v75, vcc_lo
	s_delay_alu instid0(VALU_DEP_2)
	v_lshrrev_b32_e32 v77, v78, v77
; %bb.6780:                             ;   in Loop: Header=BB6_6112 Depth=3
	s_and_not1_saveexec_b32 s13, s13
; %bb.6781:                             ;   in Loop: Header=BB6_6112 Depth=3
	s_delay_alu instid0(VALU_DEP_1)
	v_bfe_u32 v75, v77, 23, 1
; %bb.6782:                             ;   in Loop: Header=BB6_6112 Depth=3
	s_or_b32 exec_lo, exec_lo, s13
	v_lshrrev_b32_e32 v77, 20, v77
	s_delay_alu instid0(VALU_DEP_2) | instskip(SKIP_2) | instid1(VALU_DEP_2)
	v_cmp_gt_i32_e32 vcc_lo, 16, v75
	v_lshrrev_b32_e32 v76, 24, v76
	v_min_i32_e32 v78, 15, v75
	v_dual_cndmask_b32 v77, 7, v77 :: v_dual_and_b32 v76, 0x80, v76
	s_delay_alu instid0(VALU_DEP_1) | instskip(SKIP_1) | instid1(VALU_DEP_2)
	v_or_b32_e32 v75, v75, v77
	v_and_b32_e32 v79, 7, v77
	v_cmp_ne_u32_e32 vcc_lo, 0, v75
	v_lshlrev_b32_e32 v78, 3, v78
	s_delay_alu instid0(VALU_DEP_1) | instskip(NEXT) | instid1(VALU_DEP_1)
	v_or3_b32 v76, v78, v76, v79
	v_cndmask_b32_e32 v75, 0, v76, vcc_lo
.LBB6_6783:                             ;   in Loop: Header=BB6_6112 Depth=3
	s_or_b32 exec_lo, exec_lo, s17
.LBB6_6784:                             ;   in Loop: Header=BB6_6112 Depth=3
	s_delay_alu instid0(SALU_CYCLE_1) | instskip(SKIP_3) | instid1(VALU_DEP_1)
	s_or_b32 exec_lo, exec_lo, s16
	v_lshrrev_b32_e32 v77, 16, v22
	s_mov_b32 s13, 0
	s_mov_b32 s17, exec_lo
                                        ; implicit-def: $sgpr16
	v_and_b32_e32 v78, 0xff, v77
	s_delay_alu instid0(VALU_DEP_1)
	v_cmpx_lt_i16_e32 0x7f, v78
	s_xor_b32 s17, exec_lo, s17
	s_cbranch_execnz .LBB6_7470
; %bb.6785:                             ;   in Loop: Header=BB6_6112 Depth=3
	s_or_saveexec_b32 s17, s17
	v_mov_b32_e32 v76, s16
	s_xor_b32 exec_lo, exec_lo, s17
	s_cbranch_execnz .LBB6_7473
.LBB6_6786:                             ;   in Loop: Header=BB6_6112 Depth=3
	s_or_b32 exec_lo, exec_lo, s17
	s_and_saveexec_b32 s16, s13
	s_cbranch_execz .LBB6_6788
.LBB6_6787:                             ;   in Loop: Header=BB6_6112 Depth=3
	v_bfe_u32 v76, v22, 16, 3
	v_lshlrev_b32_e32 v88, 8, v22
	s_delay_alu instid0(VALU_DEP_2) | instskip(NEXT) | instid1(VALU_DEP_1)
	v_clz_i32_u32_e32 v78, v76
	v_min_u32_e32 v78, 32, v78
	s_delay_alu instid0(VALU_DEP_1) | instskip(SKIP_1) | instid1(VALU_DEP_2)
	v_subrev_nc_u32_e32 v79, 28, v78
	v_sub_nc_u32_e32 v78, 29, v78
	v_lshlrev_b32_e32 v77, v79, v77
	v_bfe_u32 v79, v22, 19, 4
	s_delay_alu instid0(VALU_DEP_1) | instskip(NEXT) | instid1(VALU_DEP_3)
	v_cmp_eq_u32_e32 vcc_lo, 0, v79
	v_dual_cndmask_b32 v78, v79, v78 :: v_dual_and_b32 v77, 7, v77
	s_delay_alu instid0(VALU_DEP_1) | instskip(NEXT) | instid1(VALU_DEP_2)
	v_dual_cndmask_b32 v76, v76, v77 :: v_dual_and_b32 v77, 0x80000000, v88
	v_lshl_add_u32 v78, v78, 23, 0x3b800000
	s_delay_alu instid0(VALU_DEP_2) | instskip(NEXT) | instid1(VALU_DEP_1)
	v_lshlrev_b32_e32 v76, 20, v76
	v_or3_b32 v76, v77, v78, v76
.LBB6_6788:                             ;   in Loop: Header=BB6_6112 Depth=3
	s_or_b32 exec_lo, exec_lo, s16
	v_lshrrev_b32_e32 v77, 16, v18
	s_mov_b32 s13, 0
	s_mov_b32 s17, exec_lo
                                        ; implicit-def: $sgpr16
	s_delay_alu instid0(VALU_DEP_1) | instskip(NEXT) | instid1(VALU_DEP_1)
	v_and_b32_e32 v79, 0xff, v77
	v_cmpx_lt_i16_e32 0x7f, v79
	s_xor_b32 s17, exec_lo, s17
	s_cbranch_execnz .LBB6_7474
; %bb.6789:                             ;   in Loop: Header=BB6_6112 Depth=3
	s_or_saveexec_b32 s17, s17
	v_mov_b32_e32 v78, s16
	s_xor_b32 exec_lo, exec_lo, s17
	s_cbranch_execnz .LBB6_7477
.LBB6_6790:                             ;   in Loop: Header=BB6_6112 Depth=3
	s_or_b32 exec_lo, exec_lo, s17
	s_and_saveexec_b32 s16, s13
	s_cbranch_execz .LBB6_6792
.LBB6_6791:                             ;   in Loop: Header=BB6_6112 Depth=3
	v_bfe_u32 v78, v18, 16, 3
	v_lshlrev_b32_e32 v89, 8, v18
	s_delay_alu instid0(VALU_DEP_2) | instskip(NEXT) | instid1(VALU_DEP_1)
	v_clz_i32_u32_e32 v79, v78
	v_min_u32_e32 v79, 32, v79
	s_delay_alu instid0(VALU_DEP_1) | instskip(SKIP_1) | instid1(VALU_DEP_2)
	v_subrev_nc_u32_e32 v88, 28, v79
	v_sub_nc_u32_e32 v79, 29, v79
	v_lshlrev_b32_e32 v77, v88, v77
	v_bfe_u32 v88, v18, 19, 4
	s_delay_alu instid0(VALU_DEP_2) | instskip(NEXT) | instid1(VALU_DEP_2)
	v_and_b32_e32 v77, 7, v77
	v_cmp_eq_u32_e32 vcc_lo, 0, v88
	v_cndmask_b32_e32 v79, v88, v79, vcc_lo
	s_delay_alu instid0(VALU_DEP_3) | instskip(SKIP_1) | instid1(VALU_DEP_3)
	v_cndmask_b32_e32 v77, v78, v77, vcc_lo
	v_and_b32_e32 v78, 0x80000000, v89
	v_lshl_add_u32 v79, v79, 23, 0x3b800000
	s_delay_alu instid0(VALU_DEP_3) | instskip(NEXT) | instid1(VALU_DEP_1)
	v_lshlrev_b32_e32 v77, 20, v77
	v_or3_b32 v78, v78, v79, v77
.LBB6_6792:                             ;   in Loop: Header=BB6_6112 Depth=3
	s_or_b32 exec_lo, exec_lo, s16
	s_delay_alu instid0(VALU_DEP_1) | instskip(NEXT) | instid1(VALU_DEP_1)
	v_add_f32_e32 v77, v76, v78
	v_and_b32_e32 v76, 0x7f800000, v77
	s_delay_alu instid0(VALU_DEP_1)
	v_cmp_ne_u32_e32 vcc_lo, 0x7f800000, v76
	v_mov_b32_e32 v76, 0x80
	s_and_saveexec_b32 s16, vcc_lo
	s_cbranch_execz .LBB6_6800
; %bb.6793:                             ;   in Loop: Header=BB6_6112 Depth=3
	v_mov_b32_e32 v76, 0
	s_mov_b32 s17, exec_lo
	v_cmpx_ne_u32_e32 0, v77
	s_cbranch_execz .LBB6_6799
; %bb.6794:                             ;   in Loop: Header=BB6_6112 Depth=3
	v_bfe_u32 v76, v77, 23, 8
	s_delay_alu instid0(VALU_DEP_1) | instskip(SKIP_1) | instid1(VALU_DEP_2)
	v_sub_nc_u32_e32 v79, 0x78, v76
	v_cmp_gt_u32_e32 vcc_lo, 0x79, v76
	v_dual_cndmask_b32 v79, 0, v79 :: v_dual_and_b32 v78, 0x7fffff, v77
	s_delay_alu instid0(VALU_DEP_1) | instskip(SKIP_2) | instid1(VALU_DEP_4)
	v_or_b32_e32 v88, 0x800000, v78
	v_cmp_eq_u32_e32 vcc_lo, 0, v76
	v_add_nc_u32_e32 v76, 0xffffff89, v76
	v_cndmask_b32_e64 v79, v79, 0x77, vcc_lo
	s_delay_alu instid0(VALU_DEP_2) | instskip(SKIP_1) | instid1(VALU_DEP_3)
	v_cndmask_b32_e64 v76, v76, 0xffffff8a, vcc_lo
	v_cndmask_b32_e32 v78, v88, v78, vcc_lo
	v_lshl_add_u32 v88, 0x100000, v79, -1
	v_lshlrev_b32_e64 v91, v79, 0x80000
	s_delay_alu instid0(VALU_DEP_3) | instskip(SKIP_1) | instid1(VALU_DEP_4)
	v_lshrrev_b32_e32 v89, v79, v78
	v_add_nc_u32_e32 v79, v79, v76
	v_and_b32_e32 v78, v88, v78
	s_delay_alu instid0(VALU_DEP_3) | instskip(NEXT) | instid1(VALU_DEP_2)
	v_bfe_u32 v90, v89, 20, 1
	v_cmp_eq_u32_e64 s13, v78, v91
	s_delay_alu instid0(VALU_DEP_2) | instskip(NEXT) | instid1(VALU_DEP_1)
	v_add_nc_u32_e32 v88, -1, v90
	v_cndmask_b32_e64 v78, 0, v88, s13
	v_lshrrev_b32_e32 v88, 23, v89
	s_mov_b32 s13, exec_lo
	s_delay_alu instid0(VALU_DEP_2) | instskip(NEXT) | instid1(VALU_DEP_2)
	v_add_nc_u32_e32 v78, v78, v89
	v_xor_b32_e32 v88, 1, v88
	s_delay_alu instid0(VALU_DEP_2) | instskip(NEXT) | instid1(VALU_DEP_1)
	v_and_b32_e32 v76, 0xfffff, v78
	v_add_nc_u32_e32 v78, v76, v89
                                        ; implicit-def: $vgpr76
	s_delay_alu instid0(VALU_DEP_3)
	v_cmpx_ne_u32_e64 v79, v88
	s_xor_b32 s13, exec_lo, s13
; %bb.6795:                             ;   in Loop: Header=BB6_6112 Depth=3
	s_delay_alu instid0(VALU_DEP_2) | instskip(SKIP_2) | instid1(VALU_DEP_2)
	v_cmp_lt_u32_e32 vcc_lo, 0xffffff, v78
	v_sub_nc_u32_e32 v76, v79, v88
	v_cndmask_b32_e64 v79, 0, 1, vcc_lo
	v_add_co_ci_u32_e32 v76, vcc_lo, 0, v76, vcc_lo
	s_delay_alu instid0(VALU_DEP_2)
	v_lshrrev_b32_e32 v78, v79, v78
; %bb.6796:                             ;   in Loop: Header=BB6_6112 Depth=3
	s_and_not1_saveexec_b32 s13, s13
; %bb.6797:                             ;   in Loop: Header=BB6_6112 Depth=3
	s_delay_alu instid0(VALU_DEP_1)
	v_bfe_u32 v76, v78, 23, 1
; %bb.6798:                             ;   in Loop: Header=BB6_6112 Depth=3
	s_or_b32 exec_lo, exec_lo, s13
	v_lshrrev_b32_e32 v78, 20, v78
	s_delay_alu instid0(VALU_DEP_2) | instskip(SKIP_2) | instid1(VALU_DEP_2)
	v_cmp_gt_i32_e32 vcc_lo, 16, v76
	v_lshrrev_b32_e32 v77, 24, v77
	v_min_i32_e32 v79, 15, v76
	v_dual_cndmask_b32 v78, 7, v78 :: v_dual_and_b32 v77, 0x80, v77
	s_delay_alu instid0(VALU_DEP_1) | instskip(SKIP_1) | instid1(VALU_DEP_2)
	v_or_b32_e32 v76, v76, v78
	v_and_b32_e32 v88, 7, v78
	v_cmp_ne_u32_e32 vcc_lo, 0, v76
	v_lshlrev_b32_e32 v79, 3, v79
	s_delay_alu instid0(VALU_DEP_1) | instskip(NEXT) | instid1(VALU_DEP_1)
	v_or3_b32 v77, v79, v77, v88
	v_cndmask_b32_e32 v76, 0, v77, vcc_lo
.LBB6_6799:                             ;   in Loop: Header=BB6_6112 Depth=3
	s_or_b32 exec_lo, exec_lo, s17
.LBB6_6800:                             ;   in Loop: Header=BB6_6112 Depth=3
	s_delay_alu instid0(SALU_CYCLE_1) | instskip(SKIP_3) | instid1(VALU_DEP_1)
	s_or_b32 exec_lo, exec_lo, s16
	v_lshrrev_b32_e32 v78, 24, v22
	s_mov_b32 s13, 0
	s_mov_b32 s17, exec_lo
                                        ; implicit-def: $sgpr16
	v_cmpx_lt_i16_e32 0x7f, v78
	s_xor_b32 s17, exec_lo, s17
	s_cbranch_execnz .LBB6_7478
; %bb.6801:                             ;   in Loop: Header=BB6_6112 Depth=3
	s_or_saveexec_b32 s17, s17
	v_mov_b32_e32 v77, s16
	s_xor_b32 exec_lo, exec_lo, s17
	s_cbranch_execnz .LBB6_7481
.LBB6_6802:                             ;   in Loop: Header=BB6_6112 Depth=3
	s_or_b32 exec_lo, exec_lo, s17
	s_and_saveexec_b32 s16, s13
	s_cbranch_execz .LBB6_6804
.LBB6_6803:                             ;   in Loop: Header=BB6_6112 Depth=3
	v_bfe_u32 v77, v22, 24, 3
	s_delay_alu instid0(VALU_DEP_1) | instskip(NEXT) | instid1(VALU_DEP_1)
	v_clz_i32_u32_e32 v79, v77
	v_min_u32_e32 v79, 32, v79
	s_delay_alu instid0(VALU_DEP_1) | instskip(SKIP_1) | instid1(VALU_DEP_2)
	v_subrev_nc_u32_e32 v88, 28, v79
	v_sub_nc_u32_e32 v79, 29, v79
	v_lshlrev_b32_e32 v78, v88, v78
	v_bfe_u32 v88, v22, 27, 4
	v_and_b32_e32 v22, 0x80000000, v22
	s_delay_alu instid0(VALU_DEP_2) | instskip(NEXT) | instid1(VALU_DEP_4)
	v_cmp_eq_u32_e32 vcc_lo, 0, v88
	v_dual_cndmask_b32 v79, v88, v79 :: v_dual_and_b32 v78, 7, v78
	s_delay_alu instid0(VALU_DEP_1) | instskip(NEXT) | instid1(VALU_DEP_2)
	v_cndmask_b32_e32 v77, v77, v78, vcc_lo
	v_lshl_add_u32 v78, v79, 23, 0x3b800000
	s_delay_alu instid0(VALU_DEP_2) | instskip(NEXT) | instid1(VALU_DEP_1)
	v_lshlrev_b32_e32 v77, 20, v77
	v_or3_b32 v77, v22, v78, v77
.LBB6_6804:                             ;   in Loop: Header=BB6_6112 Depth=3
	s_or_b32 exec_lo, exec_lo, s16
	v_lshrrev_b32_e32 v22, 24, v18
	s_mov_b32 s13, 0
	s_mov_b32 s17, exec_lo
                                        ; implicit-def: $sgpr16
	s_delay_alu instid0(VALU_DEP_1)
	v_cmpx_lt_i16_e32 0x7f, v22
	s_xor_b32 s17, exec_lo, s17
	s_cbranch_execnz .LBB6_7482
; %bb.6805:                             ;   in Loop: Header=BB6_6112 Depth=3
	s_or_saveexec_b32 s17, s17
	v_mov_b32_e32 v78, s16
	s_xor_b32 exec_lo, exec_lo, s17
	s_cbranch_execnz .LBB6_7485
.LBB6_6806:                             ;   in Loop: Header=BB6_6112 Depth=3
	s_or_b32 exec_lo, exec_lo, s17
	s_and_saveexec_b32 s16, s13
	s_cbranch_execz .LBB6_6808
.LBB6_6807:                             ;   in Loop: Header=BB6_6112 Depth=3
	v_bfe_u32 v78, v18, 24, 3
	s_delay_alu instid0(VALU_DEP_1) | instskip(NEXT) | instid1(VALU_DEP_1)
	v_clz_i32_u32_e32 v79, v78
	v_min_u32_e32 v79, 32, v79
	s_delay_alu instid0(VALU_DEP_1) | instskip(SKIP_1) | instid1(VALU_DEP_2)
	v_subrev_nc_u32_e32 v88, 28, v79
	v_sub_nc_u32_e32 v79, 29, v79
	v_lshlrev_b32_e32 v22, v88, v22
	v_bfe_u32 v88, v18, 27, 4
	v_and_b32_e32 v18, 0x80000000, v18
	s_delay_alu instid0(VALU_DEP_2) | instskip(NEXT) | instid1(VALU_DEP_4)
	v_cmp_eq_u32_e32 vcc_lo, 0, v88
	v_dual_cndmask_b32 v79, v88, v79 :: v_dual_and_b32 v22, 7, v22
	s_delay_alu instid0(VALU_DEP_1) | instskip(NEXT) | instid1(VALU_DEP_2)
	v_cndmask_b32_e32 v22, v78, v22, vcc_lo
	v_lshl_add_u32 v78, v79, 23, 0x3b800000
	s_delay_alu instid0(VALU_DEP_2) | instskip(NEXT) | instid1(VALU_DEP_1)
	v_lshlrev_b32_e32 v22, 20, v22
	v_or3_b32 v78, v18, v78, v22
.LBB6_6808:                             ;   in Loop: Header=BB6_6112 Depth=3
	s_or_b32 exec_lo, exec_lo, s16
	s_delay_alu instid0(VALU_DEP_1) | instskip(NEXT) | instid1(VALU_DEP_1)
	v_add_f32_e32 v22, v77, v78
	v_and_b32_e32 v18, 0x7f800000, v22
	s_delay_alu instid0(VALU_DEP_1)
	v_cmp_ne_u32_e32 vcc_lo, 0x7f800000, v18
	v_mov_b32_e32 v18, 0x80
	s_and_saveexec_b32 s16, vcc_lo
	s_cbranch_execz .LBB6_6816
; %bb.6809:                             ;   in Loop: Header=BB6_6112 Depth=3
	v_mov_b32_e32 v18, 0
	s_mov_b32 s17, exec_lo
	v_cmpx_ne_u32_e32 0, v22
	s_cbranch_execz .LBB6_6815
; %bb.6810:                             ;   in Loop: Header=BB6_6112 Depth=3
	v_bfe_u32 v18, v22, 23, 8
	v_and_b32_e32 v77, 0x7fffff, v22
	s_delay_alu instid0(VALU_DEP_2) | instskip(SKIP_1) | instid1(VALU_DEP_3)
	v_sub_nc_u32_e32 v78, 0x78, v18
	v_cmp_gt_u32_e32 vcc_lo, 0x79, v18
	v_or_b32_e32 v79, 0x800000, v77
	s_delay_alu instid0(VALU_DEP_3) | instskip(SKIP_1) | instid1(VALU_DEP_3)
	v_cndmask_b32_e32 v78, 0, v78, vcc_lo
	v_cmp_eq_u32_e32 vcc_lo, 0, v18
	v_dual_cndmask_b32 v77, v79, v77 :: v_dual_add_nc_u32 v18, 0xffffff89, v18
	s_delay_alu instid0(VALU_DEP_3) | instskip(NEXT) | instid1(VALU_DEP_2)
	v_cndmask_b32_e64 v78, v78, 0x77, vcc_lo
	v_cndmask_b32_e64 v18, v18, 0xffffff8a, vcc_lo
	s_delay_alu instid0(VALU_DEP_2) | instskip(SKIP_2) | instid1(VALU_DEP_4)
	v_lshrrev_b32_e32 v88, v78, v77
	v_lshl_add_u32 v79, 0x100000, v78, -1
	v_lshlrev_b32_e64 v90, v78, 0x80000
	v_add_nc_u32_e32 v78, v78, v18
	s_delay_alu instid0(VALU_DEP_4) | instskip(NEXT) | instid1(VALU_DEP_4)
	v_bfe_u32 v89, v88, 20, 1
	v_and_b32_e32 v77, v79, v77
	s_delay_alu instid0(VALU_DEP_2) | instskip(NEXT) | instid1(VALU_DEP_2)
	v_add_nc_u32_e32 v79, -1, v89
	v_cmp_eq_u32_e64 s13, v77, v90
	s_delay_alu instid0(VALU_DEP_1) | instskip(SKIP_2) | instid1(VALU_DEP_2)
	v_cndmask_b32_e64 v77, 0, v79, s13
	v_lshrrev_b32_e32 v79, 23, v88
	s_mov_b32 s13, exec_lo
	v_add_nc_u32_e32 v77, v77, v88
	s_delay_alu instid0(VALU_DEP_2) | instskip(NEXT) | instid1(VALU_DEP_2)
	v_xor_b32_e32 v79, 1, v79
	v_and_b32_e32 v18, 0xfffff, v77
	s_delay_alu instid0(VALU_DEP_1) | instskip(NEXT) | instid1(VALU_DEP_3)
	v_add_nc_u32_e32 v77, v18, v88
                                        ; implicit-def: $vgpr18
	v_cmpx_ne_u32_e64 v78, v79
	s_xor_b32 s13, exec_lo, s13
; %bb.6811:                             ;   in Loop: Header=BB6_6112 Depth=3
	s_delay_alu instid0(VALU_DEP_2) | instskip(SKIP_2) | instid1(VALU_DEP_2)
	v_cmp_lt_u32_e32 vcc_lo, 0xffffff, v77
	v_sub_nc_u32_e32 v18, v78, v79
	v_cndmask_b32_e64 v78, 0, 1, vcc_lo
	v_add_co_ci_u32_e32 v18, vcc_lo, 0, v18, vcc_lo
	s_delay_alu instid0(VALU_DEP_2)
	v_lshrrev_b32_e32 v77, v78, v77
; %bb.6812:                             ;   in Loop: Header=BB6_6112 Depth=3
	s_and_not1_saveexec_b32 s13, s13
; %bb.6813:                             ;   in Loop: Header=BB6_6112 Depth=3
	s_delay_alu instid0(VALU_DEP_1)
	v_bfe_u32 v18, v77, 23, 1
; %bb.6814:                             ;   in Loop: Header=BB6_6112 Depth=3
	s_or_b32 exec_lo, exec_lo, s13
	v_lshrrev_b32_e32 v77, 20, v77
	s_delay_alu instid0(VALU_DEP_2) | instskip(SKIP_2) | instid1(VALU_DEP_2)
	v_cmp_gt_i32_e32 vcc_lo, 16, v18
	v_lshrrev_b32_e32 v22, 24, v22
	v_min_i32_e32 v78, 15, v18
	v_dual_cndmask_b32 v77, 7, v77 :: v_dual_and_b32 v22, 0x80, v22
	s_delay_alu instid0(VALU_DEP_2) | instskip(NEXT) | instid1(VALU_DEP_2)
	v_lshlrev_b32_e32 v78, 3, v78
	v_or_b32_e32 v18, v18, v77
	s_delay_alu instid0(VALU_DEP_1) | instskip(SKIP_1) | instid1(VALU_DEP_1)
	v_cmp_ne_u32_e32 vcc_lo, 0, v18
	v_and_b32_e32 v79, 7, v77
	v_or3_b32 v22, v78, v22, v79
	s_delay_alu instid0(VALU_DEP_1)
	v_cndmask_b32_e32 v18, 0, v22, vcc_lo
.LBB6_6815:                             ;   in Loop: Header=BB6_6112 Depth=3
	s_or_b32 exec_lo, exec_lo, s17
.LBB6_6816:                             ;   in Loop: Header=BB6_6112 Depth=3
	s_delay_alu instid0(SALU_CYCLE_1) | instskip(SKIP_3) | instid1(VALU_DEP_1)
	s_or_b32 exec_lo, exec_lo, s16
	v_and_b32_e32 v77, 0xff, v23
	s_mov_b32 s13, 0
	s_mov_b32 s17, exec_lo
                                        ; implicit-def: $sgpr16
	v_cmpx_lt_i16_e32 0x7f, v77
	s_xor_b32 s17, exec_lo, s17
	s_cbranch_execnz .LBB6_7486
; %bb.6817:                             ;   in Loop: Header=BB6_6112 Depth=3
	s_or_saveexec_b32 s17, s17
	v_mov_b32_e32 v22, s16
	s_xor_b32 exec_lo, exec_lo, s17
	s_cbranch_execnz .LBB6_7489
.LBB6_6818:                             ;   in Loop: Header=BB6_6112 Depth=3
	s_or_b32 exec_lo, exec_lo, s17
	s_and_saveexec_b32 s16, s13
	s_cbranch_execz .LBB6_6820
.LBB6_6819:                             ;   in Loop: Header=BB6_6112 Depth=3
	v_bfe_u32 v79, v23, 3, 4
	v_lshlrev_b32_e32 v88, 24, v23
	s_delay_alu instid0(VALU_DEP_2) | instskip(SKIP_1) | instid1(VALU_DEP_1)
	v_cmp_eq_u32_e32 vcc_lo, 0, v79
	v_and_b32_e32 v22, 7, v23
	v_clz_i32_u32_e32 v77, v22
	s_delay_alu instid0(VALU_DEP_1) | instskip(NEXT) | instid1(VALU_DEP_1)
	v_min_u32_e32 v77, 32, v77
	v_subrev_nc_u32_e32 v78, 28, v77
	v_sub_nc_u32_e32 v77, 29, v77
	s_delay_alu instid0(VALU_DEP_1) | instskip(NEXT) | instid1(VALU_DEP_1)
	v_dual_cndmask_b32 v77, v79, v77 :: v_dual_lshlrev_b32 v78, v78, v23
	v_and_b32_e32 v78, 7, v78
	s_delay_alu instid0(VALU_DEP_2) | instskip(NEXT) | instid1(VALU_DEP_2)
	v_lshl_add_u32 v77, v77, 23, 0x3b800000
	v_cndmask_b32_e32 v22, v22, v78, vcc_lo
	v_and_b32_e32 v78, 0x80000000, v88
	s_delay_alu instid0(VALU_DEP_2) | instskip(NEXT) | instid1(VALU_DEP_1)
	v_lshlrev_b32_e32 v22, 20, v22
	v_or3_b32 v22, v78, v77, v22
.LBB6_6820:                             ;   in Loop: Header=BB6_6112 Depth=3
	s_or_b32 exec_lo, exec_lo, s16
	v_and_b32_e32 v78, 0xff, v19
	s_mov_b32 s13, 0
	s_mov_b32 s17, exec_lo
                                        ; implicit-def: $sgpr16
	s_delay_alu instid0(VALU_DEP_1)
	v_cmpx_lt_i16_e32 0x7f, v78
	s_xor_b32 s17, exec_lo, s17
	s_cbranch_execnz .LBB6_7490
; %bb.6821:                             ;   in Loop: Header=BB6_6112 Depth=3
	s_or_saveexec_b32 s17, s17
	v_mov_b32_e32 v77, s16
	s_xor_b32 exec_lo, exec_lo, s17
	s_cbranch_execnz .LBB6_7493
.LBB6_6822:                             ;   in Loop: Header=BB6_6112 Depth=3
	s_or_b32 exec_lo, exec_lo, s17
	s_and_saveexec_b32 s16, s13
	s_cbranch_execz .LBB6_6824
.LBB6_6823:                             ;   in Loop: Header=BB6_6112 Depth=3
	v_bfe_u32 v88, v19, 3, 4
	v_lshlrev_b32_e32 v89, 24, v19
	s_delay_alu instid0(VALU_DEP_2) | instskip(SKIP_1) | instid1(VALU_DEP_1)
	v_cmp_eq_u32_e32 vcc_lo, 0, v88
	v_and_b32_e32 v77, 7, v19
	v_clz_i32_u32_e32 v78, v77
	s_delay_alu instid0(VALU_DEP_1) | instskip(NEXT) | instid1(VALU_DEP_1)
	v_min_u32_e32 v78, 32, v78
	v_subrev_nc_u32_e32 v79, 28, v78
	v_sub_nc_u32_e32 v78, 29, v78
	s_delay_alu instid0(VALU_DEP_1) | instskip(NEXT) | instid1(VALU_DEP_1)
	v_dual_cndmask_b32 v78, v88, v78 :: v_dual_lshlrev_b32 v79, v79, v19
	v_and_b32_e32 v79, 7, v79
	s_delay_alu instid0(VALU_DEP_2) | instskip(NEXT) | instid1(VALU_DEP_2)
	v_lshl_add_u32 v78, v78, 23, 0x3b800000
	v_cndmask_b32_e32 v77, v77, v79, vcc_lo
	v_and_b32_e32 v79, 0x80000000, v89
	s_delay_alu instid0(VALU_DEP_2) | instskip(NEXT) | instid1(VALU_DEP_1)
	v_lshlrev_b32_e32 v77, 20, v77
	v_or3_b32 v77, v79, v78, v77
.LBB6_6824:                             ;   in Loop: Header=BB6_6112 Depth=3
	s_or_b32 exec_lo, exec_lo, s16
	s_delay_alu instid0(VALU_DEP_1) | instskip(NEXT) | instid1(VALU_DEP_1)
	v_add_f32_e32 v77, v22, v77
	v_and_b32_e32 v22, 0x7f800000, v77
	s_delay_alu instid0(VALU_DEP_1)
	v_cmp_ne_u32_e32 vcc_lo, 0x7f800000, v22
	v_mov_b32_e32 v22, 0x80
	s_and_saveexec_b32 s16, vcc_lo
	s_cbranch_execz .LBB6_6832
; %bb.6825:                             ;   in Loop: Header=BB6_6112 Depth=3
	v_mov_b32_e32 v22, 0
	s_mov_b32 s17, exec_lo
	v_cmpx_ne_u32_e32 0, v77
	s_cbranch_execz .LBB6_6831
; %bb.6826:                             ;   in Loop: Header=BB6_6112 Depth=3
	v_bfe_u32 v22, v77, 23, 8
	s_delay_alu instid0(VALU_DEP_1) | instskip(SKIP_1) | instid1(VALU_DEP_2)
	v_sub_nc_u32_e32 v79, 0x78, v22
	v_cmp_gt_u32_e32 vcc_lo, 0x79, v22
	v_dual_cndmask_b32 v79, 0, v79 :: v_dual_and_b32 v78, 0x7fffff, v77
	s_delay_alu instid0(VALU_DEP_1) | instskip(SKIP_2) | instid1(VALU_DEP_4)
	v_or_b32_e32 v88, 0x800000, v78
	v_cmp_eq_u32_e32 vcc_lo, 0, v22
	v_add_nc_u32_e32 v22, 0xffffff89, v22
	v_cndmask_b32_e64 v79, v79, 0x77, vcc_lo
	s_delay_alu instid0(VALU_DEP_4) | instskip(NEXT) | instid1(VALU_DEP_3)
	v_cndmask_b32_e32 v78, v88, v78, vcc_lo
	v_cndmask_b32_e64 v22, v22, 0xffffff8a, vcc_lo
	s_delay_alu instid0(VALU_DEP_3) | instskip(NEXT) | instid1(VALU_DEP_3)
	v_lshl_add_u32 v88, 0x100000, v79, -1
	v_lshrrev_b32_e32 v89, v79, v78
	v_lshlrev_b32_e64 v91, v79, 0x80000
	s_delay_alu instid0(VALU_DEP_4) | instskip(NEXT) | instid1(VALU_DEP_4)
	v_add_nc_u32_e32 v79, v79, v22
	v_and_b32_e32 v78, v88, v78
	s_delay_alu instid0(VALU_DEP_4) | instskip(NEXT) | instid1(VALU_DEP_2)
	v_bfe_u32 v90, v89, 20, 1
	v_cmp_eq_u32_e64 s13, v78, v91
	s_delay_alu instid0(VALU_DEP_2) | instskip(NEXT) | instid1(VALU_DEP_1)
	v_add_nc_u32_e32 v88, -1, v90
	v_cndmask_b32_e64 v78, 0, v88, s13
	v_lshrrev_b32_e32 v88, 23, v89
	s_mov_b32 s13, exec_lo
	s_delay_alu instid0(VALU_DEP_2) | instskip(NEXT) | instid1(VALU_DEP_2)
	v_add_nc_u32_e32 v78, v78, v89
	v_xor_b32_e32 v88, 1, v88
	s_delay_alu instid0(VALU_DEP_2) | instskip(NEXT) | instid1(VALU_DEP_1)
	v_and_b32_e32 v22, 0xfffff, v78
	v_add_nc_u32_e32 v78, v22, v89
                                        ; implicit-def: $vgpr22
	s_delay_alu instid0(VALU_DEP_3)
	v_cmpx_ne_u32_e64 v79, v88
	s_xor_b32 s13, exec_lo, s13
; %bb.6827:                             ;   in Loop: Header=BB6_6112 Depth=3
	s_delay_alu instid0(VALU_DEP_2) | instskip(SKIP_2) | instid1(VALU_DEP_2)
	v_cmp_lt_u32_e32 vcc_lo, 0xffffff, v78
	v_sub_nc_u32_e32 v22, v79, v88
	v_cndmask_b32_e64 v79, 0, 1, vcc_lo
	v_add_co_ci_u32_e32 v22, vcc_lo, 0, v22, vcc_lo
	s_delay_alu instid0(VALU_DEP_2)
	v_lshrrev_b32_e32 v78, v79, v78
; %bb.6828:                             ;   in Loop: Header=BB6_6112 Depth=3
	s_and_not1_saveexec_b32 s13, s13
; %bb.6829:                             ;   in Loop: Header=BB6_6112 Depth=3
	s_delay_alu instid0(VALU_DEP_1)
	v_bfe_u32 v22, v78, 23, 1
; %bb.6830:                             ;   in Loop: Header=BB6_6112 Depth=3
	s_or_b32 exec_lo, exec_lo, s13
	v_lshrrev_b32_e32 v78, 20, v78
	s_delay_alu instid0(VALU_DEP_2) | instskip(SKIP_2) | instid1(VALU_DEP_2)
	v_cmp_gt_i32_e32 vcc_lo, 16, v22
	v_lshrrev_b32_e32 v77, 24, v77
	v_min_i32_e32 v79, 15, v22
	v_dual_cndmask_b32 v78, 7, v78 :: v_dual_and_b32 v77, 0x80, v77
	s_delay_alu instid0(VALU_DEP_1) | instskip(SKIP_1) | instid1(VALU_DEP_2)
	v_or_b32_e32 v22, v22, v78
	v_and_b32_e32 v88, 7, v78
	v_cmp_ne_u32_e32 vcc_lo, 0, v22
	v_lshlrev_b32_e32 v79, 3, v79
	s_delay_alu instid0(VALU_DEP_1) | instskip(NEXT) | instid1(VALU_DEP_1)
	v_or3_b32 v77, v79, v77, v88
	v_cndmask_b32_e32 v22, 0, v77, vcc_lo
.LBB6_6831:                             ;   in Loop: Header=BB6_6112 Depth=3
	s_or_b32 exec_lo, exec_lo, s17
.LBB6_6832:                             ;   in Loop: Header=BB6_6112 Depth=3
	s_delay_alu instid0(SALU_CYCLE_1) | instskip(SKIP_3) | instid1(VALU_DEP_1)
	s_or_b32 exec_lo, exec_lo, s16
	v_lshrrev_b16 v78, 8, v23
	s_mov_b32 s13, 0
	s_mov_b32 s17, exec_lo
                                        ; implicit-def: $sgpr16
	v_cmpx_lt_i16_e32 0x7f, v78
	s_xor_b32 s17, exec_lo, s17
	s_cbranch_execnz .LBB6_7494
; %bb.6833:                             ;   in Loop: Header=BB6_6112 Depth=3
	s_or_saveexec_b32 s17, s17
	v_mov_b32_e32 v77, s16
	s_xor_b32 exec_lo, exec_lo, s17
	s_cbranch_execnz .LBB6_7497
.LBB6_6834:                             ;   in Loop: Header=BB6_6112 Depth=3
	s_or_b32 exec_lo, exec_lo, s17
	s_and_saveexec_b32 s16, s13
	s_cbranch_execz .LBB6_6836
.LBB6_6835:                             ;   in Loop: Header=BB6_6112 Depth=3
	v_and_b32_e32 v77, 0xffff, v78
	s_delay_alu instid0(VALU_DEP_1) | instskip(NEXT) | instid1(VALU_DEP_1)
	v_and_b32_e32 v79, 7, v77
	v_clz_i32_u32_e32 v88, v79
	s_delay_alu instid0(VALU_DEP_1) | instskip(NEXT) | instid1(VALU_DEP_1)
	v_min_u32_e32 v88, 32, v88
	v_subrev_nc_u32_e32 v89, 28, v88
	v_sub_nc_u32_e32 v88, 29, v88
	s_delay_alu instid0(VALU_DEP_2) | instskip(SKIP_1) | instid1(VALU_DEP_2)
	v_lshlrev_b32_e32 v89, v89, v77
	v_bfe_u32 v77, v77, 3, 4
	v_and_b32_e32 v89, 7, v89
	s_delay_alu instid0(VALU_DEP_2) | instskip(SKIP_1) | instid1(VALU_DEP_1)
	v_cmp_eq_u32_e32 vcc_lo, 0, v77
	v_dual_cndmask_b32 v77, v77, v88 :: v_dual_lshlrev_b32 v78, 24, v78
	v_dual_cndmask_b32 v79, v79, v89 :: v_dual_and_b32 v78, 0x80000000, v78
	s_delay_alu instid0(VALU_DEP_2) | instskip(NEXT) | instid1(VALU_DEP_2)
	v_lshl_add_u32 v77, v77, 23, 0x3b800000
	v_lshlrev_b32_e32 v79, 20, v79
	s_delay_alu instid0(VALU_DEP_1)
	v_or3_b32 v77, v78, v77, v79
.LBB6_6836:                             ;   in Loop: Header=BB6_6112 Depth=3
	s_or_b32 exec_lo, exec_lo, s16
	v_lshrrev_b16 v78, 8, v19
	s_mov_b32 s13, 0
	s_mov_b32 s17, exec_lo
                                        ; implicit-def: $sgpr16
	s_delay_alu instid0(VALU_DEP_1)
	v_cmpx_lt_i16_e32 0x7f, v78
	s_xor_b32 s17, exec_lo, s17
	s_cbranch_execnz .LBB6_7498
; %bb.6837:                             ;   in Loop: Header=BB6_6112 Depth=3
	s_or_saveexec_b32 s17, s17
	v_mov_b32_e32 v79, s16
	s_xor_b32 exec_lo, exec_lo, s17
	s_cbranch_execnz .LBB6_7501
.LBB6_6838:                             ;   in Loop: Header=BB6_6112 Depth=3
	s_or_b32 exec_lo, exec_lo, s17
	s_and_saveexec_b32 s16, s13
	s_cbranch_execz .LBB6_6840
.LBB6_6839:                             ;   in Loop: Header=BB6_6112 Depth=3
	v_and_b32_e32 v79, 0xffff, v78
	v_lshlrev_b32_e32 v78, 24, v78
	s_delay_alu instid0(VALU_DEP_2) | instskip(NEXT) | instid1(VALU_DEP_2)
	v_and_b32_e32 v88, 7, v79
	v_and_b32_e32 v78, 0x80000000, v78
	s_delay_alu instid0(VALU_DEP_2) | instskip(NEXT) | instid1(VALU_DEP_1)
	v_clz_i32_u32_e32 v89, v88
	v_min_u32_e32 v89, 32, v89
	s_delay_alu instid0(VALU_DEP_1) | instskip(SKIP_1) | instid1(VALU_DEP_2)
	v_subrev_nc_u32_e32 v90, 28, v89
	v_sub_nc_u32_e32 v89, 29, v89
	v_lshlrev_b32_e32 v90, v90, v79
	v_bfe_u32 v79, v79, 3, 4
	s_delay_alu instid0(VALU_DEP_2) | instskip(NEXT) | instid1(VALU_DEP_2)
	v_and_b32_e32 v90, 7, v90
	v_cmp_eq_u32_e32 vcc_lo, 0, v79
	s_delay_alu instid0(VALU_DEP_2) | instskip(NEXT) | instid1(VALU_DEP_1)
	v_dual_cndmask_b32 v79, v79, v89 :: v_dual_cndmask_b32 v88, v88, v90
	v_lshl_add_u32 v79, v79, 23, 0x3b800000
	s_delay_alu instid0(VALU_DEP_2) | instskip(NEXT) | instid1(VALU_DEP_1)
	v_lshlrev_b32_e32 v88, 20, v88
	v_or3_b32 v79, v78, v79, v88
.LBB6_6840:                             ;   in Loop: Header=BB6_6112 Depth=3
	s_or_b32 exec_lo, exec_lo, s16
	s_delay_alu instid0(VALU_DEP_1) | instskip(NEXT) | instid1(VALU_DEP_1)
	v_add_f32_e32 v78, v77, v79
	v_and_b32_e32 v77, 0x7f800000, v78
	s_delay_alu instid0(VALU_DEP_1)
	v_cmp_ne_u32_e32 vcc_lo, 0x7f800000, v77
	v_mov_b32_e32 v77, 0x8000
	s_and_saveexec_b32 s16, vcc_lo
	s_cbranch_execz .LBB6_6848
; %bb.6841:                             ;   in Loop: Header=BB6_6112 Depth=3
	v_mov_b32_e32 v77, 0
	s_mov_b32 s17, exec_lo
	v_cmpx_ne_u32_e32 0, v78
	s_cbranch_execz .LBB6_6847
; %bb.6842:                             ;   in Loop: Header=BB6_6112 Depth=3
	v_bfe_u32 v77, v78, 23, 8
	s_delay_alu instid0(VALU_DEP_1) | instskip(SKIP_1) | instid1(VALU_DEP_2)
	v_sub_nc_u32_e32 v88, 0x78, v77
	v_cmp_gt_u32_e32 vcc_lo, 0x79, v77
	v_dual_cndmask_b32 v88, 0, v88 :: v_dual_and_b32 v79, 0x7fffff, v78
	s_delay_alu instid0(VALU_DEP_1) | instskip(SKIP_2) | instid1(VALU_DEP_4)
	v_or_b32_e32 v89, 0x800000, v79
	v_cmp_eq_u32_e32 vcc_lo, 0, v77
	v_add_nc_u32_e32 v77, 0xffffff89, v77
	v_cndmask_b32_e64 v88, v88, 0x77, vcc_lo
	s_delay_alu instid0(VALU_DEP_2) | instskip(SKIP_1) | instid1(VALU_DEP_3)
	v_cndmask_b32_e64 v77, v77, 0xffffff8a, vcc_lo
	v_cndmask_b32_e32 v79, v89, v79, vcc_lo
	v_lshl_add_u32 v89, 0x100000, v88, -1
	v_lshlrev_b32_e64 v92, v88, 0x80000
	s_delay_alu instid0(VALU_DEP_3) | instskip(SKIP_1) | instid1(VALU_DEP_4)
	v_lshrrev_b32_e32 v90, v88, v79
	v_add_nc_u32_e32 v88, v88, v77
	v_and_b32_e32 v79, v89, v79
	s_delay_alu instid0(VALU_DEP_3) | instskip(NEXT) | instid1(VALU_DEP_2)
	v_bfe_u32 v91, v90, 20, 1
	v_cmp_eq_u32_e64 s13, v79, v92
	s_delay_alu instid0(VALU_DEP_2) | instskip(NEXT) | instid1(VALU_DEP_1)
	v_add_nc_u32_e32 v89, -1, v91
	v_cndmask_b32_e64 v79, 0, v89, s13
	v_lshrrev_b32_e32 v89, 23, v90
	s_mov_b32 s13, exec_lo
	s_delay_alu instid0(VALU_DEP_2) | instskip(NEXT) | instid1(VALU_DEP_2)
	v_add_nc_u32_e32 v79, v79, v90
	v_xor_b32_e32 v89, 1, v89
	s_delay_alu instid0(VALU_DEP_2) | instskip(NEXT) | instid1(VALU_DEP_1)
	v_and_b32_e32 v77, 0xfffff, v79
	v_add_nc_u32_e32 v79, v77, v90
                                        ; implicit-def: $vgpr77
	s_delay_alu instid0(VALU_DEP_3)
	v_cmpx_ne_u32_e64 v88, v89
	s_xor_b32 s13, exec_lo, s13
; %bb.6843:                             ;   in Loop: Header=BB6_6112 Depth=3
	s_delay_alu instid0(VALU_DEP_2) | instskip(SKIP_2) | instid1(VALU_DEP_2)
	v_cmp_lt_u32_e32 vcc_lo, 0xffffff, v79
	v_sub_nc_u32_e32 v77, v88, v89
	v_cndmask_b32_e64 v88, 0, 1, vcc_lo
	v_add_co_ci_u32_e32 v77, vcc_lo, 0, v77, vcc_lo
	s_delay_alu instid0(VALU_DEP_2)
	v_lshrrev_b32_e32 v79, v88, v79
; %bb.6844:                             ;   in Loop: Header=BB6_6112 Depth=3
	s_and_not1_saveexec_b32 s13, s13
; %bb.6845:                             ;   in Loop: Header=BB6_6112 Depth=3
	s_delay_alu instid0(VALU_DEP_1)
	v_bfe_u32 v77, v79, 23, 1
; %bb.6846:                             ;   in Loop: Header=BB6_6112 Depth=3
	s_or_b32 exec_lo, exec_lo, s13
	v_lshrrev_b32_e32 v79, 20, v79
	s_delay_alu instid0(VALU_DEP_2) | instskip(SKIP_2) | instid1(VALU_DEP_2)
	v_cmp_gt_i32_e32 vcc_lo, 16, v77
	v_min_i32_e32 v88, 15, v77
	v_lshrrev_b32_e32 v78, 24, v78
	v_dual_cndmask_b32 v79, 7, v79 :: v_dual_lshlrev_b32 v88, 3, v88
	s_delay_alu instid0(VALU_DEP_2) | instskip(NEXT) | instid1(VALU_DEP_2)
	v_and_b32_e32 v78, 0x80, v78
	v_or_b32_e32 v77, v77, v79
	v_and_b32_e32 v89, 7, v79
	s_delay_alu instid0(VALU_DEP_2) | instskip(SKIP_1) | instid1(VALU_DEP_1)
	v_cmp_ne_u32_e32 vcc_lo, 0, v77
	v_and_b32_e32 v88, 0xf8, v88
	v_or3_b32 v78, v78, v88, v89
	s_delay_alu instid0(VALU_DEP_1) | instskip(NEXT) | instid1(VALU_DEP_1)
	v_lshlrev_b32_e32 v78, 8, v78
	v_cndmask_b32_e32 v77, 0, v78, vcc_lo
.LBB6_6847:                             ;   in Loop: Header=BB6_6112 Depth=3
	s_or_b32 exec_lo, exec_lo, s17
.LBB6_6848:                             ;   in Loop: Header=BB6_6112 Depth=3
	s_delay_alu instid0(SALU_CYCLE_1) | instskip(SKIP_3) | instid1(VALU_DEP_1)
	s_or_b32 exec_lo, exec_lo, s16
	v_lshrrev_b32_e32 v79, 16, v23
	s_mov_b32 s13, 0
	s_mov_b32 s17, exec_lo
                                        ; implicit-def: $sgpr16
	v_and_b32_e32 v88, 0xff, v79
	s_delay_alu instid0(VALU_DEP_1)
	v_cmpx_lt_i16_e32 0x7f, v88
	s_xor_b32 s17, exec_lo, s17
	s_cbranch_execnz .LBB6_7502
; %bb.6849:                             ;   in Loop: Header=BB6_6112 Depth=3
	s_or_saveexec_b32 s17, s17
	v_mov_b32_e32 v78, s16
	s_xor_b32 exec_lo, exec_lo, s17
	s_cbranch_execnz .LBB6_7505
.LBB6_6850:                             ;   in Loop: Header=BB6_6112 Depth=3
	s_or_b32 exec_lo, exec_lo, s17
	s_and_saveexec_b32 s16, s13
	s_cbranch_execz .LBB6_6852
.LBB6_6851:                             ;   in Loop: Header=BB6_6112 Depth=3
	v_bfe_u32 v78, v23, 16, 3
	v_lshlrev_b32_e32 v90, 8, v23
	s_delay_alu instid0(VALU_DEP_2) | instskip(NEXT) | instid1(VALU_DEP_1)
	v_clz_i32_u32_e32 v88, v78
	v_min_u32_e32 v88, 32, v88
	s_delay_alu instid0(VALU_DEP_1) | instskip(SKIP_1) | instid1(VALU_DEP_2)
	v_subrev_nc_u32_e32 v89, 28, v88
	v_sub_nc_u32_e32 v88, 29, v88
	v_lshlrev_b32_e32 v79, v89, v79
	v_bfe_u32 v89, v23, 19, 4
	s_delay_alu instid0(VALU_DEP_1) | instskip(NEXT) | instid1(VALU_DEP_3)
	v_cmp_eq_u32_e32 vcc_lo, 0, v89
	v_dual_cndmask_b32 v88, v89, v88 :: v_dual_and_b32 v79, 7, v79
	s_delay_alu instid0(VALU_DEP_1) | instskip(NEXT) | instid1(VALU_DEP_2)
	v_dual_cndmask_b32 v78, v78, v79 :: v_dual_and_b32 v79, 0x80000000, v90
	v_lshl_add_u32 v88, v88, 23, 0x3b800000
	s_delay_alu instid0(VALU_DEP_2) | instskip(NEXT) | instid1(VALU_DEP_1)
	v_lshlrev_b32_e32 v78, 20, v78
	v_or3_b32 v78, v79, v88, v78
.LBB6_6852:                             ;   in Loop: Header=BB6_6112 Depth=3
	s_or_b32 exec_lo, exec_lo, s16
	v_lshrrev_b32_e32 v79, 16, v19
	s_mov_b32 s13, 0
	s_mov_b32 s17, exec_lo
                                        ; implicit-def: $sgpr16
	s_delay_alu instid0(VALU_DEP_1) | instskip(NEXT) | instid1(VALU_DEP_1)
	v_and_b32_e32 v89, 0xff, v79
	v_cmpx_lt_i16_e32 0x7f, v89
	s_xor_b32 s17, exec_lo, s17
	s_cbranch_execnz .LBB6_7506
; %bb.6853:                             ;   in Loop: Header=BB6_6112 Depth=3
	s_or_saveexec_b32 s17, s17
	v_mov_b32_e32 v88, s16
	s_xor_b32 exec_lo, exec_lo, s17
	s_cbranch_execnz .LBB6_7509
.LBB6_6854:                             ;   in Loop: Header=BB6_6112 Depth=3
	s_or_b32 exec_lo, exec_lo, s17
	s_and_saveexec_b32 s16, s13
	s_cbranch_execz .LBB6_6856
.LBB6_6855:                             ;   in Loop: Header=BB6_6112 Depth=3
	v_bfe_u32 v88, v19, 16, 3
	v_lshlrev_b32_e32 v91, 8, v19
	s_delay_alu instid0(VALU_DEP_2) | instskip(NEXT) | instid1(VALU_DEP_1)
	v_clz_i32_u32_e32 v89, v88
	v_min_u32_e32 v89, 32, v89
	s_delay_alu instid0(VALU_DEP_1) | instskip(SKIP_1) | instid1(VALU_DEP_2)
	v_subrev_nc_u32_e32 v90, 28, v89
	v_sub_nc_u32_e32 v89, 29, v89
	v_lshlrev_b32_e32 v79, v90, v79
	v_bfe_u32 v90, v19, 19, 4
	s_delay_alu instid0(VALU_DEP_2) | instskip(NEXT) | instid1(VALU_DEP_2)
	v_and_b32_e32 v79, 7, v79
	v_cmp_eq_u32_e32 vcc_lo, 0, v90
	v_cndmask_b32_e32 v89, v90, v89, vcc_lo
	s_delay_alu instid0(VALU_DEP_3) | instskip(SKIP_1) | instid1(VALU_DEP_3)
	v_cndmask_b32_e32 v79, v88, v79, vcc_lo
	v_and_b32_e32 v88, 0x80000000, v91
	v_lshl_add_u32 v89, v89, 23, 0x3b800000
	s_delay_alu instid0(VALU_DEP_3) | instskip(NEXT) | instid1(VALU_DEP_1)
	v_lshlrev_b32_e32 v79, 20, v79
	v_or3_b32 v88, v88, v89, v79
.LBB6_6856:                             ;   in Loop: Header=BB6_6112 Depth=3
	s_or_b32 exec_lo, exec_lo, s16
	s_delay_alu instid0(VALU_DEP_1) | instskip(NEXT) | instid1(VALU_DEP_1)
	v_add_f32_e32 v79, v78, v88
	v_and_b32_e32 v78, 0x7f800000, v79
	s_delay_alu instid0(VALU_DEP_1)
	v_cmp_ne_u32_e32 vcc_lo, 0x7f800000, v78
	v_mov_b32_e32 v78, 0x80
	s_and_saveexec_b32 s16, vcc_lo
	s_cbranch_execz .LBB6_6864
; %bb.6857:                             ;   in Loop: Header=BB6_6112 Depth=3
	v_mov_b32_e32 v78, 0
	s_mov_b32 s17, exec_lo
	v_cmpx_ne_u32_e32 0, v79
	s_cbranch_execz .LBB6_6863
; %bb.6858:                             ;   in Loop: Header=BB6_6112 Depth=3
	v_bfe_u32 v78, v79, 23, 8
	s_delay_alu instid0(VALU_DEP_1) | instskip(SKIP_1) | instid1(VALU_DEP_2)
	v_sub_nc_u32_e32 v89, 0x78, v78
	v_cmp_gt_u32_e32 vcc_lo, 0x79, v78
	v_dual_cndmask_b32 v89, 0, v89 :: v_dual_and_b32 v88, 0x7fffff, v79
	s_delay_alu instid0(VALU_DEP_1) | instskip(SKIP_2) | instid1(VALU_DEP_4)
	v_or_b32_e32 v90, 0x800000, v88
	v_cmp_eq_u32_e32 vcc_lo, 0, v78
	v_add_nc_u32_e32 v78, 0xffffff89, v78
	v_cndmask_b32_e64 v89, v89, 0x77, vcc_lo
	s_delay_alu instid0(VALU_DEP_2) | instskip(SKIP_1) | instid1(VALU_DEP_3)
	v_cndmask_b32_e64 v78, v78, 0xffffff8a, vcc_lo
	v_cndmask_b32_e32 v88, v90, v88, vcc_lo
	v_lshl_add_u32 v90, 0x100000, v89, -1
	v_lshlrev_b32_e64 v93, v89, 0x80000
	s_delay_alu instid0(VALU_DEP_3) | instskip(SKIP_1) | instid1(VALU_DEP_4)
	v_lshrrev_b32_e32 v91, v89, v88
	v_add_nc_u32_e32 v89, v89, v78
	v_and_b32_e32 v88, v90, v88
	s_delay_alu instid0(VALU_DEP_3) | instskip(NEXT) | instid1(VALU_DEP_2)
	v_bfe_u32 v92, v91, 20, 1
	v_cmp_eq_u32_e64 s13, v88, v93
	s_delay_alu instid0(VALU_DEP_2) | instskip(NEXT) | instid1(VALU_DEP_1)
	v_add_nc_u32_e32 v90, -1, v92
	v_cndmask_b32_e64 v88, 0, v90, s13
	v_lshrrev_b32_e32 v90, 23, v91
	s_mov_b32 s13, exec_lo
	s_delay_alu instid0(VALU_DEP_2) | instskip(NEXT) | instid1(VALU_DEP_2)
	v_add_nc_u32_e32 v88, v88, v91
	v_xor_b32_e32 v90, 1, v90
	s_delay_alu instid0(VALU_DEP_2) | instskip(NEXT) | instid1(VALU_DEP_1)
	v_and_b32_e32 v78, 0xfffff, v88
	v_add_nc_u32_e32 v88, v78, v91
                                        ; implicit-def: $vgpr78
	s_delay_alu instid0(VALU_DEP_3)
	v_cmpx_ne_u32_e64 v89, v90
	s_xor_b32 s13, exec_lo, s13
; %bb.6859:                             ;   in Loop: Header=BB6_6112 Depth=3
	s_delay_alu instid0(VALU_DEP_2) | instskip(SKIP_2) | instid1(VALU_DEP_2)
	v_cmp_lt_u32_e32 vcc_lo, 0xffffff, v88
	v_sub_nc_u32_e32 v78, v89, v90
	v_cndmask_b32_e64 v89, 0, 1, vcc_lo
	v_add_co_ci_u32_e32 v78, vcc_lo, 0, v78, vcc_lo
	s_delay_alu instid0(VALU_DEP_2)
	v_lshrrev_b32_e32 v88, v89, v88
; %bb.6860:                             ;   in Loop: Header=BB6_6112 Depth=3
	s_and_not1_saveexec_b32 s13, s13
; %bb.6861:                             ;   in Loop: Header=BB6_6112 Depth=3
	s_delay_alu instid0(VALU_DEP_1)
	v_bfe_u32 v78, v88, 23, 1
; %bb.6862:                             ;   in Loop: Header=BB6_6112 Depth=3
	s_or_b32 exec_lo, exec_lo, s13
	v_lshrrev_b32_e32 v88, 20, v88
	s_delay_alu instid0(VALU_DEP_2) | instskip(SKIP_2) | instid1(VALU_DEP_2)
	v_cmp_gt_i32_e32 vcc_lo, 16, v78
	v_min_i32_e32 v89, 15, v78
	v_lshrrev_b32_e32 v79, 24, v79
	v_dual_cndmask_b32 v88, 7, v88 :: v_dual_lshlrev_b32 v89, 3, v89
	s_delay_alu instid0(VALU_DEP_2) | instskip(NEXT) | instid1(VALU_DEP_2)
	v_and_b32_e32 v79, 0x80, v79
	v_or_b32_e32 v78, v78, v88
	v_and_b32_e32 v90, 7, v88
	s_delay_alu instid0(VALU_DEP_2) | instskip(SKIP_1) | instid1(VALU_DEP_1)
	v_cmp_ne_u32_e32 vcc_lo, 0, v78
	v_and_b32_e32 v89, 0xf8, v89
	v_or3_b32 v79, v89, v79, v90
	s_delay_alu instid0(VALU_DEP_1)
	v_cndmask_b32_e32 v78, 0, v79, vcc_lo
.LBB6_6863:                             ;   in Loop: Header=BB6_6112 Depth=3
	s_or_b32 exec_lo, exec_lo, s17
.LBB6_6864:                             ;   in Loop: Header=BB6_6112 Depth=3
	s_delay_alu instid0(SALU_CYCLE_1) | instskip(SKIP_3) | instid1(VALU_DEP_1)
	s_or_b32 exec_lo, exec_lo, s16
	v_lshrrev_b32_e32 v88, 24, v23
	s_mov_b32 s13, 0
	s_mov_b32 s17, exec_lo
                                        ; implicit-def: $sgpr16
	v_cmpx_lt_i16_e32 0x7f, v88
	s_xor_b32 s17, exec_lo, s17
	s_cbranch_execnz .LBB6_7510
; %bb.6865:                             ;   in Loop: Header=BB6_6112 Depth=3
	s_or_saveexec_b32 s17, s17
	v_mov_b32_e32 v79, s16
	s_xor_b32 exec_lo, exec_lo, s17
	s_cbranch_execnz .LBB6_7513
.LBB6_6866:                             ;   in Loop: Header=BB6_6112 Depth=3
	s_or_b32 exec_lo, exec_lo, s17
	s_and_saveexec_b32 s16, s13
	s_cbranch_execz .LBB6_6868
.LBB6_6867:                             ;   in Loop: Header=BB6_6112 Depth=3
	v_bfe_u32 v79, v23, 24, 3
	s_delay_alu instid0(VALU_DEP_1) | instskip(NEXT) | instid1(VALU_DEP_1)
	v_clz_i32_u32_e32 v89, v79
	v_min_u32_e32 v89, 32, v89
	s_delay_alu instid0(VALU_DEP_1) | instskip(SKIP_1) | instid1(VALU_DEP_2)
	v_subrev_nc_u32_e32 v90, 28, v89
	v_sub_nc_u32_e32 v89, 29, v89
	v_lshlrev_b32_e32 v88, v90, v88
	v_bfe_u32 v90, v23, 27, 4
	v_and_b32_e32 v23, 0x80000000, v23
	s_delay_alu instid0(VALU_DEP_2) | instskip(NEXT) | instid1(VALU_DEP_4)
	v_cmp_eq_u32_e32 vcc_lo, 0, v90
	v_dual_cndmask_b32 v89, v90, v89 :: v_dual_and_b32 v88, 7, v88
	s_delay_alu instid0(VALU_DEP_1) | instskip(NEXT) | instid1(VALU_DEP_2)
	v_cndmask_b32_e32 v79, v79, v88, vcc_lo
	v_lshl_add_u32 v88, v89, 23, 0x3b800000
	s_delay_alu instid0(VALU_DEP_2) | instskip(NEXT) | instid1(VALU_DEP_1)
	v_lshlrev_b32_e32 v79, 20, v79
	v_or3_b32 v79, v23, v88, v79
.LBB6_6868:                             ;   in Loop: Header=BB6_6112 Depth=3
	s_or_b32 exec_lo, exec_lo, s16
	v_lshrrev_b32_e32 v23, 24, v19
	s_mov_b32 s13, 0
	s_mov_b32 s17, exec_lo
                                        ; implicit-def: $sgpr16
	s_delay_alu instid0(VALU_DEP_1)
	v_cmpx_lt_i16_e32 0x7f, v23
	s_xor_b32 s17, exec_lo, s17
	s_cbranch_execnz .LBB6_7514
; %bb.6869:                             ;   in Loop: Header=BB6_6112 Depth=3
	s_or_saveexec_b32 s17, s17
	v_mov_b32_e32 v88, s16
	s_xor_b32 exec_lo, exec_lo, s17
	s_cbranch_execnz .LBB6_7517
.LBB6_6870:                             ;   in Loop: Header=BB6_6112 Depth=3
	s_or_b32 exec_lo, exec_lo, s17
	s_and_saveexec_b32 s16, s13
	s_cbranch_execz .LBB6_6872
.LBB6_6871:                             ;   in Loop: Header=BB6_6112 Depth=3
	v_bfe_u32 v88, v19, 24, 3
	s_delay_alu instid0(VALU_DEP_1) | instskip(NEXT) | instid1(VALU_DEP_1)
	v_clz_i32_u32_e32 v89, v88
	v_min_u32_e32 v89, 32, v89
	s_delay_alu instid0(VALU_DEP_1) | instskip(SKIP_1) | instid1(VALU_DEP_2)
	v_subrev_nc_u32_e32 v90, 28, v89
	v_sub_nc_u32_e32 v89, 29, v89
	v_lshlrev_b32_e32 v23, v90, v23
	v_bfe_u32 v90, v19, 27, 4
	v_and_b32_e32 v19, 0x80000000, v19
	s_delay_alu instid0(VALU_DEP_3) | instskip(NEXT) | instid1(VALU_DEP_3)
	v_and_b32_e32 v23, 7, v23
	v_cmp_eq_u32_e32 vcc_lo, 0, v90
	v_cndmask_b32_e32 v89, v90, v89, vcc_lo
	s_delay_alu instid0(VALU_DEP_3) | instskip(NEXT) | instid1(VALU_DEP_2)
	v_cndmask_b32_e32 v23, v88, v23, vcc_lo
	v_lshl_add_u32 v88, v89, 23, 0x3b800000
	s_delay_alu instid0(VALU_DEP_2) | instskip(NEXT) | instid1(VALU_DEP_1)
	v_lshlrev_b32_e32 v23, 20, v23
	v_or3_b32 v88, v19, v88, v23
.LBB6_6872:                             ;   in Loop: Header=BB6_6112 Depth=3
	s_or_b32 exec_lo, exec_lo, s16
	s_delay_alu instid0(VALU_DEP_1) | instskip(NEXT) | instid1(VALU_DEP_1)
	v_add_f32_e32 v23, v79, v88
	v_and_b32_e32 v19, 0x7f800000, v23
	s_delay_alu instid0(VALU_DEP_1)
	v_cmp_ne_u32_e32 vcc_lo, 0x7f800000, v19
	v_mov_b32_e32 v19, 0x8000
	s_and_saveexec_b32 s16, vcc_lo
	s_cbranch_execz .LBB6_6880
; %bb.6873:                             ;   in Loop: Header=BB6_6112 Depth=3
	v_mov_b32_e32 v19, 0
	s_mov_b32 s17, exec_lo
	v_cmpx_ne_u32_e32 0, v23
	s_cbranch_execz .LBB6_6879
; %bb.6874:                             ;   in Loop: Header=BB6_6112 Depth=3
	v_bfe_u32 v19, v23, 23, 8
	s_delay_alu instid0(VALU_DEP_1) | instskip(SKIP_1) | instid1(VALU_DEP_2)
	v_sub_nc_u32_e32 v88, 0x78, v19
	v_cmp_gt_u32_e32 vcc_lo, 0x79, v19
	v_dual_cndmask_b32 v88, 0, v88 :: v_dual_and_b32 v79, 0x7fffff, v23
	s_delay_alu instid0(VALU_DEP_1) | instskip(SKIP_2) | instid1(VALU_DEP_4)
	v_or_b32_e32 v89, 0x800000, v79
	v_cmp_eq_u32_e32 vcc_lo, 0, v19
	v_add_nc_u32_e32 v19, 0xffffff89, v19
	v_cndmask_b32_e64 v88, v88, 0x77, vcc_lo
	s_delay_alu instid0(VALU_DEP_4) | instskip(NEXT) | instid1(VALU_DEP_3)
	v_cndmask_b32_e32 v79, v89, v79, vcc_lo
	v_cndmask_b32_e64 v19, v19, 0xffffff8a, vcc_lo
	s_delay_alu instid0(VALU_DEP_3) | instskip(NEXT) | instid1(VALU_DEP_3)
	v_lshl_add_u32 v89, 0x100000, v88, -1
	v_lshrrev_b32_e32 v90, v88, v79
	v_lshlrev_b32_e64 v92, v88, 0x80000
	s_delay_alu instid0(VALU_DEP_4) | instskip(NEXT) | instid1(VALU_DEP_4)
	v_add_nc_u32_e32 v88, v88, v19
	v_and_b32_e32 v79, v89, v79
	s_delay_alu instid0(VALU_DEP_4) | instskip(NEXT) | instid1(VALU_DEP_2)
	v_bfe_u32 v91, v90, 20, 1
	v_cmp_eq_u32_e64 s13, v79, v92
	s_delay_alu instid0(VALU_DEP_2) | instskip(NEXT) | instid1(VALU_DEP_1)
	v_add_nc_u32_e32 v89, -1, v91
	v_cndmask_b32_e64 v79, 0, v89, s13
	v_lshrrev_b32_e32 v89, 23, v90
	s_mov_b32 s13, exec_lo
	s_delay_alu instid0(VALU_DEP_2) | instskip(NEXT) | instid1(VALU_DEP_2)
	v_add_nc_u32_e32 v79, v79, v90
	v_xor_b32_e32 v89, 1, v89
	s_delay_alu instid0(VALU_DEP_2) | instskip(NEXT) | instid1(VALU_DEP_1)
	v_and_b32_e32 v19, 0xfffff, v79
	v_add_nc_u32_e32 v79, v19, v90
                                        ; implicit-def: $vgpr19
	s_delay_alu instid0(VALU_DEP_3)
	v_cmpx_ne_u32_e64 v88, v89
	s_xor_b32 s13, exec_lo, s13
; %bb.6875:                             ;   in Loop: Header=BB6_6112 Depth=3
	s_delay_alu instid0(VALU_DEP_2) | instskip(SKIP_2) | instid1(VALU_DEP_2)
	v_cmp_lt_u32_e32 vcc_lo, 0xffffff, v79
	v_sub_nc_u32_e32 v19, v88, v89
	v_cndmask_b32_e64 v88, 0, 1, vcc_lo
	v_add_co_ci_u32_e32 v19, vcc_lo, 0, v19, vcc_lo
	s_delay_alu instid0(VALU_DEP_2)
	v_lshrrev_b32_e32 v79, v88, v79
; %bb.6876:                             ;   in Loop: Header=BB6_6112 Depth=3
	s_and_not1_saveexec_b32 s13, s13
; %bb.6877:                             ;   in Loop: Header=BB6_6112 Depth=3
	s_delay_alu instid0(VALU_DEP_1)
	v_bfe_u32 v19, v79, 23, 1
; %bb.6878:                             ;   in Loop: Header=BB6_6112 Depth=3
	s_or_b32 exec_lo, exec_lo, s13
	v_lshrrev_b32_e32 v79, 20, v79
	s_delay_alu instid0(VALU_DEP_2) | instskip(SKIP_2) | instid1(VALU_DEP_2)
	v_cmp_gt_i32_e32 vcc_lo, 16, v19
	v_min_i32_e32 v88, 15, v19
	v_lshrrev_b32_e32 v23, 24, v23
	v_dual_cndmask_b32 v79, 7, v79 :: v_dual_lshlrev_b32 v88, 3, v88
	s_delay_alu instid0(VALU_DEP_2) | instskip(NEXT) | instid1(VALU_DEP_2)
	v_and_b32_e32 v23, 0x80, v23
	v_or_b32_e32 v19, v19, v79
	v_and_b32_e32 v89, 7, v79
	s_delay_alu instid0(VALU_DEP_2) | instskip(SKIP_1) | instid1(VALU_DEP_1)
	v_cmp_ne_u32_e32 vcc_lo, 0, v19
	v_and_b32_e32 v88, 0xf8, v88
	v_or3_b32 v23, v23, v88, v89
	s_delay_alu instid0(VALU_DEP_1) | instskip(NEXT) | instid1(VALU_DEP_1)
	v_lshlrev_b32_e32 v23, 8, v23
	v_cndmask_b32_e32 v19, 0, v23, vcc_lo
.LBB6_6879:                             ;   in Loop: Header=BB6_6112 Depth=3
	s_or_b32 exec_lo, exec_lo, s17
.LBB6_6880:                             ;   in Loop: Header=BB6_6112 Depth=3
	s_delay_alu instid0(SALU_CYCLE_1) | instskip(SKIP_3) | instid1(VALU_DEP_1)
	s_or_b32 exec_lo, exec_lo, s16
	v_and_b32_e32 v79, 0xff, v12
	s_mov_b32 s13, 0
	s_mov_b32 s17, exec_lo
                                        ; implicit-def: $sgpr16
	v_cmpx_lt_i16_e32 0x7f, v79
	s_xor_b32 s17, exec_lo, s17
	s_cbranch_execnz .LBB6_7518
; %bb.6881:                             ;   in Loop: Header=BB6_6112 Depth=3
	s_or_saveexec_b32 s17, s17
	v_mov_b32_e32 v23, s16
	s_xor_b32 exec_lo, exec_lo, s17
	s_cbranch_execnz .LBB6_7521
.LBB6_6882:                             ;   in Loop: Header=BB6_6112 Depth=3
	s_or_b32 exec_lo, exec_lo, s17
	s_and_saveexec_b32 s16, s13
	s_cbranch_execz .LBB6_6884
.LBB6_6883:                             ;   in Loop: Header=BB6_6112 Depth=3
	v_and_b32_e32 v23, 7, v12
	v_bfe_u32 v89, v12, 3, 4
	v_lshlrev_b32_e32 v90, 24, v12
	s_delay_alu instid0(VALU_DEP_3) | instskip(NEXT) | instid1(VALU_DEP_3)
	v_clz_i32_u32_e32 v79, v23
	v_cmp_eq_u32_e32 vcc_lo, 0, v89
	s_delay_alu instid0(VALU_DEP_2) | instskip(NEXT) | instid1(VALU_DEP_1)
	v_min_u32_e32 v79, 32, v79
	v_subrev_nc_u32_e32 v88, 28, v79
	v_sub_nc_u32_e32 v79, 29, v79
	s_delay_alu instid0(VALU_DEP_1) | instskip(NEXT) | instid1(VALU_DEP_1)
	v_dual_cndmask_b32 v79, v89, v79 :: v_dual_lshlrev_b32 v88, v88, v12
	v_and_b32_e32 v88, 7, v88
	s_delay_alu instid0(VALU_DEP_2) | instskip(NEXT) | instid1(VALU_DEP_2)
	v_lshl_add_u32 v79, v79, 23, 0x3b800000
	v_dual_cndmask_b32 v23, v23, v88 :: v_dual_and_b32 v88, 0x80000000, v90
	s_delay_alu instid0(VALU_DEP_1) | instskip(NEXT) | instid1(VALU_DEP_1)
	v_lshlrev_b32_e32 v23, 20, v23
	v_or3_b32 v23, v88, v79, v23
.LBB6_6884:                             ;   in Loop: Header=BB6_6112 Depth=3
	s_or_b32 exec_lo, exec_lo, s16
	s_waitcnt vmcnt(0)
	v_and_b32_e32 v88, 0xff, v8
	s_mov_b32 s13, 0
	s_mov_b32 s17, exec_lo
                                        ; implicit-def: $sgpr16
	s_delay_alu instid0(VALU_DEP_1)
	v_cmpx_lt_i16_e32 0x7f, v88
	s_xor_b32 s17, exec_lo, s17
	s_cbranch_execnz .LBB6_7522
; %bb.6885:                             ;   in Loop: Header=BB6_6112 Depth=3
	s_or_saveexec_b32 s17, s17
	v_mov_b32_e32 v79, s16
	s_xor_b32 exec_lo, exec_lo, s17
	s_cbranch_execnz .LBB6_7525
.LBB6_6886:                             ;   in Loop: Header=BB6_6112 Depth=3
	s_or_b32 exec_lo, exec_lo, s17
	s_and_saveexec_b32 s16, s13
	s_cbranch_execz .LBB6_6888
.LBB6_6887:                             ;   in Loop: Header=BB6_6112 Depth=3
	v_and_b32_e32 v79, 7, v8
	v_bfe_u32 v90, v8, 3, 4
	v_lshlrev_b32_e32 v91, 24, v8
	s_delay_alu instid0(VALU_DEP_3) | instskip(NEXT) | instid1(VALU_DEP_3)
	v_clz_i32_u32_e32 v88, v79
	v_cmp_eq_u32_e32 vcc_lo, 0, v90
	s_delay_alu instid0(VALU_DEP_2) | instskip(NEXT) | instid1(VALU_DEP_1)
	v_min_u32_e32 v88, 32, v88
	v_subrev_nc_u32_e32 v89, 28, v88
	v_sub_nc_u32_e32 v88, 29, v88
	s_delay_alu instid0(VALU_DEP_2) | instskip(NEXT) | instid1(VALU_DEP_1)
	v_lshlrev_b32_e32 v89, v89, v8
	v_dual_cndmask_b32 v88, v90, v88 :: v_dual_and_b32 v89, 7, v89
	s_delay_alu instid0(VALU_DEP_1) | instskip(NEXT) | instid1(VALU_DEP_2)
	v_lshl_add_u32 v88, v88, 23, 0x3b800000
	v_cndmask_b32_e32 v79, v79, v89, vcc_lo
	v_and_b32_e32 v89, 0x80000000, v91
	s_delay_alu instid0(VALU_DEP_2) | instskip(NEXT) | instid1(VALU_DEP_1)
	v_lshlrev_b32_e32 v79, 20, v79
	v_or3_b32 v79, v89, v88, v79
.LBB6_6888:                             ;   in Loop: Header=BB6_6112 Depth=3
	s_or_b32 exec_lo, exec_lo, s16
	s_delay_alu instid0(VALU_DEP_1) | instskip(NEXT) | instid1(VALU_DEP_1)
	v_add_f32_e32 v79, v23, v79
	v_and_b32_e32 v23, 0x7f800000, v79
	s_delay_alu instid0(VALU_DEP_1)
	v_cmp_ne_u32_e32 vcc_lo, 0x7f800000, v23
	v_mov_b32_e32 v23, 0x80
	s_and_saveexec_b32 s16, vcc_lo
	s_cbranch_execz .LBB6_6896
; %bb.6889:                             ;   in Loop: Header=BB6_6112 Depth=3
	v_mov_b32_e32 v23, 0
	s_mov_b32 s17, exec_lo
	v_cmpx_ne_u32_e32 0, v79
	s_cbranch_execz .LBB6_6895
; %bb.6890:                             ;   in Loop: Header=BB6_6112 Depth=3
	v_bfe_u32 v23, v79, 23, 8
	s_delay_alu instid0(VALU_DEP_1) | instskip(SKIP_1) | instid1(VALU_DEP_2)
	v_sub_nc_u32_e32 v89, 0x78, v23
	v_cmp_gt_u32_e32 vcc_lo, 0x79, v23
	v_dual_cndmask_b32 v89, 0, v89 :: v_dual_and_b32 v88, 0x7fffff, v79
	s_delay_alu instid0(VALU_DEP_1) | instskip(SKIP_2) | instid1(VALU_DEP_4)
	v_or_b32_e32 v90, 0x800000, v88
	v_cmp_eq_u32_e32 vcc_lo, 0, v23
	v_add_nc_u32_e32 v23, 0xffffff89, v23
	v_cndmask_b32_e64 v89, v89, 0x77, vcc_lo
	s_delay_alu instid0(VALU_DEP_4) | instskip(NEXT) | instid1(VALU_DEP_3)
	v_cndmask_b32_e32 v88, v90, v88, vcc_lo
	v_cndmask_b32_e64 v23, v23, 0xffffff8a, vcc_lo
	s_delay_alu instid0(VALU_DEP_3) | instskip(NEXT) | instid1(VALU_DEP_3)
	v_lshl_add_u32 v90, 0x100000, v89, -1
	v_lshrrev_b32_e32 v91, v89, v88
	v_lshlrev_b32_e64 v93, v89, 0x80000
	s_delay_alu instid0(VALU_DEP_4) | instskip(NEXT) | instid1(VALU_DEP_4)
	v_add_nc_u32_e32 v89, v89, v23
	v_and_b32_e32 v88, v90, v88
	s_delay_alu instid0(VALU_DEP_4) | instskip(NEXT) | instid1(VALU_DEP_2)
	v_bfe_u32 v92, v91, 20, 1
	v_cmp_eq_u32_e64 s13, v88, v93
	s_delay_alu instid0(VALU_DEP_2) | instskip(NEXT) | instid1(VALU_DEP_1)
	v_add_nc_u32_e32 v90, -1, v92
	v_cndmask_b32_e64 v88, 0, v90, s13
	v_lshrrev_b32_e32 v90, 23, v91
	s_mov_b32 s13, exec_lo
	s_delay_alu instid0(VALU_DEP_2) | instskip(NEXT) | instid1(VALU_DEP_2)
	v_add_nc_u32_e32 v88, v88, v91
	v_xor_b32_e32 v90, 1, v90
	s_delay_alu instid0(VALU_DEP_2) | instskip(NEXT) | instid1(VALU_DEP_1)
	v_and_b32_e32 v23, 0xfffff, v88
	v_add_nc_u32_e32 v88, v23, v91
                                        ; implicit-def: $vgpr23
	s_delay_alu instid0(VALU_DEP_3)
	v_cmpx_ne_u32_e64 v89, v90
	s_xor_b32 s13, exec_lo, s13
; %bb.6891:                             ;   in Loop: Header=BB6_6112 Depth=3
	s_delay_alu instid0(VALU_DEP_2) | instskip(SKIP_2) | instid1(VALU_DEP_2)
	v_cmp_lt_u32_e32 vcc_lo, 0xffffff, v88
	v_sub_nc_u32_e32 v23, v89, v90
	v_cndmask_b32_e64 v89, 0, 1, vcc_lo
	v_add_co_ci_u32_e32 v23, vcc_lo, 0, v23, vcc_lo
	s_delay_alu instid0(VALU_DEP_2)
	v_lshrrev_b32_e32 v88, v89, v88
; %bb.6892:                             ;   in Loop: Header=BB6_6112 Depth=3
	s_and_not1_saveexec_b32 s13, s13
; %bb.6893:                             ;   in Loop: Header=BB6_6112 Depth=3
	s_delay_alu instid0(VALU_DEP_1)
	v_bfe_u32 v23, v88, 23, 1
; %bb.6894:                             ;   in Loop: Header=BB6_6112 Depth=3
	s_or_b32 exec_lo, exec_lo, s13
	v_lshrrev_b32_e32 v88, 20, v88
	s_delay_alu instid0(VALU_DEP_2) | instskip(SKIP_2) | instid1(VALU_DEP_2)
	v_cmp_gt_i32_e32 vcc_lo, 16, v23
	v_lshrrev_b32_e32 v79, 24, v79
	v_min_i32_e32 v89, 15, v23
	v_dual_cndmask_b32 v88, 7, v88 :: v_dual_and_b32 v79, 0x80, v79
	s_delay_alu instid0(VALU_DEP_2) | instskip(NEXT) | instid1(VALU_DEP_2)
	v_lshlrev_b32_e32 v89, 3, v89
	v_or_b32_e32 v23, v23, v88
	s_delay_alu instid0(VALU_DEP_1) | instskip(SKIP_1) | instid1(VALU_DEP_1)
	v_cmp_ne_u32_e32 vcc_lo, 0, v23
	v_and_b32_e32 v90, 7, v88
	v_or3_b32 v79, v89, v79, v90
	s_delay_alu instid0(VALU_DEP_1)
	v_cndmask_b32_e32 v23, 0, v79, vcc_lo
.LBB6_6895:                             ;   in Loop: Header=BB6_6112 Depth=3
	s_or_b32 exec_lo, exec_lo, s17
.LBB6_6896:                             ;   in Loop: Header=BB6_6112 Depth=3
	s_delay_alu instid0(SALU_CYCLE_1) | instskip(SKIP_3) | instid1(VALU_DEP_1)
	s_or_b32 exec_lo, exec_lo, s16
	v_lshrrev_b16 v88, 8, v12
	s_mov_b32 s13, 0
	s_mov_b32 s17, exec_lo
                                        ; implicit-def: $sgpr16
	v_cmpx_lt_i16_e32 0x7f, v88
	s_xor_b32 s17, exec_lo, s17
	s_cbranch_execnz .LBB6_7526
; %bb.6897:                             ;   in Loop: Header=BB6_6112 Depth=3
	s_or_saveexec_b32 s17, s17
	v_mov_b32_e32 v79, s16
	s_xor_b32 exec_lo, exec_lo, s17
	s_cbranch_execnz .LBB6_7529
.LBB6_6898:                             ;   in Loop: Header=BB6_6112 Depth=3
	s_or_b32 exec_lo, exec_lo, s17
	s_and_saveexec_b32 s16, s13
	s_cbranch_execz .LBB6_6900
.LBB6_6899:                             ;   in Loop: Header=BB6_6112 Depth=3
	v_and_b32_e32 v79, 0xffff, v88
	s_delay_alu instid0(VALU_DEP_1) | instskip(NEXT) | instid1(VALU_DEP_1)
	v_and_b32_e32 v89, 7, v79
	v_clz_i32_u32_e32 v90, v89
	s_delay_alu instid0(VALU_DEP_1) | instskip(NEXT) | instid1(VALU_DEP_1)
	v_min_u32_e32 v90, 32, v90
	v_subrev_nc_u32_e32 v91, 28, v90
	v_sub_nc_u32_e32 v90, 29, v90
	s_delay_alu instid0(VALU_DEP_2) | instskip(SKIP_1) | instid1(VALU_DEP_2)
	v_lshlrev_b32_e32 v91, v91, v79
	v_bfe_u32 v79, v79, 3, 4
	v_and_b32_e32 v91, 7, v91
	s_delay_alu instid0(VALU_DEP_2) | instskip(SKIP_1) | instid1(VALU_DEP_1)
	v_cmp_eq_u32_e32 vcc_lo, 0, v79
	v_dual_cndmask_b32 v79, v79, v90 :: v_dual_lshlrev_b32 v88, 24, v88
	v_dual_cndmask_b32 v89, v89, v91 :: v_dual_and_b32 v88, 0x80000000, v88
	s_delay_alu instid0(VALU_DEP_2) | instskip(NEXT) | instid1(VALU_DEP_2)
	v_lshl_add_u32 v79, v79, 23, 0x3b800000
	v_lshlrev_b32_e32 v89, 20, v89
	s_delay_alu instid0(VALU_DEP_1)
	v_or3_b32 v79, v88, v79, v89
.LBB6_6900:                             ;   in Loop: Header=BB6_6112 Depth=3
	s_or_b32 exec_lo, exec_lo, s16
	v_lshrrev_b16 v88, 8, v8
	s_mov_b32 s13, 0
	s_mov_b32 s17, exec_lo
                                        ; implicit-def: $sgpr16
	s_delay_alu instid0(VALU_DEP_1)
	v_cmpx_lt_i16_e32 0x7f, v88
	s_xor_b32 s17, exec_lo, s17
	s_cbranch_execnz .LBB6_7530
; %bb.6901:                             ;   in Loop: Header=BB6_6112 Depth=3
	s_or_saveexec_b32 s17, s17
	v_mov_b32_e32 v89, s16
	s_xor_b32 exec_lo, exec_lo, s17
	s_cbranch_execnz .LBB6_7533
.LBB6_6902:                             ;   in Loop: Header=BB6_6112 Depth=3
	s_or_b32 exec_lo, exec_lo, s17
	s_and_saveexec_b32 s16, s13
	s_cbranch_execz .LBB6_6904
.LBB6_6903:                             ;   in Loop: Header=BB6_6112 Depth=3
	v_and_b32_e32 v89, 0xffff, v88
	v_lshlrev_b32_e32 v88, 24, v88
	s_delay_alu instid0(VALU_DEP_2) | instskip(NEXT) | instid1(VALU_DEP_2)
	v_and_b32_e32 v90, 7, v89
	v_and_b32_e32 v88, 0x80000000, v88
	s_delay_alu instid0(VALU_DEP_2) | instskip(NEXT) | instid1(VALU_DEP_1)
	v_clz_i32_u32_e32 v91, v90
	v_min_u32_e32 v91, 32, v91
	s_delay_alu instid0(VALU_DEP_1) | instskip(SKIP_1) | instid1(VALU_DEP_2)
	v_subrev_nc_u32_e32 v92, 28, v91
	v_sub_nc_u32_e32 v91, 29, v91
	v_lshlrev_b32_e32 v92, v92, v89
	v_bfe_u32 v89, v89, 3, 4
	s_delay_alu instid0(VALU_DEP_2) | instskip(NEXT) | instid1(VALU_DEP_2)
	v_and_b32_e32 v92, 7, v92
	v_cmp_eq_u32_e32 vcc_lo, 0, v89
	s_delay_alu instid0(VALU_DEP_2) | instskip(NEXT) | instid1(VALU_DEP_1)
	v_dual_cndmask_b32 v89, v89, v91 :: v_dual_cndmask_b32 v90, v90, v92
	v_lshl_add_u32 v89, v89, 23, 0x3b800000
	s_delay_alu instid0(VALU_DEP_2) | instskip(NEXT) | instid1(VALU_DEP_1)
	v_lshlrev_b32_e32 v90, 20, v90
	v_or3_b32 v89, v88, v89, v90
.LBB6_6904:                             ;   in Loop: Header=BB6_6112 Depth=3
	s_or_b32 exec_lo, exec_lo, s16
	s_delay_alu instid0(VALU_DEP_1) | instskip(NEXT) | instid1(VALU_DEP_1)
	v_add_f32_e32 v88, v79, v89
	v_and_b32_e32 v79, 0x7f800000, v88
	s_delay_alu instid0(VALU_DEP_1)
	v_cmp_ne_u32_e32 vcc_lo, 0x7f800000, v79
	v_mov_b32_e32 v79, 0x80
	s_and_saveexec_b32 s16, vcc_lo
	s_cbranch_execz .LBB6_6912
; %bb.6905:                             ;   in Loop: Header=BB6_6112 Depth=3
	v_mov_b32_e32 v79, 0
	s_mov_b32 s17, exec_lo
	v_cmpx_ne_u32_e32 0, v88
	s_cbranch_execz .LBB6_6911
; %bb.6906:                             ;   in Loop: Header=BB6_6112 Depth=3
	v_bfe_u32 v79, v88, 23, 8
	s_delay_alu instid0(VALU_DEP_1) | instskip(SKIP_1) | instid1(VALU_DEP_2)
	v_sub_nc_u32_e32 v90, 0x78, v79
	v_cmp_gt_u32_e32 vcc_lo, 0x79, v79
	v_dual_cndmask_b32 v90, 0, v90 :: v_dual_and_b32 v89, 0x7fffff, v88
	s_delay_alu instid0(VALU_DEP_1) | instskip(SKIP_2) | instid1(VALU_DEP_4)
	v_or_b32_e32 v91, 0x800000, v89
	v_cmp_eq_u32_e32 vcc_lo, 0, v79
	v_add_nc_u32_e32 v79, 0xffffff89, v79
	v_cndmask_b32_e64 v90, v90, 0x77, vcc_lo
	s_delay_alu instid0(VALU_DEP_2) | instskip(SKIP_1) | instid1(VALU_DEP_3)
	v_cndmask_b32_e64 v79, v79, 0xffffff8a, vcc_lo
	v_cndmask_b32_e32 v89, v91, v89, vcc_lo
	v_lshl_add_u32 v91, 0x100000, v90, -1
	v_lshlrev_b32_e64 v94, v90, 0x80000
	s_delay_alu instid0(VALU_DEP_3) | instskip(SKIP_1) | instid1(VALU_DEP_4)
	v_lshrrev_b32_e32 v92, v90, v89
	v_add_nc_u32_e32 v90, v90, v79
	v_and_b32_e32 v89, v91, v89
	s_delay_alu instid0(VALU_DEP_3) | instskip(NEXT) | instid1(VALU_DEP_2)
	v_bfe_u32 v93, v92, 20, 1
	v_cmp_eq_u32_e64 s13, v89, v94
	s_delay_alu instid0(VALU_DEP_2) | instskip(NEXT) | instid1(VALU_DEP_1)
	v_add_nc_u32_e32 v91, -1, v93
	v_cndmask_b32_e64 v89, 0, v91, s13
	v_lshrrev_b32_e32 v91, 23, v92
	s_mov_b32 s13, exec_lo
	s_delay_alu instid0(VALU_DEP_2) | instskip(NEXT) | instid1(VALU_DEP_2)
	v_add_nc_u32_e32 v89, v89, v92
	v_xor_b32_e32 v91, 1, v91
	s_delay_alu instid0(VALU_DEP_2) | instskip(NEXT) | instid1(VALU_DEP_1)
	v_and_b32_e32 v79, 0xfffff, v89
	v_add_nc_u32_e32 v89, v79, v92
                                        ; implicit-def: $vgpr79
	s_delay_alu instid0(VALU_DEP_3)
	v_cmpx_ne_u32_e64 v90, v91
	s_xor_b32 s13, exec_lo, s13
; %bb.6907:                             ;   in Loop: Header=BB6_6112 Depth=3
	s_delay_alu instid0(VALU_DEP_2) | instskip(SKIP_2) | instid1(VALU_DEP_2)
	v_cmp_lt_u32_e32 vcc_lo, 0xffffff, v89
	v_sub_nc_u32_e32 v79, v90, v91
	v_cndmask_b32_e64 v90, 0, 1, vcc_lo
	v_add_co_ci_u32_e32 v79, vcc_lo, 0, v79, vcc_lo
	s_delay_alu instid0(VALU_DEP_2)
	v_lshrrev_b32_e32 v89, v90, v89
; %bb.6908:                             ;   in Loop: Header=BB6_6112 Depth=3
	s_and_not1_saveexec_b32 s13, s13
; %bb.6909:                             ;   in Loop: Header=BB6_6112 Depth=3
	s_delay_alu instid0(VALU_DEP_1)
	v_bfe_u32 v79, v89, 23, 1
; %bb.6910:                             ;   in Loop: Header=BB6_6112 Depth=3
	s_or_b32 exec_lo, exec_lo, s13
	v_lshrrev_b32_e32 v89, 20, v89
	s_delay_alu instid0(VALU_DEP_2) | instskip(SKIP_2) | instid1(VALU_DEP_2)
	v_cmp_gt_i32_e32 vcc_lo, 16, v79
	v_lshrrev_b32_e32 v88, 24, v88
	v_min_i32_e32 v90, 15, v79
	v_dual_cndmask_b32 v89, 7, v89 :: v_dual_and_b32 v88, 0x80, v88
	s_delay_alu instid0(VALU_DEP_1) | instskip(SKIP_1) | instid1(VALU_DEP_2)
	v_or_b32_e32 v79, v79, v89
	v_and_b32_e32 v91, 7, v89
	v_cmp_ne_u32_e32 vcc_lo, 0, v79
	v_lshlrev_b32_e32 v90, 3, v90
	s_delay_alu instid0(VALU_DEP_1) | instskip(NEXT) | instid1(VALU_DEP_1)
	v_or3_b32 v88, v90, v88, v91
	v_cndmask_b32_e32 v79, 0, v88, vcc_lo
.LBB6_6911:                             ;   in Loop: Header=BB6_6112 Depth=3
	s_or_b32 exec_lo, exec_lo, s17
.LBB6_6912:                             ;   in Loop: Header=BB6_6112 Depth=3
	s_delay_alu instid0(SALU_CYCLE_1) | instskip(SKIP_3) | instid1(VALU_DEP_1)
	s_or_b32 exec_lo, exec_lo, s16
	v_lshrrev_b32_e32 v89, 16, v12
	s_mov_b32 s13, 0
	s_mov_b32 s17, exec_lo
                                        ; implicit-def: $sgpr16
	v_and_b32_e32 v90, 0xff, v89
	s_delay_alu instid0(VALU_DEP_1)
	v_cmpx_lt_i16_e32 0x7f, v90
	s_xor_b32 s17, exec_lo, s17
	s_cbranch_execnz .LBB6_7534
; %bb.6913:                             ;   in Loop: Header=BB6_6112 Depth=3
	s_or_saveexec_b32 s17, s17
	v_mov_b32_e32 v88, s16
	s_xor_b32 exec_lo, exec_lo, s17
	s_cbranch_execnz .LBB6_7537
.LBB6_6914:                             ;   in Loop: Header=BB6_6112 Depth=3
	s_or_b32 exec_lo, exec_lo, s17
	s_and_saveexec_b32 s16, s13
	s_cbranch_execz .LBB6_6916
.LBB6_6915:                             ;   in Loop: Header=BB6_6112 Depth=3
	v_bfe_u32 v88, v12, 16, 3
	v_lshlrev_b32_e32 v92, 8, v12
	s_delay_alu instid0(VALU_DEP_2) | instskip(NEXT) | instid1(VALU_DEP_1)
	v_clz_i32_u32_e32 v90, v88
	v_min_u32_e32 v90, 32, v90
	s_delay_alu instid0(VALU_DEP_1) | instskip(SKIP_1) | instid1(VALU_DEP_2)
	v_subrev_nc_u32_e32 v91, 28, v90
	v_sub_nc_u32_e32 v90, 29, v90
	v_lshlrev_b32_e32 v89, v91, v89
	v_bfe_u32 v91, v12, 19, 4
	s_delay_alu instid0(VALU_DEP_1) | instskip(NEXT) | instid1(VALU_DEP_3)
	v_cmp_eq_u32_e32 vcc_lo, 0, v91
	v_dual_cndmask_b32 v90, v91, v90 :: v_dual_and_b32 v89, 7, v89
	s_delay_alu instid0(VALU_DEP_1) | instskip(NEXT) | instid1(VALU_DEP_2)
	v_dual_cndmask_b32 v88, v88, v89 :: v_dual_and_b32 v89, 0x80000000, v92
	v_lshl_add_u32 v90, v90, 23, 0x3b800000
	s_delay_alu instid0(VALU_DEP_2) | instskip(NEXT) | instid1(VALU_DEP_1)
	v_lshlrev_b32_e32 v88, 20, v88
	v_or3_b32 v88, v89, v90, v88
.LBB6_6916:                             ;   in Loop: Header=BB6_6112 Depth=3
	s_or_b32 exec_lo, exec_lo, s16
	v_lshrrev_b32_e32 v89, 16, v8
	s_mov_b32 s13, 0
	s_mov_b32 s17, exec_lo
                                        ; implicit-def: $sgpr16
	s_delay_alu instid0(VALU_DEP_1) | instskip(NEXT) | instid1(VALU_DEP_1)
	v_and_b32_e32 v91, 0xff, v89
	v_cmpx_lt_i16_e32 0x7f, v91
	s_xor_b32 s17, exec_lo, s17
	s_cbranch_execnz .LBB6_7538
; %bb.6917:                             ;   in Loop: Header=BB6_6112 Depth=3
	s_or_saveexec_b32 s17, s17
	v_mov_b32_e32 v90, s16
	s_xor_b32 exec_lo, exec_lo, s17
	s_cbranch_execnz .LBB6_7541
.LBB6_6918:                             ;   in Loop: Header=BB6_6112 Depth=3
	s_or_b32 exec_lo, exec_lo, s17
	s_and_saveexec_b32 s16, s13
	s_cbranch_execz .LBB6_6920
.LBB6_6919:                             ;   in Loop: Header=BB6_6112 Depth=3
	v_bfe_u32 v90, v8, 16, 3
	v_lshlrev_b32_e32 v93, 8, v8
	s_delay_alu instid0(VALU_DEP_2) | instskip(NEXT) | instid1(VALU_DEP_1)
	v_clz_i32_u32_e32 v91, v90
	v_min_u32_e32 v91, 32, v91
	s_delay_alu instid0(VALU_DEP_1) | instskip(SKIP_1) | instid1(VALU_DEP_2)
	v_subrev_nc_u32_e32 v92, 28, v91
	v_sub_nc_u32_e32 v91, 29, v91
	v_lshlrev_b32_e32 v89, v92, v89
	v_bfe_u32 v92, v8, 19, 4
	s_delay_alu instid0(VALU_DEP_2) | instskip(NEXT) | instid1(VALU_DEP_2)
	v_and_b32_e32 v89, 7, v89
	v_cmp_eq_u32_e32 vcc_lo, 0, v92
	v_cndmask_b32_e32 v91, v92, v91, vcc_lo
	s_delay_alu instid0(VALU_DEP_3) | instskip(SKIP_1) | instid1(VALU_DEP_3)
	v_cndmask_b32_e32 v89, v90, v89, vcc_lo
	v_and_b32_e32 v90, 0x80000000, v93
	v_lshl_add_u32 v91, v91, 23, 0x3b800000
	s_delay_alu instid0(VALU_DEP_3) | instskip(NEXT) | instid1(VALU_DEP_1)
	v_lshlrev_b32_e32 v89, 20, v89
	v_or3_b32 v90, v90, v91, v89
.LBB6_6920:                             ;   in Loop: Header=BB6_6112 Depth=3
	s_or_b32 exec_lo, exec_lo, s16
	s_delay_alu instid0(VALU_DEP_1) | instskip(NEXT) | instid1(VALU_DEP_1)
	v_add_f32_e32 v89, v88, v90
	v_and_b32_e32 v88, 0x7f800000, v89
	s_delay_alu instid0(VALU_DEP_1)
	v_cmp_ne_u32_e32 vcc_lo, 0x7f800000, v88
	v_mov_b32_e32 v88, 0x80
	s_and_saveexec_b32 s16, vcc_lo
	s_cbranch_execz .LBB6_6928
; %bb.6921:                             ;   in Loop: Header=BB6_6112 Depth=3
	v_mov_b32_e32 v88, 0
	s_mov_b32 s17, exec_lo
	v_cmpx_ne_u32_e32 0, v89
	s_cbranch_execz .LBB6_6927
; %bb.6922:                             ;   in Loop: Header=BB6_6112 Depth=3
	v_bfe_u32 v88, v89, 23, 8
	s_delay_alu instid0(VALU_DEP_1) | instskip(SKIP_1) | instid1(VALU_DEP_2)
	v_sub_nc_u32_e32 v91, 0x78, v88
	v_cmp_gt_u32_e32 vcc_lo, 0x79, v88
	v_dual_cndmask_b32 v91, 0, v91 :: v_dual_and_b32 v90, 0x7fffff, v89
	s_delay_alu instid0(VALU_DEP_1) | instskip(SKIP_2) | instid1(VALU_DEP_4)
	v_or_b32_e32 v92, 0x800000, v90
	v_cmp_eq_u32_e32 vcc_lo, 0, v88
	v_add_nc_u32_e32 v88, 0xffffff89, v88
	v_cndmask_b32_e64 v91, v91, 0x77, vcc_lo
	s_delay_alu instid0(VALU_DEP_2) | instskip(SKIP_1) | instid1(VALU_DEP_3)
	v_cndmask_b32_e64 v88, v88, 0xffffff8a, vcc_lo
	v_cndmask_b32_e32 v90, v92, v90, vcc_lo
	v_lshl_add_u32 v92, 0x100000, v91, -1
	v_lshlrev_b32_e64 v95, v91, 0x80000
	s_delay_alu instid0(VALU_DEP_3) | instskip(SKIP_1) | instid1(VALU_DEP_4)
	v_lshrrev_b32_e32 v93, v91, v90
	v_add_nc_u32_e32 v91, v91, v88
	v_and_b32_e32 v90, v92, v90
	s_delay_alu instid0(VALU_DEP_3) | instskip(NEXT) | instid1(VALU_DEP_2)
	v_bfe_u32 v94, v93, 20, 1
	v_cmp_eq_u32_e64 s13, v90, v95
	s_delay_alu instid0(VALU_DEP_2) | instskip(NEXT) | instid1(VALU_DEP_1)
	v_add_nc_u32_e32 v92, -1, v94
	v_cndmask_b32_e64 v90, 0, v92, s13
	v_lshrrev_b32_e32 v92, 23, v93
	s_mov_b32 s13, exec_lo
	s_delay_alu instid0(VALU_DEP_2) | instskip(NEXT) | instid1(VALU_DEP_2)
	v_add_nc_u32_e32 v90, v90, v93
	v_xor_b32_e32 v92, 1, v92
	s_delay_alu instid0(VALU_DEP_2) | instskip(NEXT) | instid1(VALU_DEP_1)
	v_and_b32_e32 v88, 0xfffff, v90
	v_add_nc_u32_e32 v90, v88, v93
                                        ; implicit-def: $vgpr88
	s_delay_alu instid0(VALU_DEP_3)
	v_cmpx_ne_u32_e64 v91, v92
	s_xor_b32 s13, exec_lo, s13
; %bb.6923:                             ;   in Loop: Header=BB6_6112 Depth=3
	s_delay_alu instid0(VALU_DEP_2) | instskip(SKIP_2) | instid1(VALU_DEP_2)
	v_cmp_lt_u32_e32 vcc_lo, 0xffffff, v90
	v_sub_nc_u32_e32 v88, v91, v92
	v_cndmask_b32_e64 v91, 0, 1, vcc_lo
	v_add_co_ci_u32_e32 v88, vcc_lo, 0, v88, vcc_lo
	s_delay_alu instid0(VALU_DEP_2)
	v_lshrrev_b32_e32 v90, v91, v90
; %bb.6924:                             ;   in Loop: Header=BB6_6112 Depth=3
	s_and_not1_saveexec_b32 s13, s13
; %bb.6925:                             ;   in Loop: Header=BB6_6112 Depth=3
	s_delay_alu instid0(VALU_DEP_1)
	v_bfe_u32 v88, v90, 23, 1
; %bb.6926:                             ;   in Loop: Header=BB6_6112 Depth=3
	s_or_b32 exec_lo, exec_lo, s13
	v_lshrrev_b32_e32 v90, 20, v90
	s_delay_alu instid0(VALU_DEP_2) | instskip(SKIP_2) | instid1(VALU_DEP_2)
	v_cmp_gt_i32_e32 vcc_lo, 16, v88
	v_lshrrev_b32_e32 v89, 24, v89
	v_min_i32_e32 v91, 15, v88
	v_dual_cndmask_b32 v90, 7, v90 :: v_dual_and_b32 v89, 0x80, v89
	s_delay_alu instid0(VALU_DEP_1) | instskip(SKIP_1) | instid1(VALU_DEP_2)
	v_or_b32_e32 v88, v88, v90
	v_and_b32_e32 v92, 7, v90
	v_cmp_ne_u32_e32 vcc_lo, 0, v88
	v_lshlrev_b32_e32 v91, 3, v91
	s_delay_alu instid0(VALU_DEP_1) | instskip(NEXT) | instid1(VALU_DEP_1)
	v_or3_b32 v89, v91, v89, v92
	v_cndmask_b32_e32 v88, 0, v89, vcc_lo
.LBB6_6927:                             ;   in Loop: Header=BB6_6112 Depth=3
	s_or_b32 exec_lo, exec_lo, s17
.LBB6_6928:                             ;   in Loop: Header=BB6_6112 Depth=3
	s_delay_alu instid0(SALU_CYCLE_1) | instskip(SKIP_3) | instid1(VALU_DEP_1)
	s_or_b32 exec_lo, exec_lo, s16
	v_lshrrev_b32_e32 v90, 24, v12
	s_mov_b32 s13, 0
	s_mov_b32 s17, exec_lo
                                        ; implicit-def: $sgpr16
	v_cmpx_lt_i16_e32 0x7f, v90
	s_xor_b32 s17, exec_lo, s17
	s_cbranch_execnz .LBB6_7542
; %bb.6929:                             ;   in Loop: Header=BB6_6112 Depth=3
	s_or_saveexec_b32 s17, s17
	v_mov_b32_e32 v89, s16
	s_xor_b32 exec_lo, exec_lo, s17
	s_cbranch_execnz .LBB6_7545
.LBB6_6930:                             ;   in Loop: Header=BB6_6112 Depth=3
	s_or_b32 exec_lo, exec_lo, s17
	s_and_saveexec_b32 s16, s13
	s_cbranch_execz .LBB6_6932
.LBB6_6931:                             ;   in Loop: Header=BB6_6112 Depth=3
	v_bfe_u32 v89, v12, 24, 3
	s_delay_alu instid0(VALU_DEP_1) | instskip(NEXT) | instid1(VALU_DEP_1)
	v_clz_i32_u32_e32 v91, v89
	v_min_u32_e32 v91, 32, v91
	s_delay_alu instid0(VALU_DEP_1) | instskip(SKIP_1) | instid1(VALU_DEP_2)
	v_subrev_nc_u32_e32 v92, 28, v91
	v_sub_nc_u32_e32 v91, 29, v91
	v_lshlrev_b32_e32 v90, v92, v90
	v_bfe_u32 v92, v12, 27, 4
	v_and_b32_e32 v12, 0x80000000, v12
	s_delay_alu instid0(VALU_DEP_2) | instskip(NEXT) | instid1(VALU_DEP_4)
	v_cmp_eq_u32_e32 vcc_lo, 0, v92
	v_dual_cndmask_b32 v91, v92, v91 :: v_dual_and_b32 v90, 7, v90
	s_delay_alu instid0(VALU_DEP_1) | instskip(NEXT) | instid1(VALU_DEP_2)
	v_cndmask_b32_e32 v89, v89, v90, vcc_lo
	v_lshl_add_u32 v90, v91, 23, 0x3b800000
	s_delay_alu instid0(VALU_DEP_2) | instskip(NEXT) | instid1(VALU_DEP_1)
	v_lshlrev_b32_e32 v89, 20, v89
	v_or3_b32 v89, v12, v90, v89
.LBB6_6932:                             ;   in Loop: Header=BB6_6112 Depth=3
	s_or_b32 exec_lo, exec_lo, s16
	v_lshrrev_b32_e32 v12, 24, v8
	s_mov_b32 s13, 0
	s_mov_b32 s17, exec_lo
                                        ; implicit-def: $sgpr16
	s_delay_alu instid0(VALU_DEP_1)
	v_cmpx_lt_i16_e32 0x7f, v12
	s_xor_b32 s17, exec_lo, s17
	s_cbranch_execnz .LBB6_7546
; %bb.6933:                             ;   in Loop: Header=BB6_6112 Depth=3
	s_or_saveexec_b32 s17, s17
	v_mov_b32_e32 v90, s16
	s_xor_b32 exec_lo, exec_lo, s17
	s_cbranch_execnz .LBB6_7549
.LBB6_6934:                             ;   in Loop: Header=BB6_6112 Depth=3
	s_or_b32 exec_lo, exec_lo, s17
	s_and_saveexec_b32 s16, s13
	s_cbranch_execz .LBB6_6936
.LBB6_6935:                             ;   in Loop: Header=BB6_6112 Depth=3
	v_bfe_u32 v90, v8, 24, 3
	s_delay_alu instid0(VALU_DEP_1) | instskip(NEXT) | instid1(VALU_DEP_1)
	v_clz_i32_u32_e32 v91, v90
	v_min_u32_e32 v91, 32, v91
	s_delay_alu instid0(VALU_DEP_1) | instskip(SKIP_1) | instid1(VALU_DEP_2)
	v_subrev_nc_u32_e32 v92, 28, v91
	v_sub_nc_u32_e32 v91, 29, v91
	v_lshlrev_b32_e32 v12, v92, v12
	v_bfe_u32 v92, v8, 27, 4
	v_and_b32_e32 v8, 0x80000000, v8
	s_delay_alu instid0(VALU_DEP_2) | instskip(NEXT) | instid1(VALU_DEP_4)
	v_cmp_eq_u32_e32 vcc_lo, 0, v92
	v_dual_cndmask_b32 v91, v92, v91 :: v_dual_and_b32 v12, 7, v12
	s_delay_alu instid0(VALU_DEP_1) | instskip(NEXT) | instid1(VALU_DEP_2)
	v_cndmask_b32_e32 v12, v90, v12, vcc_lo
	v_lshl_add_u32 v90, v91, 23, 0x3b800000
	s_delay_alu instid0(VALU_DEP_2) | instskip(NEXT) | instid1(VALU_DEP_1)
	v_lshlrev_b32_e32 v12, 20, v12
	v_or3_b32 v90, v8, v90, v12
.LBB6_6936:                             ;   in Loop: Header=BB6_6112 Depth=3
	s_or_b32 exec_lo, exec_lo, s16
	s_delay_alu instid0(VALU_DEP_1) | instskip(NEXT) | instid1(VALU_DEP_1)
	v_add_f32_e32 v12, v89, v90
	v_and_b32_e32 v8, 0x7f800000, v12
	s_delay_alu instid0(VALU_DEP_1)
	v_cmp_ne_u32_e32 vcc_lo, 0x7f800000, v8
	v_mov_b32_e32 v8, 0x80
	s_and_saveexec_b32 s16, vcc_lo
	s_cbranch_execz .LBB6_6944
; %bb.6937:                             ;   in Loop: Header=BB6_6112 Depth=3
	v_mov_b32_e32 v8, 0
	s_mov_b32 s17, exec_lo
	v_cmpx_ne_u32_e32 0, v12
	s_cbranch_execz .LBB6_6943
; %bb.6938:                             ;   in Loop: Header=BB6_6112 Depth=3
	v_bfe_u32 v8, v12, 23, 8
	s_delay_alu instid0(VALU_DEP_1) | instskip(SKIP_1) | instid1(VALU_DEP_2)
	v_sub_nc_u32_e32 v90, 0x78, v8
	v_cmp_gt_u32_e32 vcc_lo, 0x79, v8
	v_dual_cndmask_b32 v90, 0, v90 :: v_dual_and_b32 v89, 0x7fffff, v12
	s_delay_alu instid0(VALU_DEP_1) | instskip(SKIP_2) | instid1(VALU_DEP_4)
	v_or_b32_e32 v91, 0x800000, v89
	v_cmp_eq_u32_e32 vcc_lo, 0, v8
	v_add_nc_u32_e32 v8, 0xffffff89, v8
	v_cndmask_b32_e64 v90, v90, 0x77, vcc_lo
	s_delay_alu instid0(VALU_DEP_4) | instskip(NEXT) | instid1(VALU_DEP_3)
	v_cndmask_b32_e32 v89, v91, v89, vcc_lo
	v_cndmask_b32_e64 v8, v8, 0xffffff8a, vcc_lo
	s_delay_alu instid0(VALU_DEP_3) | instskip(NEXT) | instid1(VALU_DEP_3)
	v_lshl_add_u32 v91, 0x100000, v90, -1
	v_lshrrev_b32_e32 v92, v90, v89
	v_lshlrev_b32_e64 v94, v90, 0x80000
	s_delay_alu instid0(VALU_DEP_4) | instskip(NEXT) | instid1(VALU_DEP_4)
	v_add_nc_u32_e32 v90, v90, v8
	v_and_b32_e32 v89, v91, v89
	s_delay_alu instid0(VALU_DEP_4) | instskip(NEXT) | instid1(VALU_DEP_2)
	v_bfe_u32 v93, v92, 20, 1
	v_cmp_eq_u32_e64 s13, v89, v94
	s_delay_alu instid0(VALU_DEP_2) | instskip(NEXT) | instid1(VALU_DEP_1)
	v_add_nc_u32_e32 v91, -1, v93
	v_cndmask_b32_e64 v89, 0, v91, s13
	v_lshrrev_b32_e32 v91, 23, v92
	s_mov_b32 s13, exec_lo
	s_delay_alu instid0(VALU_DEP_2) | instskip(NEXT) | instid1(VALU_DEP_2)
	v_add_nc_u32_e32 v89, v89, v92
	v_xor_b32_e32 v91, 1, v91
	s_delay_alu instid0(VALU_DEP_2) | instskip(NEXT) | instid1(VALU_DEP_1)
	v_and_b32_e32 v8, 0xfffff, v89
	v_add_nc_u32_e32 v89, v8, v92
                                        ; implicit-def: $vgpr8
	s_delay_alu instid0(VALU_DEP_3)
	v_cmpx_ne_u32_e64 v90, v91
	s_xor_b32 s13, exec_lo, s13
; %bb.6939:                             ;   in Loop: Header=BB6_6112 Depth=3
	s_delay_alu instid0(VALU_DEP_2) | instskip(SKIP_2) | instid1(VALU_DEP_2)
	v_cmp_lt_u32_e32 vcc_lo, 0xffffff, v89
	v_sub_nc_u32_e32 v8, v90, v91
	v_cndmask_b32_e64 v90, 0, 1, vcc_lo
	v_add_co_ci_u32_e32 v8, vcc_lo, 0, v8, vcc_lo
	s_delay_alu instid0(VALU_DEP_2)
	v_lshrrev_b32_e32 v89, v90, v89
; %bb.6940:                             ;   in Loop: Header=BB6_6112 Depth=3
	s_and_not1_saveexec_b32 s13, s13
; %bb.6941:                             ;   in Loop: Header=BB6_6112 Depth=3
	s_delay_alu instid0(VALU_DEP_1)
	v_bfe_u32 v8, v89, 23, 1
; %bb.6942:                             ;   in Loop: Header=BB6_6112 Depth=3
	s_or_b32 exec_lo, exec_lo, s13
	v_lshrrev_b32_e32 v89, 20, v89
	s_delay_alu instid0(VALU_DEP_2) | instskip(SKIP_2) | instid1(VALU_DEP_2)
	v_cmp_gt_i32_e32 vcc_lo, 16, v8
	v_lshrrev_b32_e32 v12, 24, v12
	v_min_i32_e32 v90, 15, v8
	v_dual_cndmask_b32 v89, 7, v89 :: v_dual_and_b32 v12, 0x80, v12
	s_delay_alu instid0(VALU_DEP_2) | instskip(NEXT) | instid1(VALU_DEP_2)
	v_lshlrev_b32_e32 v90, 3, v90
	v_or_b32_e32 v8, v8, v89
	s_delay_alu instid0(VALU_DEP_1) | instskip(SKIP_1) | instid1(VALU_DEP_1)
	v_cmp_ne_u32_e32 vcc_lo, 0, v8
	v_and_b32_e32 v91, 7, v89
	v_or3_b32 v12, v90, v12, v91
	s_delay_alu instid0(VALU_DEP_1)
	v_cndmask_b32_e32 v8, 0, v12, vcc_lo
.LBB6_6943:                             ;   in Loop: Header=BB6_6112 Depth=3
	s_or_b32 exec_lo, exec_lo, s17
.LBB6_6944:                             ;   in Loop: Header=BB6_6112 Depth=3
	s_delay_alu instid0(SALU_CYCLE_1) | instskip(SKIP_3) | instid1(VALU_DEP_1)
	s_or_b32 exec_lo, exec_lo, s16
	v_and_b32_e32 v89, 0xff, v13
	s_mov_b32 s13, 0
	s_mov_b32 s17, exec_lo
                                        ; implicit-def: $sgpr16
	v_cmpx_lt_i16_e32 0x7f, v89
	s_xor_b32 s17, exec_lo, s17
	s_cbranch_execnz .LBB6_7550
; %bb.6945:                             ;   in Loop: Header=BB6_6112 Depth=3
	s_or_saveexec_b32 s17, s17
	v_mov_b32_e32 v12, s16
	s_xor_b32 exec_lo, exec_lo, s17
	s_cbranch_execnz .LBB6_7553
.LBB6_6946:                             ;   in Loop: Header=BB6_6112 Depth=3
	s_or_b32 exec_lo, exec_lo, s17
	s_and_saveexec_b32 s16, s13
	s_cbranch_execz .LBB6_6948
.LBB6_6947:                             ;   in Loop: Header=BB6_6112 Depth=3
	v_and_b32_e32 v12, 7, v13
	v_bfe_u32 v91, v13, 3, 4
	v_lshlrev_b32_e32 v92, 24, v13
	s_delay_alu instid0(VALU_DEP_3) | instskip(NEXT) | instid1(VALU_DEP_3)
	v_clz_i32_u32_e32 v89, v12
	v_cmp_eq_u32_e32 vcc_lo, 0, v91
	s_delay_alu instid0(VALU_DEP_2) | instskip(NEXT) | instid1(VALU_DEP_1)
	v_min_u32_e32 v89, 32, v89
	v_subrev_nc_u32_e32 v90, 28, v89
	v_sub_nc_u32_e32 v89, 29, v89
	s_delay_alu instid0(VALU_DEP_2) | instskip(NEXT) | instid1(VALU_DEP_1)
	v_lshlrev_b32_e32 v90, v90, v13
	v_dual_cndmask_b32 v89, v91, v89 :: v_dual_and_b32 v90, 7, v90
	s_delay_alu instid0(VALU_DEP_1) | instskip(NEXT) | instid1(VALU_DEP_2)
	v_lshl_add_u32 v89, v89, 23, 0x3b800000
	v_cndmask_b32_e32 v12, v12, v90, vcc_lo
	v_and_b32_e32 v90, 0x80000000, v92
	s_delay_alu instid0(VALU_DEP_2) | instskip(NEXT) | instid1(VALU_DEP_1)
	v_lshlrev_b32_e32 v12, 20, v12
	v_or3_b32 v12, v90, v89, v12
.LBB6_6948:                             ;   in Loop: Header=BB6_6112 Depth=3
	s_or_b32 exec_lo, exec_lo, s16
	v_and_b32_e32 v90, 0xff, v9
	s_mov_b32 s13, 0
	s_mov_b32 s17, exec_lo
                                        ; implicit-def: $sgpr16
	s_delay_alu instid0(VALU_DEP_1)
	v_cmpx_lt_i16_e32 0x7f, v90
	s_xor_b32 s17, exec_lo, s17
	s_cbranch_execnz .LBB6_7554
; %bb.6949:                             ;   in Loop: Header=BB6_6112 Depth=3
	s_or_saveexec_b32 s17, s17
	v_mov_b32_e32 v89, s16
	s_xor_b32 exec_lo, exec_lo, s17
	s_cbranch_execnz .LBB6_7557
.LBB6_6950:                             ;   in Loop: Header=BB6_6112 Depth=3
	s_or_b32 exec_lo, exec_lo, s17
	s_and_saveexec_b32 s16, s13
	s_cbranch_execz .LBB6_6952
.LBB6_6951:                             ;   in Loop: Header=BB6_6112 Depth=3
	v_bfe_u32 v92, v9, 3, 4
	v_lshlrev_b32_e32 v93, 24, v9
	s_delay_alu instid0(VALU_DEP_2) | instskip(SKIP_1) | instid1(VALU_DEP_1)
	v_cmp_eq_u32_e32 vcc_lo, 0, v92
	v_and_b32_e32 v89, 7, v9
	v_clz_i32_u32_e32 v90, v89
	s_delay_alu instid0(VALU_DEP_1) | instskip(NEXT) | instid1(VALU_DEP_1)
	v_min_u32_e32 v90, 32, v90
	v_subrev_nc_u32_e32 v91, 28, v90
	v_sub_nc_u32_e32 v90, 29, v90
	s_delay_alu instid0(VALU_DEP_1) | instskip(NEXT) | instid1(VALU_DEP_1)
	v_dual_cndmask_b32 v90, v92, v90 :: v_dual_lshlrev_b32 v91, v91, v9
	v_and_b32_e32 v91, 7, v91
	s_delay_alu instid0(VALU_DEP_2) | instskip(NEXT) | instid1(VALU_DEP_2)
	v_lshl_add_u32 v90, v90, 23, 0x3b800000
	v_cndmask_b32_e32 v89, v89, v91, vcc_lo
	v_and_b32_e32 v91, 0x80000000, v93
	s_delay_alu instid0(VALU_DEP_2) | instskip(NEXT) | instid1(VALU_DEP_1)
	v_lshlrev_b32_e32 v89, 20, v89
	v_or3_b32 v89, v91, v90, v89
.LBB6_6952:                             ;   in Loop: Header=BB6_6112 Depth=3
	s_or_b32 exec_lo, exec_lo, s16
	s_delay_alu instid0(VALU_DEP_1) | instskip(NEXT) | instid1(VALU_DEP_1)
	v_add_f32_e32 v89, v12, v89
	v_and_b32_e32 v12, 0x7f800000, v89
	s_delay_alu instid0(VALU_DEP_1)
	v_cmp_ne_u32_e32 vcc_lo, 0x7f800000, v12
	v_mov_b32_e32 v12, 0x80
	s_and_saveexec_b32 s16, vcc_lo
	s_cbranch_execz .LBB6_6960
; %bb.6953:                             ;   in Loop: Header=BB6_6112 Depth=3
	v_mov_b32_e32 v12, 0
	s_mov_b32 s17, exec_lo
	v_cmpx_ne_u32_e32 0, v89
	s_cbranch_execz .LBB6_6959
; %bb.6954:                             ;   in Loop: Header=BB6_6112 Depth=3
	v_bfe_u32 v12, v89, 23, 8
	s_delay_alu instid0(VALU_DEP_1) | instskip(SKIP_1) | instid1(VALU_DEP_2)
	v_sub_nc_u32_e32 v91, 0x78, v12
	v_cmp_gt_u32_e32 vcc_lo, 0x79, v12
	v_dual_cndmask_b32 v91, 0, v91 :: v_dual_and_b32 v90, 0x7fffff, v89
	s_delay_alu instid0(VALU_DEP_1) | instskip(SKIP_2) | instid1(VALU_DEP_4)
	v_or_b32_e32 v92, 0x800000, v90
	v_cmp_eq_u32_e32 vcc_lo, 0, v12
	v_add_nc_u32_e32 v12, 0xffffff89, v12
	v_cndmask_b32_e64 v91, v91, 0x77, vcc_lo
	s_delay_alu instid0(VALU_DEP_2) | instskip(SKIP_1) | instid1(VALU_DEP_3)
	v_cndmask_b32_e64 v12, v12, 0xffffff8a, vcc_lo
	v_cndmask_b32_e32 v90, v92, v90, vcc_lo
	v_lshl_add_u32 v92, 0x100000, v91, -1
	v_lshlrev_b32_e64 v95, v91, 0x80000
	s_delay_alu instid0(VALU_DEP_3) | instskip(SKIP_1) | instid1(VALU_DEP_4)
	v_lshrrev_b32_e32 v93, v91, v90
	v_add_nc_u32_e32 v91, v91, v12
	v_and_b32_e32 v90, v92, v90
	s_delay_alu instid0(VALU_DEP_3) | instskip(NEXT) | instid1(VALU_DEP_2)
	v_bfe_u32 v94, v93, 20, 1
	v_cmp_eq_u32_e64 s13, v90, v95
	s_delay_alu instid0(VALU_DEP_2) | instskip(NEXT) | instid1(VALU_DEP_1)
	v_add_nc_u32_e32 v92, -1, v94
	v_cndmask_b32_e64 v90, 0, v92, s13
	v_lshrrev_b32_e32 v92, 23, v93
	s_mov_b32 s13, exec_lo
	s_delay_alu instid0(VALU_DEP_2) | instskip(NEXT) | instid1(VALU_DEP_2)
	v_add_nc_u32_e32 v90, v90, v93
	v_xor_b32_e32 v92, 1, v92
	s_delay_alu instid0(VALU_DEP_2) | instskip(NEXT) | instid1(VALU_DEP_1)
	v_and_b32_e32 v12, 0xfffff, v90
	v_add_nc_u32_e32 v90, v12, v93
                                        ; implicit-def: $vgpr12
	s_delay_alu instid0(VALU_DEP_3)
	v_cmpx_ne_u32_e64 v91, v92
	s_xor_b32 s13, exec_lo, s13
; %bb.6955:                             ;   in Loop: Header=BB6_6112 Depth=3
	s_delay_alu instid0(VALU_DEP_2) | instskip(SKIP_2) | instid1(VALU_DEP_2)
	v_cmp_lt_u32_e32 vcc_lo, 0xffffff, v90
	v_sub_nc_u32_e32 v12, v91, v92
	v_cndmask_b32_e64 v91, 0, 1, vcc_lo
	v_add_co_ci_u32_e32 v12, vcc_lo, 0, v12, vcc_lo
	s_delay_alu instid0(VALU_DEP_2)
	v_lshrrev_b32_e32 v90, v91, v90
; %bb.6956:                             ;   in Loop: Header=BB6_6112 Depth=3
	s_and_not1_saveexec_b32 s13, s13
; %bb.6957:                             ;   in Loop: Header=BB6_6112 Depth=3
	s_delay_alu instid0(VALU_DEP_1)
	v_bfe_u32 v12, v90, 23, 1
; %bb.6958:                             ;   in Loop: Header=BB6_6112 Depth=3
	s_or_b32 exec_lo, exec_lo, s13
	v_lshrrev_b32_e32 v90, 20, v90
	s_delay_alu instid0(VALU_DEP_2) | instskip(SKIP_2) | instid1(VALU_DEP_2)
	v_cmp_gt_i32_e32 vcc_lo, 16, v12
	v_lshrrev_b32_e32 v89, 24, v89
	v_min_i32_e32 v91, 15, v12
	v_dual_cndmask_b32 v90, 7, v90 :: v_dual_and_b32 v89, 0x80, v89
	s_delay_alu instid0(VALU_DEP_1) | instskip(SKIP_1) | instid1(VALU_DEP_2)
	v_or_b32_e32 v12, v12, v90
	v_and_b32_e32 v92, 7, v90
	v_cmp_ne_u32_e32 vcc_lo, 0, v12
	v_lshlrev_b32_e32 v91, 3, v91
	s_delay_alu instid0(VALU_DEP_1) | instskip(NEXT) | instid1(VALU_DEP_1)
	v_or3_b32 v89, v91, v89, v92
	v_cndmask_b32_e32 v12, 0, v89, vcc_lo
.LBB6_6959:                             ;   in Loop: Header=BB6_6112 Depth=3
	s_or_b32 exec_lo, exec_lo, s17
.LBB6_6960:                             ;   in Loop: Header=BB6_6112 Depth=3
	s_delay_alu instid0(SALU_CYCLE_1) | instskip(SKIP_3) | instid1(VALU_DEP_1)
	s_or_b32 exec_lo, exec_lo, s16
	v_lshrrev_b16 v90, 8, v13
	s_mov_b32 s13, 0
	s_mov_b32 s17, exec_lo
                                        ; implicit-def: $sgpr16
	v_cmpx_lt_i16_e32 0x7f, v90
	s_xor_b32 s17, exec_lo, s17
	s_cbranch_execnz .LBB6_7558
; %bb.6961:                             ;   in Loop: Header=BB6_6112 Depth=3
	s_or_saveexec_b32 s17, s17
	v_mov_b32_e32 v89, s16
	s_xor_b32 exec_lo, exec_lo, s17
	s_cbranch_execnz .LBB6_7561
.LBB6_6962:                             ;   in Loop: Header=BB6_6112 Depth=3
	s_or_b32 exec_lo, exec_lo, s17
	s_and_saveexec_b32 s16, s13
	s_cbranch_execz .LBB6_6964
.LBB6_6963:                             ;   in Loop: Header=BB6_6112 Depth=3
	v_and_b32_e32 v89, 0xffff, v90
	s_delay_alu instid0(VALU_DEP_1) | instskip(NEXT) | instid1(VALU_DEP_1)
	v_and_b32_e32 v91, 7, v89
	v_clz_i32_u32_e32 v92, v91
	s_delay_alu instid0(VALU_DEP_1) | instskip(NEXT) | instid1(VALU_DEP_1)
	v_min_u32_e32 v92, 32, v92
	v_subrev_nc_u32_e32 v93, 28, v92
	v_sub_nc_u32_e32 v92, 29, v92
	s_delay_alu instid0(VALU_DEP_2) | instskip(SKIP_1) | instid1(VALU_DEP_2)
	v_lshlrev_b32_e32 v93, v93, v89
	v_bfe_u32 v89, v89, 3, 4
	v_and_b32_e32 v93, 7, v93
	s_delay_alu instid0(VALU_DEP_2) | instskip(SKIP_1) | instid1(VALU_DEP_1)
	v_cmp_eq_u32_e32 vcc_lo, 0, v89
	v_dual_cndmask_b32 v89, v89, v92 :: v_dual_lshlrev_b32 v90, 24, v90
	v_dual_cndmask_b32 v91, v91, v93 :: v_dual_and_b32 v90, 0x80000000, v90
	s_delay_alu instid0(VALU_DEP_2) | instskip(NEXT) | instid1(VALU_DEP_2)
	v_lshl_add_u32 v89, v89, 23, 0x3b800000
	v_lshlrev_b32_e32 v91, 20, v91
	s_delay_alu instid0(VALU_DEP_1)
	v_or3_b32 v89, v90, v89, v91
.LBB6_6964:                             ;   in Loop: Header=BB6_6112 Depth=3
	s_or_b32 exec_lo, exec_lo, s16
	v_lshrrev_b16 v90, 8, v9
	s_mov_b32 s13, 0
	s_mov_b32 s17, exec_lo
                                        ; implicit-def: $sgpr16
	s_delay_alu instid0(VALU_DEP_1)
	v_cmpx_lt_i16_e32 0x7f, v90
	s_xor_b32 s17, exec_lo, s17
	s_cbranch_execnz .LBB6_7562
; %bb.6965:                             ;   in Loop: Header=BB6_6112 Depth=3
	s_or_saveexec_b32 s17, s17
	v_mov_b32_e32 v91, s16
	s_xor_b32 exec_lo, exec_lo, s17
	s_cbranch_execnz .LBB6_7565
.LBB6_6966:                             ;   in Loop: Header=BB6_6112 Depth=3
	s_or_b32 exec_lo, exec_lo, s17
	s_and_saveexec_b32 s16, s13
	s_cbranch_execz .LBB6_6968
.LBB6_6967:                             ;   in Loop: Header=BB6_6112 Depth=3
	v_and_b32_e32 v91, 0xffff, v90
	v_lshlrev_b32_e32 v90, 24, v90
	s_delay_alu instid0(VALU_DEP_2) | instskip(NEXT) | instid1(VALU_DEP_2)
	v_and_b32_e32 v92, 7, v91
	v_and_b32_e32 v90, 0x80000000, v90
	s_delay_alu instid0(VALU_DEP_2) | instskip(NEXT) | instid1(VALU_DEP_1)
	v_clz_i32_u32_e32 v93, v92
	v_min_u32_e32 v93, 32, v93
	s_delay_alu instid0(VALU_DEP_1) | instskip(SKIP_1) | instid1(VALU_DEP_2)
	v_subrev_nc_u32_e32 v94, 28, v93
	v_sub_nc_u32_e32 v93, 29, v93
	v_lshlrev_b32_e32 v94, v94, v91
	v_bfe_u32 v91, v91, 3, 4
	s_delay_alu instid0(VALU_DEP_2) | instskip(NEXT) | instid1(VALU_DEP_2)
	v_and_b32_e32 v94, 7, v94
	v_cmp_eq_u32_e32 vcc_lo, 0, v91
	s_delay_alu instid0(VALU_DEP_2) | instskip(NEXT) | instid1(VALU_DEP_1)
	v_dual_cndmask_b32 v91, v91, v93 :: v_dual_cndmask_b32 v92, v92, v94
	v_lshl_add_u32 v91, v91, 23, 0x3b800000
	s_delay_alu instid0(VALU_DEP_2) | instskip(NEXT) | instid1(VALU_DEP_1)
	v_lshlrev_b32_e32 v92, 20, v92
	v_or3_b32 v91, v90, v91, v92
.LBB6_6968:                             ;   in Loop: Header=BB6_6112 Depth=3
	s_or_b32 exec_lo, exec_lo, s16
	s_delay_alu instid0(VALU_DEP_1) | instskip(NEXT) | instid1(VALU_DEP_1)
	v_add_f32_e32 v90, v89, v91
	v_and_b32_e32 v89, 0x7f800000, v90
	s_delay_alu instid0(VALU_DEP_1)
	v_cmp_ne_u32_e32 vcc_lo, 0x7f800000, v89
	v_mov_b32_e32 v89, 0x8000
	s_and_saveexec_b32 s16, vcc_lo
	s_cbranch_execz .LBB6_6976
; %bb.6969:                             ;   in Loop: Header=BB6_6112 Depth=3
	v_mov_b32_e32 v89, 0
	s_mov_b32 s17, exec_lo
	v_cmpx_ne_u32_e32 0, v90
	s_cbranch_execz .LBB6_6975
; %bb.6970:                             ;   in Loop: Header=BB6_6112 Depth=3
	v_bfe_u32 v89, v90, 23, 8
	s_delay_alu instid0(VALU_DEP_1) | instskip(SKIP_1) | instid1(VALU_DEP_2)
	v_sub_nc_u32_e32 v92, 0x78, v89
	v_cmp_gt_u32_e32 vcc_lo, 0x79, v89
	v_dual_cndmask_b32 v92, 0, v92 :: v_dual_and_b32 v91, 0x7fffff, v90
	s_delay_alu instid0(VALU_DEP_1) | instskip(SKIP_2) | instid1(VALU_DEP_4)
	v_or_b32_e32 v93, 0x800000, v91
	v_cmp_eq_u32_e32 vcc_lo, 0, v89
	v_add_nc_u32_e32 v89, 0xffffff89, v89
	v_cndmask_b32_e64 v92, v92, 0x77, vcc_lo
	s_delay_alu instid0(VALU_DEP_2) | instskip(SKIP_1) | instid1(VALU_DEP_3)
	v_cndmask_b32_e64 v89, v89, 0xffffff8a, vcc_lo
	v_cndmask_b32_e32 v91, v93, v91, vcc_lo
	v_lshl_add_u32 v93, 0x100000, v92, -1
	v_lshlrev_b32_e64 v104, v92, 0x80000
	s_delay_alu instid0(VALU_DEP_3) | instskip(SKIP_1) | instid1(VALU_DEP_4)
	v_lshrrev_b32_e32 v94, v92, v91
	v_add_nc_u32_e32 v92, v92, v89
	v_and_b32_e32 v91, v93, v91
	s_delay_alu instid0(VALU_DEP_3) | instskip(NEXT) | instid1(VALU_DEP_2)
	v_bfe_u32 v95, v94, 20, 1
	v_cmp_eq_u32_e64 s13, v91, v104
	s_delay_alu instid0(VALU_DEP_2) | instskip(NEXT) | instid1(VALU_DEP_1)
	v_add_nc_u32_e32 v93, -1, v95
	v_cndmask_b32_e64 v91, 0, v93, s13
	v_lshrrev_b32_e32 v93, 23, v94
	s_mov_b32 s13, exec_lo
	s_delay_alu instid0(VALU_DEP_2) | instskip(NEXT) | instid1(VALU_DEP_2)
	v_add_nc_u32_e32 v91, v91, v94
	v_xor_b32_e32 v93, 1, v93
	s_delay_alu instid0(VALU_DEP_2) | instskip(NEXT) | instid1(VALU_DEP_1)
	v_and_b32_e32 v89, 0xfffff, v91
	v_add_nc_u32_e32 v91, v89, v94
                                        ; implicit-def: $vgpr89
	s_delay_alu instid0(VALU_DEP_3)
	v_cmpx_ne_u32_e64 v92, v93
	s_xor_b32 s13, exec_lo, s13
; %bb.6971:                             ;   in Loop: Header=BB6_6112 Depth=3
	s_delay_alu instid0(VALU_DEP_2) | instskip(SKIP_2) | instid1(VALU_DEP_2)
	v_cmp_lt_u32_e32 vcc_lo, 0xffffff, v91
	v_sub_nc_u32_e32 v89, v92, v93
	v_cndmask_b32_e64 v92, 0, 1, vcc_lo
	v_add_co_ci_u32_e32 v89, vcc_lo, 0, v89, vcc_lo
	s_delay_alu instid0(VALU_DEP_2)
	v_lshrrev_b32_e32 v91, v92, v91
; %bb.6972:                             ;   in Loop: Header=BB6_6112 Depth=3
	s_and_not1_saveexec_b32 s13, s13
; %bb.6973:                             ;   in Loop: Header=BB6_6112 Depth=3
	s_delay_alu instid0(VALU_DEP_1)
	v_bfe_u32 v89, v91, 23, 1
; %bb.6974:                             ;   in Loop: Header=BB6_6112 Depth=3
	s_or_b32 exec_lo, exec_lo, s13
	v_lshrrev_b32_e32 v91, 20, v91
	s_delay_alu instid0(VALU_DEP_2) | instskip(SKIP_2) | instid1(VALU_DEP_2)
	v_cmp_gt_i32_e32 vcc_lo, 16, v89
	v_min_i32_e32 v92, 15, v89
	v_lshrrev_b32_e32 v90, 24, v90
	v_dual_cndmask_b32 v91, 7, v91 :: v_dual_lshlrev_b32 v92, 3, v92
	s_delay_alu instid0(VALU_DEP_2) | instskip(NEXT) | instid1(VALU_DEP_2)
	v_and_b32_e32 v90, 0x80, v90
	v_or_b32_e32 v89, v89, v91
	v_and_b32_e32 v93, 7, v91
	s_delay_alu instid0(VALU_DEP_2) | instskip(SKIP_1) | instid1(VALU_DEP_1)
	v_cmp_ne_u32_e32 vcc_lo, 0, v89
	v_and_b32_e32 v92, 0xf8, v92
	v_or3_b32 v90, v90, v92, v93
	s_delay_alu instid0(VALU_DEP_1) | instskip(NEXT) | instid1(VALU_DEP_1)
	v_lshlrev_b32_e32 v90, 8, v90
	v_cndmask_b32_e32 v89, 0, v90, vcc_lo
.LBB6_6975:                             ;   in Loop: Header=BB6_6112 Depth=3
	s_or_b32 exec_lo, exec_lo, s17
.LBB6_6976:                             ;   in Loop: Header=BB6_6112 Depth=3
	s_delay_alu instid0(SALU_CYCLE_1) | instskip(SKIP_3) | instid1(VALU_DEP_1)
	s_or_b32 exec_lo, exec_lo, s16
	v_lshrrev_b32_e32 v91, 16, v13
	s_mov_b32 s13, 0
	s_mov_b32 s17, exec_lo
                                        ; implicit-def: $sgpr16
	v_and_b32_e32 v92, 0xff, v91
	s_delay_alu instid0(VALU_DEP_1)
	v_cmpx_lt_i16_e32 0x7f, v92
	s_xor_b32 s17, exec_lo, s17
	s_cbranch_execnz .LBB6_7566
; %bb.6977:                             ;   in Loop: Header=BB6_6112 Depth=3
	s_or_saveexec_b32 s17, s17
	v_mov_b32_e32 v90, s16
	s_xor_b32 exec_lo, exec_lo, s17
	s_cbranch_execnz .LBB6_7569
.LBB6_6978:                             ;   in Loop: Header=BB6_6112 Depth=3
	s_or_b32 exec_lo, exec_lo, s17
	s_and_saveexec_b32 s16, s13
	s_cbranch_execz .LBB6_6980
.LBB6_6979:                             ;   in Loop: Header=BB6_6112 Depth=3
	v_bfe_u32 v90, v13, 16, 3
	v_lshlrev_b32_e32 v94, 8, v13
	s_delay_alu instid0(VALU_DEP_2) | instskip(NEXT) | instid1(VALU_DEP_1)
	v_clz_i32_u32_e32 v92, v90
	v_min_u32_e32 v92, 32, v92
	s_delay_alu instid0(VALU_DEP_1) | instskip(SKIP_1) | instid1(VALU_DEP_2)
	v_subrev_nc_u32_e32 v93, 28, v92
	v_sub_nc_u32_e32 v92, 29, v92
	v_lshlrev_b32_e32 v91, v93, v91
	v_bfe_u32 v93, v13, 19, 4
	s_delay_alu instid0(VALU_DEP_1) | instskip(NEXT) | instid1(VALU_DEP_3)
	v_cmp_eq_u32_e32 vcc_lo, 0, v93
	v_dual_cndmask_b32 v92, v93, v92 :: v_dual_and_b32 v91, 7, v91
	s_delay_alu instid0(VALU_DEP_1) | instskip(NEXT) | instid1(VALU_DEP_2)
	v_dual_cndmask_b32 v90, v90, v91 :: v_dual_and_b32 v91, 0x80000000, v94
	v_lshl_add_u32 v92, v92, 23, 0x3b800000
	s_delay_alu instid0(VALU_DEP_2) | instskip(NEXT) | instid1(VALU_DEP_1)
	v_lshlrev_b32_e32 v90, 20, v90
	v_or3_b32 v90, v91, v92, v90
.LBB6_6980:                             ;   in Loop: Header=BB6_6112 Depth=3
	s_or_b32 exec_lo, exec_lo, s16
	v_lshrrev_b32_e32 v91, 16, v9
	s_mov_b32 s13, 0
	s_mov_b32 s17, exec_lo
                                        ; implicit-def: $sgpr16
	s_delay_alu instid0(VALU_DEP_1) | instskip(NEXT) | instid1(VALU_DEP_1)
	v_and_b32_e32 v93, 0xff, v91
	v_cmpx_lt_i16_e32 0x7f, v93
	s_xor_b32 s17, exec_lo, s17
	s_cbranch_execnz .LBB6_7570
; %bb.6981:                             ;   in Loop: Header=BB6_6112 Depth=3
	s_or_saveexec_b32 s17, s17
	v_mov_b32_e32 v92, s16
	s_xor_b32 exec_lo, exec_lo, s17
	s_cbranch_execnz .LBB6_7573
.LBB6_6982:                             ;   in Loop: Header=BB6_6112 Depth=3
	s_or_b32 exec_lo, exec_lo, s17
	s_and_saveexec_b32 s16, s13
	s_cbranch_execz .LBB6_6984
.LBB6_6983:                             ;   in Loop: Header=BB6_6112 Depth=3
	v_bfe_u32 v92, v9, 16, 3
	v_lshlrev_b32_e32 v95, 8, v9
	s_delay_alu instid0(VALU_DEP_2) | instskip(NEXT) | instid1(VALU_DEP_1)
	v_clz_i32_u32_e32 v93, v92
	v_min_u32_e32 v93, 32, v93
	s_delay_alu instid0(VALU_DEP_1) | instskip(SKIP_1) | instid1(VALU_DEP_2)
	v_subrev_nc_u32_e32 v94, 28, v93
	v_sub_nc_u32_e32 v93, 29, v93
	v_lshlrev_b32_e32 v91, v94, v91
	v_bfe_u32 v94, v9, 19, 4
	s_delay_alu instid0(VALU_DEP_2) | instskip(NEXT) | instid1(VALU_DEP_2)
	v_and_b32_e32 v91, 7, v91
	v_cmp_eq_u32_e32 vcc_lo, 0, v94
	v_cndmask_b32_e32 v93, v94, v93, vcc_lo
	s_delay_alu instid0(VALU_DEP_3) | instskip(SKIP_1) | instid1(VALU_DEP_3)
	v_cndmask_b32_e32 v91, v92, v91, vcc_lo
	v_and_b32_e32 v92, 0x80000000, v95
	v_lshl_add_u32 v93, v93, 23, 0x3b800000
	s_delay_alu instid0(VALU_DEP_3) | instskip(NEXT) | instid1(VALU_DEP_1)
	v_lshlrev_b32_e32 v91, 20, v91
	v_or3_b32 v92, v92, v93, v91
.LBB6_6984:                             ;   in Loop: Header=BB6_6112 Depth=3
	s_or_b32 exec_lo, exec_lo, s16
	s_delay_alu instid0(VALU_DEP_1) | instskip(NEXT) | instid1(VALU_DEP_1)
	v_add_f32_e32 v91, v90, v92
	v_and_b32_e32 v90, 0x7f800000, v91
	s_delay_alu instid0(VALU_DEP_1)
	v_cmp_ne_u32_e32 vcc_lo, 0x7f800000, v90
	v_mov_b32_e32 v90, 0x80
	s_and_saveexec_b32 s16, vcc_lo
	s_cbranch_execz .LBB6_6992
; %bb.6985:                             ;   in Loop: Header=BB6_6112 Depth=3
	v_mov_b32_e32 v90, 0
	s_mov_b32 s17, exec_lo
	v_cmpx_ne_u32_e32 0, v91
	s_cbranch_execz .LBB6_6991
; %bb.6986:                             ;   in Loop: Header=BB6_6112 Depth=3
	v_bfe_u32 v90, v91, 23, 8
	s_delay_alu instid0(VALU_DEP_1) | instskip(SKIP_1) | instid1(VALU_DEP_2)
	v_sub_nc_u32_e32 v93, 0x78, v90
	v_cmp_gt_u32_e32 vcc_lo, 0x79, v90
	v_dual_cndmask_b32 v93, 0, v93 :: v_dual_and_b32 v92, 0x7fffff, v91
	s_delay_alu instid0(VALU_DEP_1) | instskip(SKIP_2) | instid1(VALU_DEP_4)
	v_or_b32_e32 v94, 0x800000, v92
	v_cmp_eq_u32_e32 vcc_lo, 0, v90
	v_add_nc_u32_e32 v90, 0xffffff89, v90
	v_cndmask_b32_e64 v93, v93, 0x77, vcc_lo
	s_delay_alu instid0(VALU_DEP_2) | instskip(SKIP_1) | instid1(VALU_DEP_3)
	v_cndmask_b32_e64 v90, v90, 0xffffff8a, vcc_lo
	v_cndmask_b32_e32 v92, v94, v92, vcc_lo
	v_lshl_add_u32 v94, 0x100000, v93, -1
	v_lshlrev_b32_e64 v105, v93, 0x80000
	s_delay_alu instid0(VALU_DEP_3) | instskip(SKIP_1) | instid1(VALU_DEP_4)
	v_lshrrev_b32_e32 v95, v93, v92
	v_add_nc_u32_e32 v93, v93, v90
	v_and_b32_e32 v92, v94, v92
	s_delay_alu instid0(VALU_DEP_3) | instskip(NEXT) | instid1(VALU_DEP_2)
	v_bfe_u32 v104, v95, 20, 1
	v_cmp_eq_u32_e64 s13, v92, v105
	s_delay_alu instid0(VALU_DEP_2) | instskip(NEXT) | instid1(VALU_DEP_1)
	v_add_nc_u32_e32 v94, -1, v104
	v_cndmask_b32_e64 v92, 0, v94, s13
	v_lshrrev_b32_e32 v94, 23, v95
	s_mov_b32 s13, exec_lo
	s_delay_alu instid0(VALU_DEP_2) | instskip(NEXT) | instid1(VALU_DEP_2)
	v_add_nc_u32_e32 v92, v92, v95
	v_xor_b32_e32 v94, 1, v94
	s_delay_alu instid0(VALU_DEP_2) | instskip(NEXT) | instid1(VALU_DEP_1)
	v_and_b32_e32 v90, 0xfffff, v92
	v_add_nc_u32_e32 v92, v90, v95
                                        ; implicit-def: $vgpr90
	s_delay_alu instid0(VALU_DEP_3)
	v_cmpx_ne_u32_e64 v93, v94
	s_xor_b32 s13, exec_lo, s13
; %bb.6987:                             ;   in Loop: Header=BB6_6112 Depth=3
	s_delay_alu instid0(VALU_DEP_2) | instskip(SKIP_2) | instid1(VALU_DEP_2)
	v_cmp_lt_u32_e32 vcc_lo, 0xffffff, v92
	v_sub_nc_u32_e32 v90, v93, v94
	v_cndmask_b32_e64 v93, 0, 1, vcc_lo
	v_add_co_ci_u32_e32 v90, vcc_lo, 0, v90, vcc_lo
	s_delay_alu instid0(VALU_DEP_2)
	v_lshrrev_b32_e32 v92, v93, v92
; %bb.6988:                             ;   in Loop: Header=BB6_6112 Depth=3
	s_and_not1_saveexec_b32 s13, s13
; %bb.6989:                             ;   in Loop: Header=BB6_6112 Depth=3
	s_delay_alu instid0(VALU_DEP_1)
	v_bfe_u32 v90, v92, 23, 1
; %bb.6990:                             ;   in Loop: Header=BB6_6112 Depth=3
	s_or_b32 exec_lo, exec_lo, s13
	v_lshrrev_b32_e32 v92, 20, v92
	s_delay_alu instid0(VALU_DEP_2) | instskip(SKIP_2) | instid1(VALU_DEP_2)
	v_cmp_gt_i32_e32 vcc_lo, 16, v90
	v_min_i32_e32 v93, 15, v90
	v_lshrrev_b32_e32 v91, 24, v91
	v_dual_cndmask_b32 v92, 7, v92 :: v_dual_lshlrev_b32 v93, 3, v93
	s_delay_alu instid0(VALU_DEP_2) | instskip(NEXT) | instid1(VALU_DEP_2)
	v_and_b32_e32 v91, 0x80, v91
	v_or_b32_e32 v90, v90, v92
	v_and_b32_e32 v94, 7, v92
	s_delay_alu instid0(VALU_DEP_2) | instskip(SKIP_1) | instid1(VALU_DEP_1)
	v_cmp_ne_u32_e32 vcc_lo, 0, v90
	v_and_b32_e32 v93, 0xf8, v93
	v_or3_b32 v91, v93, v91, v94
	s_delay_alu instid0(VALU_DEP_1)
	v_cndmask_b32_e32 v90, 0, v91, vcc_lo
.LBB6_6991:                             ;   in Loop: Header=BB6_6112 Depth=3
	s_or_b32 exec_lo, exec_lo, s17
.LBB6_6992:                             ;   in Loop: Header=BB6_6112 Depth=3
	s_delay_alu instid0(SALU_CYCLE_1) | instskip(SKIP_3) | instid1(VALU_DEP_1)
	s_or_b32 exec_lo, exec_lo, s16
	v_lshrrev_b32_e32 v92, 24, v13
	s_mov_b32 s13, 0
	s_mov_b32 s17, exec_lo
                                        ; implicit-def: $sgpr16
	v_cmpx_lt_i16_e32 0x7f, v92
	s_xor_b32 s17, exec_lo, s17
	s_cbranch_execnz .LBB6_7574
; %bb.6993:                             ;   in Loop: Header=BB6_6112 Depth=3
	s_or_saveexec_b32 s17, s17
	v_mov_b32_e32 v91, s16
	s_xor_b32 exec_lo, exec_lo, s17
	s_cbranch_execnz .LBB6_7577
.LBB6_6994:                             ;   in Loop: Header=BB6_6112 Depth=3
	s_or_b32 exec_lo, exec_lo, s17
	s_and_saveexec_b32 s16, s13
	s_cbranch_execz .LBB6_6996
.LBB6_6995:                             ;   in Loop: Header=BB6_6112 Depth=3
	v_bfe_u32 v91, v13, 24, 3
	s_delay_alu instid0(VALU_DEP_1) | instskip(NEXT) | instid1(VALU_DEP_1)
	v_clz_i32_u32_e32 v93, v91
	v_min_u32_e32 v93, 32, v93
	s_delay_alu instid0(VALU_DEP_1) | instskip(SKIP_1) | instid1(VALU_DEP_2)
	v_subrev_nc_u32_e32 v94, 28, v93
	v_sub_nc_u32_e32 v93, 29, v93
	v_lshlrev_b32_e32 v92, v94, v92
	v_bfe_u32 v94, v13, 27, 4
	v_and_b32_e32 v13, 0x80000000, v13
	s_delay_alu instid0(VALU_DEP_2) | instskip(NEXT) | instid1(VALU_DEP_4)
	v_cmp_eq_u32_e32 vcc_lo, 0, v94
	v_dual_cndmask_b32 v93, v94, v93 :: v_dual_and_b32 v92, 7, v92
	s_delay_alu instid0(VALU_DEP_1) | instskip(NEXT) | instid1(VALU_DEP_2)
	v_cndmask_b32_e32 v91, v91, v92, vcc_lo
	v_lshl_add_u32 v92, v93, 23, 0x3b800000
	s_delay_alu instid0(VALU_DEP_2) | instskip(NEXT) | instid1(VALU_DEP_1)
	v_lshlrev_b32_e32 v91, 20, v91
	v_or3_b32 v91, v13, v92, v91
.LBB6_6996:                             ;   in Loop: Header=BB6_6112 Depth=3
	s_or_b32 exec_lo, exec_lo, s16
	v_lshrrev_b32_e32 v13, 24, v9
	s_mov_b32 s13, 0
	s_mov_b32 s17, exec_lo
                                        ; implicit-def: $sgpr16
	s_delay_alu instid0(VALU_DEP_1)
	v_cmpx_lt_i16_e32 0x7f, v13
	s_xor_b32 s17, exec_lo, s17
	s_cbranch_execnz .LBB6_7578
; %bb.6997:                             ;   in Loop: Header=BB6_6112 Depth=3
	s_or_saveexec_b32 s17, s17
	v_mov_b32_e32 v92, s16
	s_xor_b32 exec_lo, exec_lo, s17
	s_cbranch_execnz .LBB6_7581
.LBB6_6998:                             ;   in Loop: Header=BB6_6112 Depth=3
	s_or_b32 exec_lo, exec_lo, s17
	s_and_saveexec_b32 s16, s13
	s_cbranch_execz .LBB6_7000
.LBB6_6999:                             ;   in Loop: Header=BB6_6112 Depth=3
	v_bfe_u32 v92, v9, 24, 3
	s_delay_alu instid0(VALU_DEP_1) | instskip(NEXT) | instid1(VALU_DEP_1)
	v_clz_i32_u32_e32 v93, v92
	v_min_u32_e32 v93, 32, v93
	s_delay_alu instid0(VALU_DEP_1) | instskip(SKIP_1) | instid1(VALU_DEP_2)
	v_subrev_nc_u32_e32 v94, 28, v93
	v_sub_nc_u32_e32 v93, 29, v93
	v_lshlrev_b32_e32 v13, v94, v13
	v_bfe_u32 v94, v9, 27, 4
	v_and_b32_e32 v9, 0x80000000, v9
	s_delay_alu instid0(VALU_DEP_3) | instskip(NEXT) | instid1(VALU_DEP_3)
	v_and_b32_e32 v13, 7, v13
	v_cmp_eq_u32_e32 vcc_lo, 0, v94
	v_cndmask_b32_e32 v93, v94, v93, vcc_lo
	s_delay_alu instid0(VALU_DEP_3) | instskip(NEXT) | instid1(VALU_DEP_2)
	v_cndmask_b32_e32 v13, v92, v13, vcc_lo
	v_lshl_add_u32 v92, v93, 23, 0x3b800000
	s_delay_alu instid0(VALU_DEP_2) | instskip(NEXT) | instid1(VALU_DEP_1)
	v_lshlrev_b32_e32 v13, 20, v13
	v_or3_b32 v92, v9, v92, v13
.LBB6_7000:                             ;   in Loop: Header=BB6_6112 Depth=3
	s_or_b32 exec_lo, exec_lo, s16
	s_delay_alu instid0(VALU_DEP_1) | instskip(NEXT) | instid1(VALU_DEP_1)
	v_add_f32_e32 v13, v91, v92
	v_and_b32_e32 v9, 0x7f800000, v13
	s_delay_alu instid0(VALU_DEP_1)
	v_cmp_ne_u32_e32 vcc_lo, 0x7f800000, v9
	v_mov_b32_e32 v9, 0x8000
	s_and_saveexec_b32 s16, vcc_lo
	s_cbranch_execz .LBB6_7008
; %bb.7001:                             ;   in Loop: Header=BB6_6112 Depth=3
	v_mov_b32_e32 v9, 0
	s_mov_b32 s17, exec_lo
	v_cmpx_ne_u32_e32 0, v13
	s_cbranch_execz .LBB6_7007
; %bb.7002:                             ;   in Loop: Header=BB6_6112 Depth=3
	v_bfe_u32 v9, v13, 23, 8
	s_delay_alu instid0(VALU_DEP_1) | instskip(SKIP_1) | instid1(VALU_DEP_2)
	v_sub_nc_u32_e32 v92, 0x78, v9
	v_cmp_gt_u32_e32 vcc_lo, 0x79, v9
	v_dual_cndmask_b32 v92, 0, v92 :: v_dual_and_b32 v91, 0x7fffff, v13
	s_delay_alu instid0(VALU_DEP_1) | instskip(SKIP_2) | instid1(VALU_DEP_4)
	v_or_b32_e32 v93, 0x800000, v91
	v_cmp_eq_u32_e32 vcc_lo, 0, v9
	v_add_nc_u32_e32 v9, 0xffffff89, v9
	v_cndmask_b32_e64 v92, v92, 0x77, vcc_lo
	s_delay_alu instid0(VALU_DEP_2) | instskip(SKIP_1) | instid1(VALU_DEP_3)
	v_cndmask_b32_e64 v9, v9, 0xffffff8a, vcc_lo
	v_cndmask_b32_e32 v91, v93, v91, vcc_lo
	v_lshl_add_u32 v93, 0x100000, v92, -1
	v_lshlrev_b32_e64 v104, v92, 0x80000
	s_delay_alu instid0(VALU_DEP_3) | instskip(SKIP_1) | instid1(VALU_DEP_4)
	v_lshrrev_b32_e32 v94, v92, v91
	v_add_nc_u32_e32 v92, v92, v9
	v_and_b32_e32 v91, v93, v91
	s_delay_alu instid0(VALU_DEP_3) | instskip(NEXT) | instid1(VALU_DEP_2)
	v_bfe_u32 v95, v94, 20, 1
	v_cmp_eq_u32_e64 s13, v91, v104
	s_delay_alu instid0(VALU_DEP_2) | instskip(NEXT) | instid1(VALU_DEP_1)
	v_add_nc_u32_e32 v93, -1, v95
	v_cndmask_b32_e64 v91, 0, v93, s13
	v_lshrrev_b32_e32 v93, 23, v94
	s_mov_b32 s13, exec_lo
	s_delay_alu instid0(VALU_DEP_2) | instskip(NEXT) | instid1(VALU_DEP_2)
	v_add_nc_u32_e32 v91, v91, v94
	v_xor_b32_e32 v93, 1, v93
	s_delay_alu instid0(VALU_DEP_2) | instskip(NEXT) | instid1(VALU_DEP_1)
	v_and_b32_e32 v9, 0xfffff, v91
	v_add_nc_u32_e32 v91, v9, v94
                                        ; implicit-def: $vgpr9
	s_delay_alu instid0(VALU_DEP_3)
	v_cmpx_ne_u32_e64 v92, v93
	s_xor_b32 s13, exec_lo, s13
; %bb.7003:                             ;   in Loop: Header=BB6_6112 Depth=3
	s_delay_alu instid0(VALU_DEP_2) | instskip(SKIP_2) | instid1(VALU_DEP_2)
	v_cmp_lt_u32_e32 vcc_lo, 0xffffff, v91
	v_sub_nc_u32_e32 v9, v92, v93
	v_cndmask_b32_e64 v92, 0, 1, vcc_lo
	v_add_co_ci_u32_e32 v9, vcc_lo, 0, v9, vcc_lo
	s_delay_alu instid0(VALU_DEP_2)
	v_lshrrev_b32_e32 v91, v92, v91
; %bb.7004:                             ;   in Loop: Header=BB6_6112 Depth=3
	s_and_not1_saveexec_b32 s13, s13
; %bb.7005:                             ;   in Loop: Header=BB6_6112 Depth=3
	s_delay_alu instid0(VALU_DEP_1)
	v_bfe_u32 v9, v91, 23, 1
; %bb.7006:                             ;   in Loop: Header=BB6_6112 Depth=3
	s_or_b32 exec_lo, exec_lo, s13
	v_lshrrev_b32_e32 v91, 20, v91
	s_delay_alu instid0(VALU_DEP_2) | instskip(SKIP_2) | instid1(VALU_DEP_2)
	v_cmp_gt_i32_e32 vcc_lo, 16, v9
	v_min_i32_e32 v92, 15, v9
	v_lshrrev_b32_e32 v13, 24, v13
	v_dual_cndmask_b32 v91, 7, v91 :: v_dual_lshlrev_b32 v92, 3, v92
	s_delay_alu instid0(VALU_DEP_2) | instskip(NEXT) | instid1(VALU_DEP_2)
	v_and_b32_e32 v13, 0x80, v13
	v_or_b32_e32 v9, v9, v91
	v_and_b32_e32 v93, 7, v91
	s_delay_alu instid0(VALU_DEP_2) | instskip(SKIP_1) | instid1(VALU_DEP_1)
	v_cmp_ne_u32_e32 vcc_lo, 0, v9
	v_and_b32_e32 v92, 0xf8, v92
	v_or3_b32 v13, v13, v92, v93
	s_delay_alu instid0(VALU_DEP_1) | instskip(NEXT) | instid1(VALU_DEP_1)
	v_lshlrev_b32_e32 v13, 8, v13
	v_cndmask_b32_e32 v9, 0, v13, vcc_lo
.LBB6_7007:                             ;   in Loop: Header=BB6_6112 Depth=3
	s_or_b32 exec_lo, exec_lo, s17
.LBB6_7008:                             ;   in Loop: Header=BB6_6112 Depth=3
	s_delay_alu instid0(SALU_CYCLE_1) | instskip(SKIP_3) | instid1(VALU_DEP_1)
	s_or_b32 exec_lo, exec_lo, s16
	v_and_b32_e32 v91, 0xff, v14
	s_mov_b32 s13, 0
	s_mov_b32 s17, exec_lo
                                        ; implicit-def: $sgpr16
	v_cmpx_lt_i16_e32 0x7f, v91
	s_xor_b32 s17, exec_lo, s17
	s_cbranch_execnz .LBB6_7582
; %bb.7009:                             ;   in Loop: Header=BB6_6112 Depth=3
	s_or_saveexec_b32 s17, s17
	v_mov_b32_e32 v13, s16
	s_xor_b32 exec_lo, exec_lo, s17
	s_cbranch_execnz .LBB6_7585
.LBB6_7010:                             ;   in Loop: Header=BB6_6112 Depth=3
	s_or_b32 exec_lo, exec_lo, s17
	s_and_saveexec_b32 s16, s13
	s_cbranch_execz .LBB6_7012
.LBB6_7011:                             ;   in Loop: Header=BB6_6112 Depth=3
	v_and_b32_e32 v13, 7, v14
	v_bfe_u32 v93, v14, 3, 4
	s_delay_alu instid0(VALU_DEP_2) | instskip(NEXT) | instid1(VALU_DEP_2)
	v_clz_i32_u32_e32 v91, v13
	v_cmp_eq_u32_e32 vcc_lo, 0, v93
	s_delay_alu instid0(VALU_DEP_2) | instskip(NEXT) | instid1(VALU_DEP_1)
	v_min_u32_e32 v91, 32, v91
	v_subrev_nc_u32_e32 v92, 28, v91
	v_sub_nc_u32_e32 v91, 29, v91
	s_delay_alu instid0(VALU_DEP_1) | instskip(NEXT) | instid1(VALU_DEP_1)
	v_dual_cndmask_b32 v91, v93, v91 :: v_dual_lshlrev_b32 v92, v92, v14
	v_and_b32_e32 v92, 7, v92
	v_lshlrev_b32_e32 v94, 24, v14
	s_delay_alu instid0(VALU_DEP_3) | instskip(NEXT) | instid1(VALU_DEP_2)
	v_lshl_add_u32 v91, v91, 23, 0x3b800000
	v_dual_cndmask_b32 v13, v13, v92 :: v_dual_and_b32 v92, 0x80000000, v94
	s_delay_alu instid0(VALU_DEP_1) | instskip(NEXT) | instid1(VALU_DEP_1)
	v_lshlrev_b32_e32 v13, 20, v13
	v_or3_b32 v13, v92, v91, v13
.LBB6_7012:                             ;   in Loop: Header=BB6_6112 Depth=3
	s_or_b32 exec_lo, exec_lo, s16
	v_and_b32_e32 v92, 0xff, v10
	s_mov_b32 s13, 0
	s_mov_b32 s17, exec_lo
                                        ; implicit-def: $sgpr16
	s_delay_alu instid0(VALU_DEP_1)
	v_cmpx_lt_i16_e32 0x7f, v92
	s_xor_b32 s17, exec_lo, s17
	s_cbranch_execnz .LBB6_7586
; %bb.7013:                             ;   in Loop: Header=BB6_6112 Depth=3
	s_or_saveexec_b32 s17, s17
	v_mov_b32_e32 v91, s16
	s_xor_b32 exec_lo, exec_lo, s17
	s_cbranch_execnz .LBB6_7589
.LBB6_7014:                             ;   in Loop: Header=BB6_6112 Depth=3
	s_or_b32 exec_lo, exec_lo, s17
	s_and_saveexec_b32 s16, s13
	s_cbranch_execz .LBB6_7016
.LBB6_7015:                             ;   in Loop: Header=BB6_6112 Depth=3
	v_bfe_u32 v94, v10, 3, 4
	v_lshlrev_b32_e32 v95, 24, v10
	s_delay_alu instid0(VALU_DEP_2) | instskip(SKIP_1) | instid1(VALU_DEP_1)
	v_cmp_eq_u32_e32 vcc_lo, 0, v94
	v_and_b32_e32 v91, 7, v10
	v_clz_i32_u32_e32 v92, v91
	s_delay_alu instid0(VALU_DEP_1) | instskip(NEXT) | instid1(VALU_DEP_1)
	v_min_u32_e32 v92, 32, v92
	v_subrev_nc_u32_e32 v93, 28, v92
	v_sub_nc_u32_e32 v92, 29, v92
	s_delay_alu instid0(VALU_DEP_1) | instskip(NEXT) | instid1(VALU_DEP_1)
	v_dual_cndmask_b32 v92, v94, v92 :: v_dual_lshlrev_b32 v93, v93, v10
	v_and_b32_e32 v93, 7, v93
	s_delay_alu instid0(VALU_DEP_2) | instskip(NEXT) | instid1(VALU_DEP_2)
	v_lshl_add_u32 v92, v92, 23, 0x3b800000
	v_cndmask_b32_e32 v91, v91, v93, vcc_lo
	v_and_b32_e32 v93, 0x80000000, v95
	s_delay_alu instid0(VALU_DEP_2) | instskip(NEXT) | instid1(VALU_DEP_1)
	v_lshlrev_b32_e32 v91, 20, v91
	v_or3_b32 v91, v93, v92, v91
.LBB6_7016:                             ;   in Loop: Header=BB6_6112 Depth=3
	s_or_b32 exec_lo, exec_lo, s16
	s_delay_alu instid0(VALU_DEP_1) | instskip(NEXT) | instid1(VALU_DEP_1)
	v_add_f32_e32 v91, v13, v91
	v_and_b32_e32 v13, 0x7f800000, v91
	s_delay_alu instid0(VALU_DEP_1)
	v_cmp_ne_u32_e32 vcc_lo, 0x7f800000, v13
	v_mov_b32_e32 v13, 0x80
	s_and_saveexec_b32 s16, vcc_lo
	s_cbranch_execz .LBB6_7024
; %bb.7017:                             ;   in Loop: Header=BB6_6112 Depth=3
	v_mov_b32_e32 v13, 0
	s_mov_b32 s17, exec_lo
	v_cmpx_ne_u32_e32 0, v91
	s_cbranch_execz .LBB6_7023
; %bb.7018:                             ;   in Loop: Header=BB6_6112 Depth=3
	v_bfe_u32 v13, v91, 23, 8
	s_delay_alu instid0(VALU_DEP_1) | instskip(SKIP_1) | instid1(VALU_DEP_2)
	v_sub_nc_u32_e32 v93, 0x78, v13
	v_cmp_gt_u32_e32 vcc_lo, 0x79, v13
	v_dual_cndmask_b32 v93, 0, v93 :: v_dual_and_b32 v92, 0x7fffff, v91
	s_delay_alu instid0(VALU_DEP_1) | instskip(SKIP_2) | instid1(VALU_DEP_4)
	v_or_b32_e32 v94, 0x800000, v92
	v_cmp_eq_u32_e32 vcc_lo, 0, v13
	v_add_nc_u32_e32 v13, 0xffffff89, v13
	v_cndmask_b32_e64 v93, v93, 0x77, vcc_lo
	s_delay_alu instid0(VALU_DEP_4) | instskip(NEXT) | instid1(VALU_DEP_3)
	v_cndmask_b32_e32 v92, v94, v92, vcc_lo
	v_cndmask_b32_e64 v13, v13, 0xffffff8a, vcc_lo
	s_delay_alu instid0(VALU_DEP_3) | instskip(NEXT) | instid1(VALU_DEP_3)
	v_lshl_add_u32 v94, 0x100000, v93, -1
	v_lshrrev_b32_e32 v95, v93, v92
	v_lshlrev_b32_e64 v105, v93, 0x80000
	s_delay_alu instid0(VALU_DEP_4) | instskip(NEXT) | instid1(VALU_DEP_4)
	v_add_nc_u32_e32 v93, v93, v13
	v_and_b32_e32 v92, v94, v92
	s_delay_alu instid0(VALU_DEP_4) | instskip(NEXT) | instid1(VALU_DEP_2)
	v_bfe_u32 v104, v95, 20, 1
	v_cmp_eq_u32_e64 s13, v92, v105
	s_delay_alu instid0(VALU_DEP_2) | instskip(NEXT) | instid1(VALU_DEP_1)
	v_add_nc_u32_e32 v94, -1, v104
	v_cndmask_b32_e64 v92, 0, v94, s13
	v_lshrrev_b32_e32 v94, 23, v95
	s_mov_b32 s13, exec_lo
	s_delay_alu instid0(VALU_DEP_2) | instskip(NEXT) | instid1(VALU_DEP_2)
	v_add_nc_u32_e32 v92, v92, v95
	v_xor_b32_e32 v94, 1, v94
	s_delay_alu instid0(VALU_DEP_2) | instskip(NEXT) | instid1(VALU_DEP_1)
	v_and_b32_e32 v13, 0xfffff, v92
	v_add_nc_u32_e32 v92, v13, v95
                                        ; implicit-def: $vgpr13
	s_delay_alu instid0(VALU_DEP_3)
	v_cmpx_ne_u32_e64 v93, v94
	s_xor_b32 s13, exec_lo, s13
; %bb.7019:                             ;   in Loop: Header=BB6_6112 Depth=3
	s_delay_alu instid0(VALU_DEP_2) | instskip(SKIP_2) | instid1(VALU_DEP_2)
	v_cmp_lt_u32_e32 vcc_lo, 0xffffff, v92
	v_sub_nc_u32_e32 v13, v93, v94
	v_cndmask_b32_e64 v93, 0, 1, vcc_lo
	v_add_co_ci_u32_e32 v13, vcc_lo, 0, v13, vcc_lo
	s_delay_alu instid0(VALU_DEP_2)
	v_lshrrev_b32_e32 v92, v93, v92
; %bb.7020:                             ;   in Loop: Header=BB6_6112 Depth=3
	s_and_not1_saveexec_b32 s13, s13
; %bb.7021:                             ;   in Loop: Header=BB6_6112 Depth=3
	s_delay_alu instid0(VALU_DEP_1)
	v_bfe_u32 v13, v92, 23, 1
; %bb.7022:                             ;   in Loop: Header=BB6_6112 Depth=3
	s_or_b32 exec_lo, exec_lo, s13
	v_lshrrev_b32_e32 v92, 20, v92
	s_delay_alu instid0(VALU_DEP_2) | instskip(SKIP_2) | instid1(VALU_DEP_2)
	v_cmp_gt_i32_e32 vcc_lo, 16, v13
	v_lshrrev_b32_e32 v91, 24, v91
	v_min_i32_e32 v93, 15, v13
	v_dual_cndmask_b32 v92, 7, v92 :: v_dual_and_b32 v91, 0x80, v91
	s_delay_alu instid0(VALU_DEP_2) | instskip(NEXT) | instid1(VALU_DEP_2)
	v_lshlrev_b32_e32 v93, 3, v93
	v_or_b32_e32 v13, v13, v92
	s_delay_alu instid0(VALU_DEP_1) | instskip(SKIP_1) | instid1(VALU_DEP_1)
	v_cmp_ne_u32_e32 vcc_lo, 0, v13
	v_and_b32_e32 v94, 7, v92
	v_or3_b32 v91, v93, v91, v94
	s_delay_alu instid0(VALU_DEP_1)
	v_cndmask_b32_e32 v13, 0, v91, vcc_lo
.LBB6_7023:                             ;   in Loop: Header=BB6_6112 Depth=3
	s_or_b32 exec_lo, exec_lo, s17
.LBB6_7024:                             ;   in Loop: Header=BB6_6112 Depth=3
	s_delay_alu instid0(SALU_CYCLE_1) | instskip(SKIP_3) | instid1(VALU_DEP_1)
	s_or_b32 exec_lo, exec_lo, s16
	v_lshrrev_b16 v92, 8, v14
	s_mov_b32 s13, 0
	s_mov_b32 s17, exec_lo
                                        ; implicit-def: $sgpr16
	v_cmpx_lt_i16_e32 0x7f, v92
	s_xor_b32 s17, exec_lo, s17
	s_cbranch_execnz .LBB6_7590
; %bb.7025:                             ;   in Loop: Header=BB6_6112 Depth=3
	s_or_saveexec_b32 s17, s17
	v_mov_b32_e32 v91, s16
	s_xor_b32 exec_lo, exec_lo, s17
	s_cbranch_execnz .LBB6_7593
.LBB6_7026:                             ;   in Loop: Header=BB6_6112 Depth=3
	s_or_b32 exec_lo, exec_lo, s17
	s_and_saveexec_b32 s16, s13
	s_cbranch_execz .LBB6_7028
.LBB6_7027:                             ;   in Loop: Header=BB6_6112 Depth=3
	v_and_b32_e32 v91, 0xffff, v92
	s_delay_alu instid0(VALU_DEP_1) | instskip(NEXT) | instid1(VALU_DEP_1)
	v_and_b32_e32 v93, 7, v91
	v_clz_i32_u32_e32 v94, v93
	s_delay_alu instid0(VALU_DEP_1) | instskip(NEXT) | instid1(VALU_DEP_1)
	v_min_u32_e32 v94, 32, v94
	v_subrev_nc_u32_e32 v95, 28, v94
	v_sub_nc_u32_e32 v94, 29, v94
	s_delay_alu instid0(VALU_DEP_2) | instskip(SKIP_1) | instid1(VALU_DEP_2)
	v_lshlrev_b32_e32 v95, v95, v91
	v_bfe_u32 v91, v91, 3, 4
	v_and_b32_e32 v95, 7, v95
	s_delay_alu instid0(VALU_DEP_2) | instskip(SKIP_1) | instid1(VALU_DEP_1)
	v_cmp_eq_u32_e32 vcc_lo, 0, v91
	v_dual_cndmask_b32 v91, v91, v94 :: v_dual_lshlrev_b32 v92, 24, v92
	v_dual_cndmask_b32 v93, v93, v95 :: v_dual_and_b32 v92, 0x80000000, v92
	s_delay_alu instid0(VALU_DEP_2) | instskip(NEXT) | instid1(VALU_DEP_2)
	v_lshl_add_u32 v91, v91, 23, 0x3b800000
	v_lshlrev_b32_e32 v93, 20, v93
	s_delay_alu instid0(VALU_DEP_1)
	v_or3_b32 v91, v92, v91, v93
.LBB6_7028:                             ;   in Loop: Header=BB6_6112 Depth=3
	s_or_b32 exec_lo, exec_lo, s16
	v_lshrrev_b16 v92, 8, v10
	s_mov_b32 s13, 0
	s_mov_b32 s17, exec_lo
                                        ; implicit-def: $sgpr16
	s_delay_alu instid0(VALU_DEP_1)
	v_cmpx_lt_i16_e32 0x7f, v92
	s_xor_b32 s17, exec_lo, s17
	s_cbranch_execnz .LBB6_7594
; %bb.7029:                             ;   in Loop: Header=BB6_6112 Depth=3
	s_or_saveexec_b32 s17, s17
	v_mov_b32_e32 v93, s16
	s_xor_b32 exec_lo, exec_lo, s17
	s_cbranch_execnz .LBB6_7597
.LBB6_7030:                             ;   in Loop: Header=BB6_6112 Depth=3
	s_or_b32 exec_lo, exec_lo, s17
	s_and_saveexec_b32 s16, s13
	s_cbranch_execz .LBB6_7032
.LBB6_7031:                             ;   in Loop: Header=BB6_6112 Depth=3
	v_and_b32_e32 v93, 0xffff, v92
	v_lshlrev_b32_e32 v92, 24, v92
	s_delay_alu instid0(VALU_DEP_2) | instskip(NEXT) | instid1(VALU_DEP_2)
	v_and_b32_e32 v94, 7, v93
	v_and_b32_e32 v92, 0x80000000, v92
	s_delay_alu instid0(VALU_DEP_2) | instskip(NEXT) | instid1(VALU_DEP_1)
	v_clz_i32_u32_e32 v95, v94
	v_min_u32_e32 v95, 32, v95
	s_delay_alu instid0(VALU_DEP_1) | instskip(SKIP_1) | instid1(VALU_DEP_2)
	v_subrev_nc_u32_e32 v104, 28, v95
	v_sub_nc_u32_e32 v95, 29, v95
	v_lshlrev_b32_e32 v104, v104, v93
	v_bfe_u32 v93, v93, 3, 4
	s_delay_alu instid0(VALU_DEP_2) | instskip(NEXT) | instid1(VALU_DEP_2)
	v_and_b32_e32 v104, 7, v104
	v_cmp_eq_u32_e32 vcc_lo, 0, v93
	s_delay_alu instid0(VALU_DEP_2) | instskip(NEXT) | instid1(VALU_DEP_1)
	v_dual_cndmask_b32 v93, v93, v95 :: v_dual_cndmask_b32 v94, v94, v104
	v_lshl_add_u32 v93, v93, 23, 0x3b800000
	s_delay_alu instid0(VALU_DEP_2) | instskip(NEXT) | instid1(VALU_DEP_1)
	v_lshlrev_b32_e32 v94, 20, v94
	v_or3_b32 v93, v92, v93, v94
.LBB6_7032:                             ;   in Loop: Header=BB6_6112 Depth=3
	s_or_b32 exec_lo, exec_lo, s16
	s_delay_alu instid0(VALU_DEP_1) | instskip(NEXT) | instid1(VALU_DEP_1)
	v_add_f32_e32 v92, v91, v93
	v_and_b32_e32 v91, 0x7f800000, v92
	s_delay_alu instid0(VALU_DEP_1)
	v_cmp_ne_u32_e32 vcc_lo, 0x7f800000, v91
	v_mov_b32_e32 v91, 0x80
	s_and_saveexec_b32 s16, vcc_lo
	s_cbranch_execz .LBB6_7040
; %bb.7033:                             ;   in Loop: Header=BB6_6112 Depth=3
	v_mov_b32_e32 v91, 0
	s_mov_b32 s17, exec_lo
	v_cmpx_ne_u32_e32 0, v92
	s_cbranch_execz .LBB6_7039
; %bb.7034:                             ;   in Loop: Header=BB6_6112 Depth=3
	v_bfe_u32 v91, v92, 23, 8
	s_delay_alu instid0(VALU_DEP_1) | instskip(SKIP_1) | instid1(VALU_DEP_2)
	v_sub_nc_u32_e32 v94, 0x78, v91
	v_cmp_gt_u32_e32 vcc_lo, 0x79, v91
	v_dual_cndmask_b32 v94, 0, v94 :: v_dual_and_b32 v93, 0x7fffff, v92
	s_delay_alu instid0(VALU_DEP_1) | instskip(SKIP_2) | instid1(VALU_DEP_4)
	v_or_b32_e32 v95, 0x800000, v93
	v_cmp_eq_u32_e32 vcc_lo, 0, v91
	v_add_nc_u32_e32 v91, 0xffffff89, v91
	v_cndmask_b32_e64 v94, v94, 0x77, vcc_lo
	s_delay_alu instid0(VALU_DEP_2) | instskip(SKIP_1) | instid1(VALU_DEP_3)
	v_cndmask_b32_e64 v91, v91, 0xffffff8a, vcc_lo
	v_cndmask_b32_e32 v93, v95, v93, vcc_lo
	v_lshl_add_u32 v95, 0x100000, v94, -1
	v_lshlrev_b32_e64 v106, v94, 0x80000
	s_delay_alu instid0(VALU_DEP_3) | instskip(SKIP_1) | instid1(VALU_DEP_4)
	v_lshrrev_b32_e32 v104, v94, v93
	v_add_nc_u32_e32 v94, v94, v91
	v_and_b32_e32 v93, v95, v93
	s_delay_alu instid0(VALU_DEP_3) | instskip(NEXT) | instid1(VALU_DEP_2)
	v_bfe_u32 v105, v104, 20, 1
	v_cmp_eq_u32_e64 s13, v93, v106
	s_delay_alu instid0(VALU_DEP_2) | instskip(NEXT) | instid1(VALU_DEP_1)
	v_add_nc_u32_e32 v95, -1, v105
	v_cndmask_b32_e64 v93, 0, v95, s13
	v_lshrrev_b32_e32 v95, 23, v104
	s_mov_b32 s13, exec_lo
	s_delay_alu instid0(VALU_DEP_2) | instskip(NEXT) | instid1(VALU_DEP_2)
	v_add_nc_u32_e32 v93, v93, v104
	v_xor_b32_e32 v95, 1, v95
	s_delay_alu instid0(VALU_DEP_2) | instskip(NEXT) | instid1(VALU_DEP_1)
	v_and_b32_e32 v91, 0xfffff, v93
	v_add_nc_u32_e32 v93, v91, v104
                                        ; implicit-def: $vgpr91
	s_delay_alu instid0(VALU_DEP_3)
	v_cmpx_ne_u32_e64 v94, v95
	s_xor_b32 s13, exec_lo, s13
; %bb.7035:                             ;   in Loop: Header=BB6_6112 Depth=3
	s_delay_alu instid0(VALU_DEP_2) | instskip(SKIP_2) | instid1(VALU_DEP_2)
	v_cmp_lt_u32_e32 vcc_lo, 0xffffff, v93
	v_sub_nc_u32_e32 v91, v94, v95
	v_cndmask_b32_e64 v94, 0, 1, vcc_lo
	v_add_co_ci_u32_e32 v91, vcc_lo, 0, v91, vcc_lo
	s_delay_alu instid0(VALU_DEP_2)
	v_lshrrev_b32_e32 v93, v94, v93
; %bb.7036:                             ;   in Loop: Header=BB6_6112 Depth=3
	s_and_not1_saveexec_b32 s13, s13
; %bb.7037:                             ;   in Loop: Header=BB6_6112 Depth=3
	s_delay_alu instid0(VALU_DEP_1)
	v_bfe_u32 v91, v93, 23, 1
; %bb.7038:                             ;   in Loop: Header=BB6_6112 Depth=3
	s_or_b32 exec_lo, exec_lo, s13
	v_lshrrev_b32_e32 v93, 20, v93
	s_delay_alu instid0(VALU_DEP_2) | instskip(SKIP_2) | instid1(VALU_DEP_2)
	v_cmp_gt_i32_e32 vcc_lo, 16, v91
	v_lshrrev_b32_e32 v92, 24, v92
	v_min_i32_e32 v94, 15, v91
	v_dual_cndmask_b32 v93, 7, v93 :: v_dual_and_b32 v92, 0x80, v92
	s_delay_alu instid0(VALU_DEP_1) | instskip(SKIP_1) | instid1(VALU_DEP_2)
	v_or_b32_e32 v91, v91, v93
	v_and_b32_e32 v95, 7, v93
	v_cmp_ne_u32_e32 vcc_lo, 0, v91
	v_lshlrev_b32_e32 v94, 3, v94
	s_delay_alu instid0(VALU_DEP_1) | instskip(NEXT) | instid1(VALU_DEP_1)
	v_or3_b32 v92, v94, v92, v95
	v_cndmask_b32_e32 v91, 0, v92, vcc_lo
.LBB6_7039:                             ;   in Loop: Header=BB6_6112 Depth=3
	s_or_b32 exec_lo, exec_lo, s17
.LBB6_7040:                             ;   in Loop: Header=BB6_6112 Depth=3
	s_delay_alu instid0(SALU_CYCLE_1) | instskip(SKIP_3) | instid1(VALU_DEP_1)
	s_or_b32 exec_lo, exec_lo, s16
	v_lshrrev_b32_e32 v93, 16, v14
	s_mov_b32 s13, 0
	s_mov_b32 s17, exec_lo
                                        ; implicit-def: $sgpr16
	v_and_b32_e32 v94, 0xff, v93
	s_delay_alu instid0(VALU_DEP_1)
	v_cmpx_lt_i16_e32 0x7f, v94
	s_xor_b32 s17, exec_lo, s17
	s_cbranch_execnz .LBB6_7598
; %bb.7041:                             ;   in Loop: Header=BB6_6112 Depth=3
	s_or_saveexec_b32 s17, s17
	v_mov_b32_e32 v92, s16
	s_xor_b32 exec_lo, exec_lo, s17
	s_cbranch_execnz .LBB6_7601
.LBB6_7042:                             ;   in Loop: Header=BB6_6112 Depth=3
	s_or_b32 exec_lo, exec_lo, s17
	s_and_saveexec_b32 s16, s13
	s_cbranch_execz .LBB6_7044
.LBB6_7043:                             ;   in Loop: Header=BB6_6112 Depth=3
	v_bfe_u32 v92, v14, 16, 3
	v_lshlrev_b32_e32 v104, 8, v14
	s_delay_alu instid0(VALU_DEP_2) | instskip(NEXT) | instid1(VALU_DEP_1)
	v_clz_i32_u32_e32 v94, v92
	v_min_u32_e32 v94, 32, v94
	s_delay_alu instid0(VALU_DEP_1) | instskip(SKIP_1) | instid1(VALU_DEP_2)
	v_subrev_nc_u32_e32 v95, 28, v94
	v_sub_nc_u32_e32 v94, 29, v94
	v_lshlrev_b32_e32 v93, v95, v93
	v_bfe_u32 v95, v14, 19, 4
	s_delay_alu instid0(VALU_DEP_1) | instskip(NEXT) | instid1(VALU_DEP_3)
	v_cmp_eq_u32_e32 vcc_lo, 0, v95
	v_dual_cndmask_b32 v94, v95, v94 :: v_dual_and_b32 v93, 7, v93
	s_delay_alu instid0(VALU_DEP_1) | instskip(NEXT) | instid1(VALU_DEP_2)
	v_dual_cndmask_b32 v92, v92, v93 :: v_dual_and_b32 v93, 0x80000000, v104
	v_lshl_add_u32 v94, v94, 23, 0x3b800000
	s_delay_alu instid0(VALU_DEP_2) | instskip(NEXT) | instid1(VALU_DEP_1)
	v_lshlrev_b32_e32 v92, 20, v92
	v_or3_b32 v92, v93, v94, v92
.LBB6_7044:                             ;   in Loop: Header=BB6_6112 Depth=3
	s_or_b32 exec_lo, exec_lo, s16
	v_lshrrev_b32_e32 v93, 16, v10
	s_mov_b32 s13, 0
	s_mov_b32 s17, exec_lo
                                        ; implicit-def: $sgpr16
	s_delay_alu instid0(VALU_DEP_1) | instskip(NEXT) | instid1(VALU_DEP_1)
	v_and_b32_e32 v95, 0xff, v93
	v_cmpx_lt_i16_e32 0x7f, v95
	s_xor_b32 s17, exec_lo, s17
	s_cbranch_execnz .LBB6_7602
; %bb.7045:                             ;   in Loop: Header=BB6_6112 Depth=3
	s_or_saveexec_b32 s17, s17
	v_mov_b32_e32 v94, s16
	s_xor_b32 exec_lo, exec_lo, s17
	s_cbranch_execnz .LBB6_7605
.LBB6_7046:                             ;   in Loop: Header=BB6_6112 Depth=3
	s_or_b32 exec_lo, exec_lo, s17
	s_and_saveexec_b32 s16, s13
	s_cbranch_execz .LBB6_7048
.LBB6_7047:                             ;   in Loop: Header=BB6_6112 Depth=3
	v_bfe_u32 v94, v10, 16, 3
	v_lshlrev_b32_e32 v105, 8, v10
	s_delay_alu instid0(VALU_DEP_2) | instskip(NEXT) | instid1(VALU_DEP_1)
	v_clz_i32_u32_e32 v95, v94
	v_min_u32_e32 v95, 32, v95
	s_delay_alu instid0(VALU_DEP_1) | instskip(SKIP_1) | instid1(VALU_DEP_2)
	v_subrev_nc_u32_e32 v104, 28, v95
	v_sub_nc_u32_e32 v95, 29, v95
	v_lshlrev_b32_e32 v93, v104, v93
	v_bfe_u32 v104, v10, 19, 4
	s_delay_alu instid0(VALU_DEP_2) | instskip(NEXT) | instid1(VALU_DEP_2)
	v_and_b32_e32 v93, 7, v93
	v_cmp_eq_u32_e32 vcc_lo, 0, v104
	v_cndmask_b32_e32 v95, v104, v95, vcc_lo
	s_delay_alu instid0(VALU_DEP_3) | instskip(SKIP_1) | instid1(VALU_DEP_3)
	v_cndmask_b32_e32 v93, v94, v93, vcc_lo
	v_and_b32_e32 v94, 0x80000000, v105
	v_lshl_add_u32 v95, v95, 23, 0x3b800000
	s_delay_alu instid0(VALU_DEP_3) | instskip(NEXT) | instid1(VALU_DEP_1)
	v_lshlrev_b32_e32 v93, 20, v93
	v_or3_b32 v94, v94, v95, v93
.LBB6_7048:                             ;   in Loop: Header=BB6_6112 Depth=3
	s_or_b32 exec_lo, exec_lo, s16
	s_delay_alu instid0(VALU_DEP_1) | instskip(NEXT) | instid1(VALU_DEP_1)
	v_add_f32_e32 v93, v92, v94
	v_and_b32_e32 v92, 0x7f800000, v93
	s_delay_alu instid0(VALU_DEP_1)
	v_cmp_ne_u32_e32 vcc_lo, 0x7f800000, v92
	v_mov_b32_e32 v92, 0x80
	s_and_saveexec_b32 s16, vcc_lo
	s_cbranch_execz .LBB6_7056
; %bb.7049:                             ;   in Loop: Header=BB6_6112 Depth=3
	v_mov_b32_e32 v92, 0
	s_mov_b32 s17, exec_lo
	v_cmpx_ne_u32_e32 0, v93
	s_cbranch_execz .LBB6_7055
; %bb.7050:                             ;   in Loop: Header=BB6_6112 Depth=3
	v_bfe_u32 v92, v93, 23, 8
	s_delay_alu instid0(VALU_DEP_1) | instskip(SKIP_1) | instid1(VALU_DEP_2)
	v_sub_nc_u32_e32 v95, 0x78, v92
	v_cmp_gt_u32_e32 vcc_lo, 0x79, v92
	v_dual_cndmask_b32 v95, 0, v95 :: v_dual_and_b32 v94, 0x7fffff, v93
	s_delay_alu instid0(VALU_DEP_1) | instskip(SKIP_2) | instid1(VALU_DEP_4)
	v_or_b32_e32 v104, 0x800000, v94
	v_cmp_eq_u32_e32 vcc_lo, 0, v92
	v_add_nc_u32_e32 v92, 0xffffff89, v92
	v_cndmask_b32_e64 v95, v95, 0x77, vcc_lo
	s_delay_alu instid0(VALU_DEP_2) | instskip(SKIP_1) | instid1(VALU_DEP_3)
	v_cndmask_b32_e64 v92, v92, 0xffffff8a, vcc_lo
	v_cndmask_b32_e32 v94, v104, v94, vcc_lo
	v_lshl_add_u32 v104, 0x100000, v95, -1
	v_lshlrev_b32_e64 v107, v95, 0x80000
	s_delay_alu instid0(VALU_DEP_3) | instskip(SKIP_1) | instid1(VALU_DEP_4)
	v_lshrrev_b32_e32 v105, v95, v94
	v_add_nc_u32_e32 v95, v95, v92
	v_and_b32_e32 v94, v104, v94
	s_delay_alu instid0(VALU_DEP_3) | instskip(NEXT) | instid1(VALU_DEP_2)
	v_bfe_u32 v106, v105, 20, 1
	v_cmp_eq_u32_e64 s13, v94, v107
	s_delay_alu instid0(VALU_DEP_2) | instskip(NEXT) | instid1(VALU_DEP_1)
	v_add_nc_u32_e32 v104, -1, v106
	v_cndmask_b32_e64 v94, 0, v104, s13
	v_lshrrev_b32_e32 v104, 23, v105
	s_mov_b32 s13, exec_lo
	s_delay_alu instid0(VALU_DEP_2) | instskip(NEXT) | instid1(VALU_DEP_2)
	v_add_nc_u32_e32 v94, v94, v105
	v_xor_b32_e32 v104, 1, v104
	s_delay_alu instid0(VALU_DEP_2) | instskip(NEXT) | instid1(VALU_DEP_1)
	v_and_b32_e32 v92, 0xfffff, v94
	v_add_nc_u32_e32 v94, v92, v105
                                        ; implicit-def: $vgpr92
	s_delay_alu instid0(VALU_DEP_3)
	v_cmpx_ne_u32_e64 v95, v104
	s_xor_b32 s13, exec_lo, s13
; %bb.7051:                             ;   in Loop: Header=BB6_6112 Depth=3
	s_delay_alu instid0(VALU_DEP_2) | instskip(SKIP_2) | instid1(VALU_DEP_2)
	v_cmp_lt_u32_e32 vcc_lo, 0xffffff, v94
	v_sub_nc_u32_e32 v92, v95, v104
	v_cndmask_b32_e64 v95, 0, 1, vcc_lo
	v_add_co_ci_u32_e32 v92, vcc_lo, 0, v92, vcc_lo
	s_delay_alu instid0(VALU_DEP_2)
	v_lshrrev_b32_e32 v94, v95, v94
; %bb.7052:                             ;   in Loop: Header=BB6_6112 Depth=3
	s_and_not1_saveexec_b32 s13, s13
; %bb.7053:                             ;   in Loop: Header=BB6_6112 Depth=3
	s_delay_alu instid0(VALU_DEP_1)
	v_bfe_u32 v92, v94, 23, 1
; %bb.7054:                             ;   in Loop: Header=BB6_6112 Depth=3
	s_or_b32 exec_lo, exec_lo, s13
	v_lshrrev_b32_e32 v94, 20, v94
	s_delay_alu instid0(VALU_DEP_2) | instskip(SKIP_2) | instid1(VALU_DEP_2)
	v_cmp_gt_i32_e32 vcc_lo, 16, v92
	v_lshrrev_b32_e32 v93, 24, v93
	v_min_i32_e32 v95, 15, v92
	v_dual_cndmask_b32 v94, 7, v94 :: v_dual_and_b32 v93, 0x80, v93
	s_delay_alu instid0(VALU_DEP_1) | instskip(SKIP_1) | instid1(VALU_DEP_2)
	v_or_b32_e32 v92, v92, v94
	v_and_b32_e32 v104, 7, v94
	v_cmp_ne_u32_e32 vcc_lo, 0, v92
	v_lshlrev_b32_e32 v95, 3, v95
	s_delay_alu instid0(VALU_DEP_1) | instskip(NEXT) | instid1(VALU_DEP_1)
	v_or3_b32 v93, v95, v93, v104
	v_cndmask_b32_e32 v92, 0, v93, vcc_lo
.LBB6_7055:                             ;   in Loop: Header=BB6_6112 Depth=3
	s_or_b32 exec_lo, exec_lo, s17
.LBB6_7056:                             ;   in Loop: Header=BB6_6112 Depth=3
	s_delay_alu instid0(SALU_CYCLE_1) | instskip(SKIP_3) | instid1(VALU_DEP_1)
	s_or_b32 exec_lo, exec_lo, s16
	v_lshrrev_b32_e32 v94, 24, v14
	s_mov_b32 s13, 0
	s_mov_b32 s17, exec_lo
                                        ; implicit-def: $sgpr16
	v_cmpx_lt_i16_e32 0x7f, v94
	s_xor_b32 s17, exec_lo, s17
	s_cbranch_execnz .LBB6_7606
; %bb.7057:                             ;   in Loop: Header=BB6_6112 Depth=3
	s_or_saveexec_b32 s17, s17
	v_mov_b32_e32 v93, s16
	s_xor_b32 exec_lo, exec_lo, s17
	s_cbranch_execnz .LBB6_7609
.LBB6_7058:                             ;   in Loop: Header=BB6_6112 Depth=3
	s_or_b32 exec_lo, exec_lo, s17
	s_and_saveexec_b32 s16, s13
	s_cbranch_execz .LBB6_7060
.LBB6_7059:                             ;   in Loop: Header=BB6_6112 Depth=3
	v_bfe_u32 v93, v14, 24, 3
	s_delay_alu instid0(VALU_DEP_1) | instskip(NEXT) | instid1(VALU_DEP_1)
	v_clz_i32_u32_e32 v95, v93
	v_min_u32_e32 v95, 32, v95
	s_delay_alu instid0(VALU_DEP_1) | instskip(SKIP_1) | instid1(VALU_DEP_2)
	v_subrev_nc_u32_e32 v104, 28, v95
	v_sub_nc_u32_e32 v95, 29, v95
	v_lshlrev_b32_e32 v94, v104, v94
	v_bfe_u32 v104, v14, 27, 4
	v_and_b32_e32 v14, 0x80000000, v14
	s_delay_alu instid0(VALU_DEP_2) | instskip(NEXT) | instid1(VALU_DEP_4)
	v_cmp_eq_u32_e32 vcc_lo, 0, v104
	v_dual_cndmask_b32 v95, v104, v95 :: v_dual_and_b32 v94, 7, v94
	s_delay_alu instid0(VALU_DEP_1) | instskip(NEXT) | instid1(VALU_DEP_2)
	v_cndmask_b32_e32 v93, v93, v94, vcc_lo
	v_lshl_add_u32 v94, v95, 23, 0x3b800000
	s_delay_alu instid0(VALU_DEP_2) | instskip(NEXT) | instid1(VALU_DEP_1)
	v_lshlrev_b32_e32 v93, 20, v93
	v_or3_b32 v93, v14, v94, v93
.LBB6_7060:                             ;   in Loop: Header=BB6_6112 Depth=3
	s_or_b32 exec_lo, exec_lo, s16
	v_lshrrev_b32_e32 v14, 24, v10
	s_mov_b32 s13, 0
	s_mov_b32 s17, exec_lo
                                        ; implicit-def: $sgpr16
	s_delay_alu instid0(VALU_DEP_1)
	v_cmpx_lt_i16_e32 0x7f, v14
	s_xor_b32 s17, exec_lo, s17
	s_cbranch_execnz .LBB6_7610
; %bb.7061:                             ;   in Loop: Header=BB6_6112 Depth=3
	s_or_saveexec_b32 s17, s17
	v_mov_b32_e32 v94, s16
	s_xor_b32 exec_lo, exec_lo, s17
	s_cbranch_execnz .LBB6_7613
.LBB6_7062:                             ;   in Loop: Header=BB6_6112 Depth=3
	s_or_b32 exec_lo, exec_lo, s17
	s_and_saveexec_b32 s16, s13
	s_cbranch_execz .LBB6_7064
.LBB6_7063:                             ;   in Loop: Header=BB6_6112 Depth=3
	v_bfe_u32 v94, v10, 24, 3
	s_delay_alu instid0(VALU_DEP_1) | instskip(NEXT) | instid1(VALU_DEP_1)
	v_clz_i32_u32_e32 v95, v94
	v_min_u32_e32 v95, 32, v95
	s_delay_alu instid0(VALU_DEP_1) | instskip(SKIP_1) | instid1(VALU_DEP_2)
	v_subrev_nc_u32_e32 v104, 28, v95
	v_sub_nc_u32_e32 v95, 29, v95
	v_lshlrev_b32_e32 v14, v104, v14
	v_bfe_u32 v104, v10, 27, 4
	v_and_b32_e32 v10, 0x80000000, v10
	s_delay_alu instid0(VALU_DEP_2) | instskip(NEXT) | instid1(VALU_DEP_4)
	v_cmp_eq_u32_e32 vcc_lo, 0, v104
	v_dual_cndmask_b32 v95, v104, v95 :: v_dual_and_b32 v14, 7, v14
	s_delay_alu instid0(VALU_DEP_1) | instskip(NEXT) | instid1(VALU_DEP_2)
	v_cndmask_b32_e32 v14, v94, v14, vcc_lo
	v_lshl_add_u32 v94, v95, 23, 0x3b800000
	s_delay_alu instid0(VALU_DEP_2) | instskip(NEXT) | instid1(VALU_DEP_1)
	v_lshlrev_b32_e32 v14, 20, v14
	v_or3_b32 v94, v10, v94, v14
.LBB6_7064:                             ;   in Loop: Header=BB6_6112 Depth=3
	s_or_b32 exec_lo, exec_lo, s16
	s_delay_alu instid0(VALU_DEP_1) | instskip(NEXT) | instid1(VALU_DEP_1)
	v_add_f32_e32 v14, v93, v94
	v_and_b32_e32 v10, 0x7f800000, v14
	s_delay_alu instid0(VALU_DEP_1)
	v_cmp_ne_u32_e32 vcc_lo, 0x7f800000, v10
	v_mov_b32_e32 v10, 0x80
	s_and_saveexec_b32 s16, vcc_lo
	s_cbranch_execz .LBB6_7072
; %bb.7065:                             ;   in Loop: Header=BB6_6112 Depth=3
	v_mov_b32_e32 v10, 0
	s_mov_b32 s17, exec_lo
	v_cmpx_ne_u32_e32 0, v14
	s_cbranch_execz .LBB6_7071
; %bb.7066:                             ;   in Loop: Header=BB6_6112 Depth=3
	v_bfe_u32 v10, v14, 23, 8
	v_and_b32_e32 v93, 0x7fffff, v14
	s_delay_alu instid0(VALU_DEP_2) | instskip(SKIP_1) | instid1(VALU_DEP_3)
	v_sub_nc_u32_e32 v94, 0x78, v10
	v_cmp_gt_u32_e32 vcc_lo, 0x79, v10
	v_or_b32_e32 v95, 0x800000, v93
	s_delay_alu instid0(VALU_DEP_3) | instskip(SKIP_1) | instid1(VALU_DEP_3)
	v_cndmask_b32_e32 v94, 0, v94, vcc_lo
	v_cmp_eq_u32_e32 vcc_lo, 0, v10
	v_dual_cndmask_b32 v93, v95, v93 :: v_dual_add_nc_u32 v10, 0xffffff89, v10
	s_delay_alu instid0(VALU_DEP_3) | instskip(NEXT) | instid1(VALU_DEP_2)
	v_cndmask_b32_e64 v94, v94, 0x77, vcc_lo
	v_cndmask_b32_e64 v10, v10, 0xffffff8a, vcc_lo
	s_delay_alu instid0(VALU_DEP_2) | instskip(SKIP_2) | instid1(VALU_DEP_4)
	v_lshrrev_b32_e32 v104, v94, v93
	v_lshl_add_u32 v95, 0x100000, v94, -1
	v_lshlrev_b32_e64 v106, v94, 0x80000
	v_add_nc_u32_e32 v94, v94, v10
	s_delay_alu instid0(VALU_DEP_4) | instskip(NEXT) | instid1(VALU_DEP_4)
	v_bfe_u32 v105, v104, 20, 1
	v_and_b32_e32 v93, v95, v93
	s_delay_alu instid0(VALU_DEP_2) | instskip(NEXT) | instid1(VALU_DEP_2)
	v_add_nc_u32_e32 v95, -1, v105
	v_cmp_eq_u32_e64 s13, v93, v106
	s_delay_alu instid0(VALU_DEP_1) | instskip(SKIP_2) | instid1(VALU_DEP_2)
	v_cndmask_b32_e64 v93, 0, v95, s13
	v_lshrrev_b32_e32 v95, 23, v104
	s_mov_b32 s13, exec_lo
	v_add_nc_u32_e32 v93, v93, v104
	s_delay_alu instid0(VALU_DEP_2) | instskip(NEXT) | instid1(VALU_DEP_2)
	v_xor_b32_e32 v95, 1, v95
	v_and_b32_e32 v10, 0xfffff, v93
	s_delay_alu instid0(VALU_DEP_1) | instskip(NEXT) | instid1(VALU_DEP_3)
	v_add_nc_u32_e32 v93, v10, v104
                                        ; implicit-def: $vgpr10
	v_cmpx_ne_u32_e64 v94, v95
	s_xor_b32 s13, exec_lo, s13
; %bb.7067:                             ;   in Loop: Header=BB6_6112 Depth=3
	s_delay_alu instid0(VALU_DEP_2) | instskip(SKIP_2) | instid1(VALU_DEP_2)
	v_cmp_lt_u32_e32 vcc_lo, 0xffffff, v93
	v_sub_nc_u32_e32 v10, v94, v95
	v_cndmask_b32_e64 v94, 0, 1, vcc_lo
	v_add_co_ci_u32_e32 v10, vcc_lo, 0, v10, vcc_lo
	s_delay_alu instid0(VALU_DEP_2)
	v_lshrrev_b32_e32 v93, v94, v93
; %bb.7068:                             ;   in Loop: Header=BB6_6112 Depth=3
	s_and_not1_saveexec_b32 s13, s13
; %bb.7069:                             ;   in Loop: Header=BB6_6112 Depth=3
	s_delay_alu instid0(VALU_DEP_1)
	v_bfe_u32 v10, v93, 23, 1
; %bb.7070:                             ;   in Loop: Header=BB6_6112 Depth=3
	s_or_b32 exec_lo, exec_lo, s13
	v_lshrrev_b32_e32 v93, 20, v93
	s_delay_alu instid0(VALU_DEP_2) | instskip(SKIP_2) | instid1(VALU_DEP_2)
	v_cmp_gt_i32_e32 vcc_lo, 16, v10
	v_lshrrev_b32_e32 v14, 24, v14
	v_min_i32_e32 v94, 15, v10
	v_dual_cndmask_b32 v93, 7, v93 :: v_dual_and_b32 v14, 0x80, v14
	s_delay_alu instid0(VALU_DEP_2) | instskip(NEXT) | instid1(VALU_DEP_2)
	v_lshlrev_b32_e32 v94, 3, v94
	v_or_b32_e32 v10, v10, v93
	s_delay_alu instid0(VALU_DEP_1) | instskip(SKIP_1) | instid1(VALU_DEP_1)
	v_cmp_ne_u32_e32 vcc_lo, 0, v10
	v_and_b32_e32 v95, 7, v93
	v_or3_b32 v14, v94, v14, v95
	s_delay_alu instid0(VALU_DEP_1)
	v_cndmask_b32_e32 v10, 0, v14, vcc_lo
.LBB6_7071:                             ;   in Loop: Header=BB6_6112 Depth=3
	s_or_b32 exec_lo, exec_lo, s17
.LBB6_7072:                             ;   in Loop: Header=BB6_6112 Depth=3
	s_delay_alu instid0(SALU_CYCLE_1) | instskip(SKIP_3) | instid1(VALU_DEP_1)
	s_or_b32 exec_lo, exec_lo, s16
	v_and_b32_e32 v93, 0xff, v15
	s_mov_b32 s13, 0
	s_mov_b32 s17, exec_lo
                                        ; implicit-def: $sgpr16
	v_cmpx_lt_i16_e32 0x7f, v93
	s_xor_b32 s17, exec_lo, s17
	s_cbranch_execnz .LBB6_7614
; %bb.7073:                             ;   in Loop: Header=BB6_6112 Depth=3
	s_or_saveexec_b32 s17, s17
	v_mov_b32_e32 v14, s16
	s_xor_b32 exec_lo, exec_lo, s17
	s_cbranch_execnz .LBB6_7617
.LBB6_7074:                             ;   in Loop: Header=BB6_6112 Depth=3
	s_or_b32 exec_lo, exec_lo, s17
	s_and_saveexec_b32 s16, s13
	s_cbranch_execz .LBB6_7076
.LBB6_7075:                             ;   in Loop: Header=BB6_6112 Depth=3
	v_bfe_u32 v95, v15, 3, 4
	v_lshlrev_b32_e32 v104, 24, v15
	s_delay_alu instid0(VALU_DEP_2) | instskip(SKIP_1) | instid1(VALU_DEP_1)
	v_cmp_eq_u32_e32 vcc_lo, 0, v95
	v_and_b32_e32 v14, 7, v15
	v_clz_i32_u32_e32 v93, v14
	s_delay_alu instid0(VALU_DEP_1) | instskip(NEXT) | instid1(VALU_DEP_1)
	v_min_u32_e32 v93, 32, v93
	v_subrev_nc_u32_e32 v94, 28, v93
	v_sub_nc_u32_e32 v93, 29, v93
	s_delay_alu instid0(VALU_DEP_1) | instskip(NEXT) | instid1(VALU_DEP_1)
	v_dual_cndmask_b32 v93, v95, v93 :: v_dual_lshlrev_b32 v94, v94, v15
	v_and_b32_e32 v94, 7, v94
	s_delay_alu instid0(VALU_DEP_2) | instskip(NEXT) | instid1(VALU_DEP_2)
	v_lshl_add_u32 v93, v93, 23, 0x3b800000
	v_cndmask_b32_e32 v14, v14, v94, vcc_lo
	v_and_b32_e32 v94, 0x80000000, v104
	s_delay_alu instid0(VALU_DEP_2) | instskip(NEXT) | instid1(VALU_DEP_1)
	v_lshlrev_b32_e32 v14, 20, v14
	v_or3_b32 v14, v94, v93, v14
.LBB6_7076:                             ;   in Loop: Header=BB6_6112 Depth=3
	s_or_b32 exec_lo, exec_lo, s16
	v_and_b32_e32 v94, 0xff, v11
	s_mov_b32 s13, 0
	s_mov_b32 s17, exec_lo
                                        ; implicit-def: $sgpr16
	s_delay_alu instid0(VALU_DEP_1)
	v_cmpx_lt_i16_e32 0x7f, v94
	s_xor_b32 s17, exec_lo, s17
	s_cbranch_execnz .LBB6_7618
; %bb.7077:                             ;   in Loop: Header=BB6_6112 Depth=3
	s_or_saveexec_b32 s17, s17
	v_mov_b32_e32 v93, s16
	s_xor_b32 exec_lo, exec_lo, s17
	s_cbranch_execnz .LBB6_7621
.LBB6_7078:                             ;   in Loop: Header=BB6_6112 Depth=3
	s_or_b32 exec_lo, exec_lo, s17
	s_and_saveexec_b32 s16, s13
	s_cbranch_execz .LBB6_7080
.LBB6_7079:                             ;   in Loop: Header=BB6_6112 Depth=3
	v_bfe_u32 v104, v11, 3, 4
	v_lshlrev_b32_e32 v105, 24, v11
	s_delay_alu instid0(VALU_DEP_2) | instskip(SKIP_1) | instid1(VALU_DEP_1)
	v_cmp_eq_u32_e32 vcc_lo, 0, v104
	v_and_b32_e32 v93, 7, v11
	v_clz_i32_u32_e32 v94, v93
	s_delay_alu instid0(VALU_DEP_1) | instskip(NEXT) | instid1(VALU_DEP_1)
	v_min_u32_e32 v94, 32, v94
	v_subrev_nc_u32_e32 v95, 28, v94
	v_sub_nc_u32_e32 v94, 29, v94
	s_delay_alu instid0(VALU_DEP_1) | instskip(NEXT) | instid1(VALU_DEP_1)
	v_dual_cndmask_b32 v94, v104, v94 :: v_dual_lshlrev_b32 v95, v95, v11
	v_and_b32_e32 v95, 7, v95
	s_delay_alu instid0(VALU_DEP_2) | instskip(NEXT) | instid1(VALU_DEP_2)
	v_lshl_add_u32 v94, v94, 23, 0x3b800000
	v_cndmask_b32_e32 v93, v93, v95, vcc_lo
	v_and_b32_e32 v95, 0x80000000, v105
	s_delay_alu instid0(VALU_DEP_2) | instskip(NEXT) | instid1(VALU_DEP_1)
	v_lshlrev_b32_e32 v93, 20, v93
	v_or3_b32 v93, v95, v94, v93
.LBB6_7080:                             ;   in Loop: Header=BB6_6112 Depth=3
	s_or_b32 exec_lo, exec_lo, s16
	s_delay_alu instid0(VALU_DEP_1) | instskip(NEXT) | instid1(VALU_DEP_1)
	v_add_f32_e32 v93, v14, v93
	v_and_b32_e32 v14, 0x7f800000, v93
	s_delay_alu instid0(VALU_DEP_1)
	v_cmp_ne_u32_e32 vcc_lo, 0x7f800000, v14
	v_mov_b32_e32 v14, 0x80
	s_and_saveexec_b32 s16, vcc_lo
	s_cbranch_execz .LBB6_7088
; %bb.7081:                             ;   in Loop: Header=BB6_6112 Depth=3
	v_mov_b32_e32 v14, 0
	s_mov_b32 s17, exec_lo
	v_cmpx_ne_u32_e32 0, v93
	s_cbranch_execz .LBB6_7087
; %bb.7082:                             ;   in Loop: Header=BB6_6112 Depth=3
	v_bfe_u32 v14, v93, 23, 8
	s_delay_alu instid0(VALU_DEP_1) | instskip(SKIP_1) | instid1(VALU_DEP_2)
	v_sub_nc_u32_e32 v95, 0x78, v14
	v_cmp_gt_u32_e32 vcc_lo, 0x79, v14
	v_dual_cndmask_b32 v95, 0, v95 :: v_dual_and_b32 v94, 0x7fffff, v93
	s_delay_alu instid0(VALU_DEP_1) | instskip(SKIP_2) | instid1(VALU_DEP_4)
	v_or_b32_e32 v104, 0x800000, v94
	v_cmp_eq_u32_e32 vcc_lo, 0, v14
	v_add_nc_u32_e32 v14, 0xffffff89, v14
	v_cndmask_b32_e64 v95, v95, 0x77, vcc_lo
	s_delay_alu instid0(VALU_DEP_4) | instskip(NEXT) | instid1(VALU_DEP_3)
	v_cndmask_b32_e32 v94, v104, v94, vcc_lo
	v_cndmask_b32_e64 v14, v14, 0xffffff8a, vcc_lo
	s_delay_alu instid0(VALU_DEP_3) | instskip(NEXT) | instid1(VALU_DEP_3)
	v_lshl_add_u32 v104, 0x100000, v95, -1
	v_lshrrev_b32_e32 v105, v95, v94
	v_lshlrev_b32_e64 v107, v95, 0x80000
	s_delay_alu instid0(VALU_DEP_4) | instskip(NEXT) | instid1(VALU_DEP_4)
	v_add_nc_u32_e32 v95, v95, v14
	v_and_b32_e32 v94, v104, v94
	s_delay_alu instid0(VALU_DEP_4) | instskip(NEXT) | instid1(VALU_DEP_2)
	v_bfe_u32 v106, v105, 20, 1
	v_cmp_eq_u32_e64 s13, v94, v107
	s_delay_alu instid0(VALU_DEP_2) | instskip(NEXT) | instid1(VALU_DEP_1)
	v_add_nc_u32_e32 v104, -1, v106
	v_cndmask_b32_e64 v94, 0, v104, s13
	v_lshrrev_b32_e32 v104, 23, v105
	s_mov_b32 s13, exec_lo
	s_delay_alu instid0(VALU_DEP_2) | instskip(NEXT) | instid1(VALU_DEP_2)
	v_add_nc_u32_e32 v94, v94, v105
	v_xor_b32_e32 v104, 1, v104
	s_delay_alu instid0(VALU_DEP_2) | instskip(NEXT) | instid1(VALU_DEP_1)
	v_and_b32_e32 v14, 0xfffff, v94
	v_add_nc_u32_e32 v94, v14, v105
                                        ; implicit-def: $vgpr14
	s_delay_alu instid0(VALU_DEP_3)
	v_cmpx_ne_u32_e64 v95, v104
	s_xor_b32 s13, exec_lo, s13
; %bb.7083:                             ;   in Loop: Header=BB6_6112 Depth=3
	s_delay_alu instid0(VALU_DEP_2) | instskip(SKIP_2) | instid1(VALU_DEP_2)
	v_cmp_lt_u32_e32 vcc_lo, 0xffffff, v94
	v_sub_nc_u32_e32 v14, v95, v104
	v_cndmask_b32_e64 v95, 0, 1, vcc_lo
	v_add_co_ci_u32_e32 v14, vcc_lo, 0, v14, vcc_lo
	s_delay_alu instid0(VALU_DEP_2)
	v_lshrrev_b32_e32 v94, v95, v94
; %bb.7084:                             ;   in Loop: Header=BB6_6112 Depth=3
	s_and_not1_saveexec_b32 s13, s13
; %bb.7085:                             ;   in Loop: Header=BB6_6112 Depth=3
	s_delay_alu instid0(VALU_DEP_1)
	v_bfe_u32 v14, v94, 23, 1
; %bb.7086:                             ;   in Loop: Header=BB6_6112 Depth=3
	s_or_b32 exec_lo, exec_lo, s13
	v_lshrrev_b32_e32 v94, 20, v94
	s_delay_alu instid0(VALU_DEP_2) | instskip(SKIP_2) | instid1(VALU_DEP_2)
	v_cmp_gt_i32_e32 vcc_lo, 16, v14
	v_lshrrev_b32_e32 v93, 24, v93
	v_min_i32_e32 v95, 15, v14
	v_dual_cndmask_b32 v94, 7, v94 :: v_dual_and_b32 v93, 0x80, v93
	s_delay_alu instid0(VALU_DEP_1) | instskip(SKIP_1) | instid1(VALU_DEP_2)
	v_or_b32_e32 v14, v14, v94
	v_and_b32_e32 v104, 7, v94
	v_cmp_ne_u32_e32 vcc_lo, 0, v14
	v_lshlrev_b32_e32 v95, 3, v95
	s_delay_alu instid0(VALU_DEP_1) | instskip(NEXT) | instid1(VALU_DEP_1)
	v_or3_b32 v93, v95, v93, v104
	v_cndmask_b32_e32 v14, 0, v93, vcc_lo
.LBB6_7087:                             ;   in Loop: Header=BB6_6112 Depth=3
	s_or_b32 exec_lo, exec_lo, s17
.LBB6_7088:                             ;   in Loop: Header=BB6_6112 Depth=3
	s_delay_alu instid0(SALU_CYCLE_1) | instskip(SKIP_3) | instid1(VALU_DEP_1)
	s_or_b32 exec_lo, exec_lo, s16
	v_lshrrev_b16 v94, 8, v15
	s_mov_b32 s13, 0
	s_mov_b32 s17, exec_lo
                                        ; implicit-def: $sgpr16
	v_cmpx_lt_i16_e32 0x7f, v94
	s_xor_b32 s17, exec_lo, s17
	s_cbranch_execnz .LBB6_7622
; %bb.7089:                             ;   in Loop: Header=BB6_6112 Depth=3
	s_or_saveexec_b32 s17, s17
	v_mov_b32_e32 v93, s16
	s_xor_b32 exec_lo, exec_lo, s17
	s_cbranch_execnz .LBB6_7625
.LBB6_7090:                             ;   in Loop: Header=BB6_6112 Depth=3
	s_or_b32 exec_lo, exec_lo, s17
	s_and_saveexec_b32 s16, s13
	s_cbranch_execz .LBB6_7092
.LBB6_7091:                             ;   in Loop: Header=BB6_6112 Depth=3
	v_and_b32_e32 v93, 0xffff, v94
	s_delay_alu instid0(VALU_DEP_1) | instskip(NEXT) | instid1(VALU_DEP_1)
	v_and_b32_e32 v95, 7, v93
	v_clz_i32_u32_e32 v104, v95
	s_delay_alu instid0(VALU_DEP_1) | instskip(NEXT) | instid1(VALU_DEP_1)
	v_min_u32_e32 v104, 32, v104
	v_subrev_nc_u32_e32 v105, 28, v104
	v_sub_nc_u32_e32 v104, 29, v104
	s_delay_alu instid0(VALU_DEP_2) | instskip(SKIP_1) | instid1(VALU_DEP_2)
	v_lshlrev_b32_e32 v105, v105, v93
	v_bfe_u32 v93, v93, 3, 4
	v_and_b32_e32 v105, 7, v105
	s_delay_alu instid0(VALU_DEP_2) | instskip(SKIP_1) | instid1(VALU_DEP_1)
	v_cmp_eq_u32_e32 vcc_lo, 0, v93
	v_dual_cndmask_b32 v93, v93, v104 :: v_dual_lshlrev_b32 v94, 24, v94
	v_dual_cndmask_b32 v95, v95, v105 :: v_dual_and_b32 v94, 0x80000000, v94
	s_delay_alu instid0(VALU_DEP_2) | instskip(NEXT) | instid1(VALU_DEP_2)
	v_lshl_add_u32 v93, v93, 23, 0x3b800000
	v_lshlrev_b32_e32 v95, 20, v95
	s_delay_alu instid0(VALU_DEP_1)
	v_or3_b32 v93, v94, v93, v95
.LBB6_7092:                             ;   in Loop: Header=BB6_6112 Depth=3
	s_or_b32 exec_lo, exec_lo, s16
	v_lshrrev_b16 v94, 8, v11
	s_mov_b32 s13, 0
	s_mov_b32 s17, exec_lo
                                        ; implicit-def: $sgpr16
	s_delay_alu instid0(VALU_DEP_1)
	v_cmpx_lt_i16_e32 0x7f, v94
	s_xor_b32 s17, exec_lo, s17
	s_cbranch_execnz .LBB6_7626
; %bb.7093:                             ;   in Loop: Header=BB6_6112 Depth=3
	s_or_saveexec_b32 s17, s17
	v_mov_b32_e32 v95, s16
	s_xor_b32 exec_lo, exec_lo, s17
	s_cbranch_execnz .LBB6_7629
.LBB6_7094:                             ;   in Loop: Header=BB6_6112 Depth=3
	s_or_b32 exec_lo, exec_lo, s17
	s_and_saveexec_b32 s16, s13
	s_cbranch_execz .LBB6_7096
.LBB6_7095:                             ;   in Loop: Header=BB6_6112 Depth=3
	v_and_b32_e32 v95, 0xffff, v94
	v_lshlrev_b32_e32 v94, 24, v94
	s_delay_alu instid0(VALU_DEP_2) | instskip(NEXT) | instid1(VALU_DEP_2)
	v_and_b32_e32 v104, 7, v95
	v_and_b32_e32 v94, 0x80000000, v94
	s_delay_alu instid0(VALU_DEP_2) | instskip(NEXT) | instid1(VALU_DEP_1)
	v_clz_i32_u32_e32 v105, v104
	v_min_u32_e32 v105, 32, v105
	s_delay_alu instid0(VALU_DEP_1) | instskip(SKIP_1) | instid1(VALU_DEP_2)
	v_subrev_nc_u32_e32 v106, 28, v105
	v_sub_nc_u32_e32 v105, 29, v105
	v_lshlrev_b32_e32 v106, v106, v95
	v_bfe_u32 v95, v95, 3, 4
	s_delay_alu instid0(VALU_DEP_2) | instskip(NEXT) | instid1(VALU_DEP_2)
	v_and_b32_e32 v106, 7, v106
	v_cmp_eq_u32_e32 vcc_lo, 0, v95
	s_delay_alu instid0(VALU_DEP_2) | instskip(NEXT) | instid1(VALU_DEP_1)
	v_dual_cndmask_b32 v95, v95, v105 :: v_dual_cndmask_b32 v104, v104, v106
	v_lshl_add_u32 v95, v95, 23, 0x3b800000
	s_delay_alu instid0(VALU_DEP_2) | instskip(NEXT) | instid1(VALU_DEP_1)
	v_lshlrev_b32_e32 v104, 20, v104
	v_or3_b32 v95, v94, v95, v104
.LBB6_7096:                             ;   in Loop: Header=BB6_6112 Depth=3
	s_or_b32 exec_lo, exec_lo, s16
	s_delay_alu instid0(VALU_DEP_1) | instskip(NEXT) | instid1(VALU_DEP_1)
	v_add_f32_e32 v94, v93, v95
	v_and_b32_e32 v93, 0x7f800000, v94
	s_delay_alu instid0(VALU_DEP_1)
	v_cmp_ne_u32_e32 vcc_lo, 0x7f800000, v93
	v_mov_b32_e32 v93, 0x8000
	s_and_saveexec_b32 s16, vcc_lo
	s_cbranch_execz .LBB6_7104
; %bb.7097:                             ;   in Loop: Header=BB6_6112 Depth=3
	v_mov_b32_e32 v93, 0
	s_mov_b32 s17, exec_lo
	v_cmpx_ne_u32_e32 0, v94
	s_cbranch_execz .LBB6_7103
; %bb.7098:                             ;   in Loop: Header=BB6_6112 Depth=3
	v_bfe_u32 v93, v94, 23, 8
	s_delay_alu instid0(VALU_DEP_1) | instskip(SKIP_1) | instid1(VALU_DEP_2)
	v_sub_nc_u32_e32 v104, 0x78, v93
	v_cmp_gt_u32_e32 vcc_lo, 0x79, v93
	v_dual_cndmask_b32 v104, 0, v104 :: v_dual_and_b32 v95, 0x7fffff, v94
	s_delay_alu instid0(VALU_DEP_1) | instskip(SKIP_2) | instid1(VALU_DEP_4)
	v_or_b32_e32 v105, 0x800000, v95
	v_cmp_eq_u32_e32 vcc_lo, 0, v93
	v_add_nc_u32_e32 v93, 0xffffff89, v93
	v_cndmask_b32_e64 v104, v104, 0x77, vcc_lo
	s_delay_alu instid0(VALU_DEP_2) | instskip(SKIP_1) | instid1(VALU_DEP_3)
	v_cndmask_b32_e64 v93, v93, 0xffffff8a, vcc_lo
	v_cndmask_b32_e32 v95, v105, v95, vcc_lo
	v_lshl_add_u32 v105, 0x100000, v104, -1
	v_lshlrev_b32_e64 v108, v104, 0x80000
	s_delay_alu instid0(VALU_DEP_3) | instskip(SKIP_1) | instid1(VALU_DEP_4)
	v_lshrrev_b32_e32 v106, v104, v95
	v_add_nc_u32_e32 v104, v104, v93
	v_and_b32_e32 v95, v105, v95
	s_delay_alu instid0(VALU_DEP_3) | instskip(NEXT) | instid1(VALU_DEP_2)
	v_bfe_u32 v107, v106, 20, 1
	v_cmp_eq_u32_e64 s13, v95, v108
	s_delay_alu instid0(VALU_DEP_2) | instskip(NEXT) | instid1(VALU_DEP_1)
	v_add_nc_u32_e32 v105, -1, v107
	v_cndmask_b32_e64 v95, 0, v105, s13
	v_lshrrev_b32_e32 v105, 23, v106
	s_mov_b32 s13, exec_lo
	s_delay_alu instid0(VALU_DEP_2) | instskip(NEXT) | instid1(VALU_DEP_2)
	v_add_nc_u32_e32 v95, v95, v106
	v_xor_b32_e32 v105, 1, v105
	s_delay_alu instid0(VALU_DEP_2) | instskip(NEXT) | instid1(VALU_DEP_1)
	v_and_b32_e32 v93, 0xfffff, v95
	v_add_nc_u32_e32 v95, v93, v106
                                        ; implicit-def: $vgpr93
	s_delay_alu instid0(VALU_DEP_3)
	v_cmpx_ne_u32_e64 v104, v105
	s_xor_b32 s13, exec_lo, s13
; %bb.7099:                             ;   in Loop: Header=BB6_6112 Depth=3
	s_delay_alu instid0(VALU_DEP_2) | instskip(SKIP_2) | instid1(VALU_DEP_2)
	v_cmp_lt_u32_e32 vcc_lo, 0xffffff, v95
	v_sub_nc_u32_e32 v93, v104, v105
	v_cndmask_b32_e64 v104, 0, 1, vcc_lo
	v_add_co_ci_u32_e32 v93, vcc_lo, 0, v93, vcc_lo
	s_delay_alu instid0(VALU_DEP_2)
	v_lshrrev_b32_e32 v95, v104, v95
; %bb.7100:                             ;   in Loop: Header=BB6_6112 Depth=3
	s_and_not1_saveexec_b32 s13, s13
; %bb.7101:                             ;   in Loop: Header=BB6_6112 Depth=3
	s_delay_alu instid0(VALU_DEP_1)
	v_bfe_u32 v93, v95, 23, 1
; %bb.7102:                             ;   in Loop: Header=BB6_6112 Depth=3
	s_or_b32 exec_lo, exec_lo, s13
	v_lshrrev_b32_e32 v95, 20, v95
	s_delay_alu instid0(VALU_DEP_2) | instskip(SKIP_2) | instid1(VALU_DEP_2)
	v_cmp_gt_i32_e32 vcc_lo, 16, v93
	v_min_i32_e32 v104, 15, v93
	v_lshrrev_b32_e32 v94, 24, v94
	v_dual_cndmask_b32 v95, 7, v95 :: v_dual_lshlrev_b32 v104, 3, v104
	s_delay_alu instid0(VALU_DEP_2) | instskip(NEXT) | instid1(VALU_DEP_2)
	v_and_b32_e32 v94, 0x80, v94
	v_or_b32_e32 v93, v93, v95
	v_and_b32_e32 v105, 7, v95
	s_delay_alu instid0(VALU_DEP_2) | instskip(SKIP_1) | instid1(VALU_DEP_1)
	v_cmp_ne_u32_e32 vcc_lo, 0, v93
	v_and_b32_e32 v104, 0xf8, v104
	v_or3_b32 v94, v94, v104, v105
	s_delay_alu instid0(VALU_DEP_1) | instskip(NEXT) | instid1(VALU_DEP_1)
	v_lshlrev_b32_e32 v94, 8, v94
	v_cndmask_b32_e32 v93, 0, v94, vcc_lo
.LBB6_7103:                             ;   in Loop: Header=BB6_6112 Depth=3
	s_or_b32 exec_lo, exec_lo, s17
.LBB6_7104:                             ;   in Loop: Header=BB6_6112 Depth=3
	s_delay_alu instid0(SALU_CYCLE_1) | instskip(SKIP_3) | instid1(VALU_DEP_1)
	s_or_b32 exec_lo, exec_lo, s16
	v_lshrrev_b32_e32 v95, 16, v15
	s_mov_b32 s13, 0
	s_mov_b32 s17, exec_lo
                                        ; implicit-def: $sgpr16
	v_and_b32_e32 v104, 0xff, v95
	s_delay_alu instid0(VALU_DEP_1)
	v_cmpx_lt_i16_e32 0x7f, v104
	s_xor_b32 s17, exec_lo, s17
	s_cbranch_execnz .LBB6_7630
; %bb.7105:                             ;   in Loop: Header=BB6_6112 Depth=3
	s_or_saveexec_b32 s17, s17
	v_mov_b32_e32 v94, s16
	s_xor_b32 exec_lo, exec_lo, s17
	s_cbranch_execnz .LBB6_7633
.LBB6_7106:                             ;   in Loop: Header=BB6_6112 Depth=3
	s_or_b32 exec_lo, exec_lo, s17
	s_and_saveexec_b32 s16, s13
	s_cbranch_execz .LBB6_7108
.LBB6_7107:                             ;   in Loop: Header=BB6_6112 Depth=3
	v_bfe_u32 v94, v15, 16, 3
	v_lshlrev_b32_e32 v106, 8, v15
	s_delay_alu instid0(VALU_DEP_2) | instskip(NEXT) | instid1(VALU_DEP_1)
	v_clz_i32_u32_e32 v104, v94
	v_min_u32_e32 v104, 32, v104
	s_delay_alu instid0(VALU_DEP_1) | instskip(SKIP_1) | instid1(VALU_DEP_2)
	v_subrev_nc_u32_e32 v105, 28, v104
	v_sub_nc_u32_e32 v104, 29, v104
	v_lshlrev_b32_e32 v95, v105, v95
	v_bfe_u32 v105, v15, 19, 4
	s_delay_alu instid0(VALU_DEP_1) | instskip(NEXT) | instid1(VALU_DEP_3)
	v_cmp_eq_u32_e32 vcc_lo, 0, v105
	v_dual_cndmask_b32 v104, v105, v104 :: v_dual_and_b32 v95, 7, v95
	s_delay_alu instid0(VALU_DEP_1) | instskip(NEXT) | instid1(VALU_DEP_2)
	v_dual_cndmask_b32 v94, v94, v95 :: v_dual_and_b32 v95, 0x80000000, v106
	v_lshl_add_u32 v104, v104, 23, 0x3b800000
	s_delay_alu instid0(VALU_DEP_2) | instskip(NEXT) | instid1(VALU_DEP_1)
	v_lshlrev_b32_e32 v94, 20, v94
	v_or3_b32 v94, v95, v104, v94
.LBB6_7108:                             ;   in Loop: Header=BB6_6112 Depth=3
	s_or_b32 exec_lo, exec_lo, s16
	v_lshrrev_b32_e32 v95, 16, v11
	s_mov_b32 s13, 0
	s_mov_b32 s17, exec_lo
                                        ; implicit-def: $sgpr16
	s_delay_alu instid0(VALU_DEP_1) | instskip(NEXT) | instid1(VALU_DEP_1)
	v_and_b32_e32 v105, 0xff, v95
	v_cmpx_lt_i16_e32 0x7f, v105
	s_xor_b32 s17, exec_lo, s17
	s_cbranch_execnz .LBB6_7634
; %bb.7109:                             ;   in Loop: Header=BB6_6112 Depth=3
	s_or_saveexec_b32 s17, s17
	v_mov_b32_e32 v104, s16
	s_xor_b32 exec_lo, exec_lo, s17
	s_cbranch_execnz .LBB6_7637
.LBB6_7110:                             ;   in Loop: Header=BB6_6112 Depth=3
	s_or_b32 exec_lo, exec_lo, s17
	s_and_saveexec_b32 s16, s13
	s_cbranch_execz .LBB6_7112
.LBB6_7111:                             ;   in Loop: Header=BB6_6112 Depth=3
	v_bfe_u32 v104, v11, 16, 3
	v_lshlrev_b32_e32 v107, 8, v11
	s_delay_alu instid0(VALU_DEP_2) | instskip(NEXT) | instid1(VALU_DEP_1)
	v_clz_i32_u32_e32 v105, v104
	v_min_u32_e32 v105, 32, v105
	s_delay_alu instid0(VALU_DEP_1) | instskip(SKIP_1) | instid1(VALU_DEP_2)
	v_subrev_nc_u32_e32 v106, 28, v105
	v_sub_nc_u32_e32 v105, 29, v105
	v_lshlrev_b32_e32 v95, v106, v95
	v_bfe_u32 v106, v11, 19, 4
	s_delay_alu instid0(VALU_DEP_2) | instskip(NEXT) | instid1(VALU_DEP_2)
	v_and_b32_e32 v95, 7, v95
	v_cmp_eq_u32_e32 vcc_lo, 0, v106
	v_cndmask_b32_e32 v105, v106, v105, vcc_lo
	s_delay_alu instid0(VALU_DEP_3) | instskip(SKIP_1) | instid1(VALU_DEP_3)
	v_cndmask_b32_e32 v95, v104, v95, vcc_lo
	v_and_b32_e32 v104, 0x80000000, v107
	v_lshl_add_u32 v105, v105, 23, 0x3b800000
	s_delay_alu instid0(VALU_DEP_3) | instskip(NEXT) | instid1(VALU_DEP_1)
	v_lshlrev_b32_e32 v95, 20, v95
	v_or3_b32 v104, v104, v105, v95
.LBB6_7112:                             ;   in Loop: Header=BB6_6112 Depth=3
	s_or_b32 exec_lo, exec_lo, s16
	s_delay_alu instid0(VALU_DEP_1) | instskip(NEXT) | instid1(VALU_DEP_1)
	v_add_f32_e32 v95, v94, v104
	v_and_b32_e32 v94, 0x7f800000, v95
	s_delay_alu instid0(VALU_DEP_1)
	v_cmp_ne_u32_e32 vcc_lo, 0x7f800000, v94
	v_mov_b32_e32 v94, 0x80
	s_and_saveexec_b32 s16, vcc_lo
	s_cbranch_execz .LBB6_7120
; %bb.7113:                             ;   in Loop: Header=BB6_6112 Depth=3
	v_mov_b32_e32 v94, 0
	s_mov_b32 s17, exec_lo
	v_cmpx_ne_u32_e32 0, v95
	s_cbranch_execz .LBB6_7119
; %bb.7114:                             ;   in Loop: Header=BB6_6112 Depth=3
	v_bfe_u32 v94, v95, 23, 8
	s_delay_alu instid0(VALU_DEP_1) | instskip(SKIP_1) | instid1(VALU_DEP_2)
	v_sub_nc_u32_e32 v105, 0x78, v94
	v_cmp_gt_u32_e32 vcc_lo, 0x79, v94
	v_dual_cndmask_b32 v105, 0, v105 :: v_dual_and_b32 v104, 0x7fffff, v95
	s_delay_alu instid0(VALU_DEP_1) | instskip(SKIP_2) | instid1(VALU_DEP_4)
	v_or_b32_e32 v106, 0x800000, v104
	v_cmp_eq_u32_e32 vcc_lo, 0, v94
	v_add_nc_u32_e32 v94, 0xffffff89, v94
	v_cndmask_b32_e64 v105, v105, 0x77, vcc_lo
	s_delay_alu instid0(VALU_DEP_2) | instskip(SKIP_1) | instid1(VALU_DEP_3)
	v_cndmask_b32_e64 v94, v94, 0xffffff8a, vcc_lo
	v_cndmask_b32_e32 v104, v106, v104, vcc_lo
	v_lshl_add_u32 v106, 0x100000, v105, -1
	v_lshlrev_b32_e64 v109, v105, 0x80000
	s_delay_alu instid0(VALU_DEP_3) | instskip(SKIP_1) | instid1(VALU_DEP_4)
	v_lshrrev_b32_e32 v107, v105, v104
	v_add_nc_u32_e32 v105, v105, v94
	v_and_b32_e32 v104, v106, v104
	s_delay_alu instid0(VALU_DEP_3) | instskip(NEXT) | instid1(VALU_DEP_2)
	v_bfe_u32 v108, v107, 20, 1
	v_cmp_eq_u32_e64 s13, v104, v109
	s_delay_alu instid0(VALU_DEP_2) | instskip(NEXT) | instid1(VALU_DEP_1)
	v_add_nc_u32_e32 v106, -1, v108
	v_cndmask_b32_e64 v104, 0, v106, s13
	v_lshrrev_b32_e32 v106, 23, v107
	s_mov_b32 s13, exec_lo
	s_delay_alu instid0(VALU_DEP_2) | instskip(NEXT) | instid1(VALU_DEP_2)
	v_add_nc_u32_e32 v104, v104, v107
	v_xor_b32_e32 v106, 1, v106
	s_delay_alu instid0(VALU_DEP_2) | instskip(NEXT) | instid1(VALU_DEP_1)
	v_and_b32_e32 v94, 0xfffff, v104
	v_add_nc_u32_e32 v104, v94, v107
                                        ; implicit-def: $vgpr94
	s_delay_alu instid0(VALU_DEP_3)
	v_cmpx_ne_u32_e64 v105, v106
	s_xor_b32 s13, exec_lo, s13
; %bb.7115:                             ;   in Loop: Header=BB6_6112 Depth=3
	s_delay_alu instid0(VALU_DEP_2) | instskip(SKIP_2) | instid1(VALU_DEP_2)
	v_cmp_lt_u32_e32 vcc_lo, 0xffffff, v104
	v_sub_nc_u32_e32 v94, v105, v106
	v_cndmask_b32_e64 v105, 0, 1, vcc_lo
	v_add_co_ci_u32_e32 v94, vcc_lo, 0, v94, vcc_lo
	s_delay_alu instid0(VALU_DEP_2)
	v_lshrrev_b32_e32 v104, v105, v104
; %bb.7116:                             ;   in Loop: Header=BB6_6112 Depth=3
	s_and_not1_saveexec_b32 s13, s13
; %bb.7117:                             ;   in Loop: Header=BB6_6112 Depth=3
	s_delay_alu instid0(VALU_DEP_1)
	v_bfe_u32 v94, v104, 23, 1
; %bb.7118:                             ;   in Loop: Header=BB6_6112 Depth=3
	s_or_b32 exec_lo, exec_lo, s13
	v_lshrrev_b32_e32 v104, 20, v104
	s_delay_alu instid0(VALU_DEP_2) | instskip(SKIP_2) | instid1(VALU_DEP_2)
	v_cmp_gt_i32_e32 vcc_lo, 16, v94
	v_min_i32_e32 v105, 15, v94
	v_lshrrev_b32_e32 v95, 24, v95
	v_dual_cndmask_b32 v104, 7, v104 :: v_dual_lshlrev_b32 v105, 3, v105
	s_delay_alu instid0(VALU_DEP_2) | instskip(NEXT) | instid1(VALU_DEP_2)
	v_and_b32_e32 v95, 0x80, v95
	v_or_b32_e32 v94, v94, v104
	v_and_b32_e32 v106, 7, v104
	s_delay_alu instid0(VALU_DEP_2) | instskip(SKIP_1) | instid1(VALU_DEP_1)
	v_cmp_ne_u32_e32 vcc_lo, 0, v94
	v_and_b32_e32 v105, 0xf8, v105
	v_or3_b32 v95, v105, v95, v106
	s_delay_alu instid0(VALU_DEP_1)
	v_cndmask_b32_e32 v94, 0, v95, vcc_lo
.LBB6_7119:                             ;   in Loop: Header=BB6_6112 Depth=3
	s_or_b32 exec_lo, exec_lo, s17
.LBB6_7120:                             ;   in Loop: Header=BB6_6112 Depth=3
	s_delay_alu instid0(SALU_CYCLE_1) | instskip(SKIP_3) | instid1(VALU_DEP_1)
	s_or_b32 exec_lo, exec_lo, s16
	v_lshrrev_b32_e32 v104, 24, v15
	s_mov_b32 s13, 0
	s_mov_b32 s17, exec_lo
                                        ; implicit-def: $sgpr16
	v_cmpx_lt_i16_e32 0x7f, v104
	s_xor_b32 s17, exec_lo, s17
	s_cbranch_execnz .LBB6_7638
; %bb.7121:                             ;   in Loop: Header=BB6_6112 Depth=3
	s_or_saveexec_b32 s17, s17
	v_mov_b32_e32 v95, s16
	s_xor_b32 exec_lo, exec_lo, s17
	s_cbranch_execnz .LBB6_7641
.LBB6_7122:                             ;   in Loop: Header=BB6_6112 Depth=3
	s_or_b32 exec_lo, exec_lo, s17
	s_and_saveexec_b32 s16, s13
	s_cbranch_execz .LBB6_7124
.LBB6_7123:                             ;   in Loop: Header=BB6_6112 Depth=3
	v_bfe_u32 v95, v15, 24, 3
	s_delay_alu instid0(VALU_DEP_1) | instskip(NEXT) | instid1(VALU_DEP_1)
	v_clz_i32_u32_e32 v105, v95
	v_min_u32_e32 v105, 32, v105
	s_delay_alu instid0(VALU_DEP_1) | instskip(SKIP_1) | instid1(VALU_DEP_2)
	v_subrev_nc_u32_e32 v106, 28, v105
	v_sub_nc_u32_e32 v105, 29, v105
	v_lshlrev_b32_e32 v104, v106, v104
	v_bfe_u32 v106, v15, 27, 4
	v_and_b32_e32 v15, 0x80000000, v15
	s_delay_alu instid0(VALU_DEP_2) | instskip(NEXT) | instid1(VALU_DEP_4)
	v_cmp_eq_u32_e32 vcc_lo, 0, v106
	v_dual_cndmask_b32 v105, v106, v105 :: v_dual_and_b32 v104, 7, v104
	s_delay_alu instid0(VALU_DEP_1) | instskip(NEXT) | instid1(VALU_DEP_2)
	v_cndmask_b32_e32 v95, v95, v104, vcc_lo
	v_lshl_add_u32 v104, v105, 23, 0x3b800000
	s_delay_alu instid0(VALU_DEP_2) | instskip(NEXT) | instid1(VALU_DEP_1)
	v_lshlrev_b32_e32 v95, 20, v95
	v_or3_b32 v95, v15, v104, v95
.LBB6_7124:                             ;   in Loop: Header=BB6_6112 Depth=3
	s_or_b32 exec_lo, exec_lo, s16
	v_lshrrev_b32_e32 v15, 24, v11
	s_mov_b32 s13, 0
	s_mov_b32 s17, exec_lo
                                        ; implicit-def: $sgpr16
	s_delay_alu instid0(VALU_DEP_1)
	v_cmpx_lt_i16_e32 0x7f, v15
	s_xor_b32 s17, exec_lo, s17
	s_cbranch_execnz .LBB6_7642
; %bb.7125:                             ;   in Loop: Header=BB6_6112 Depth=3
	s_or_saveexec_b32 s17, s17
	v_mov_b32_e32 v104, s16
	s_xor_b32 exec_lo, exec_lo, s17
	s_cbranch_execnz .LBB6_7645
.LBB6_7126:                             ;   in Loop: Header=BB6_6112 Depth=3
	s_or_b32 exec_lo, exec_lo, s17
	s_and_saveexec_b32 s16, s13
	s_cbranch_execz .LBB6_7128
.LBB6_7127:                             ;   in Loop: Header=BB6_6112 Depth=3
	v_bfe_u32 v104, v11, 24, 3
	s_delay_alu instid0(VALU_DEP_1) | instskip(NEXT) | instid1(VALU_DEP_1)
	v_clz_i32_u32_e32 v105, v104
	v_min_u32_e32 v105, 32, v105
	s_delay_alu instid0(VALU_DEP_1) | instskip(SKIP_1) | instid1(VALU_DEP_2)
	v_subrev_nc_u32_e32 v106, 28, v105
	v_sub_nc_u32_e32 v105, 29, v105
	v_lshlrev_b32_e32 v15, v106, v15
	v_bfe_u32 v106, v11, 27, 4
	v_and_b32_e32 v11, 0x80000000, v11
	s_delay_alu instid0(VALU_DEP_3) | instskip(NEXT) | instid1(VALU_DEP_3)
	v_and_b32_e32 v15, 7, v15
	v_cmp_eq_u32_e32 vcc_lo, 0, v106
	v_cndmask_b32_e32 v105, v106, v105, vcc_lo
	s_delay_alu instid0(VALU_DEP_3) | instskip(NEXT) | instid1(VALU_DEP_2)
	v_cndmask_b32_e32 v15, v104, v15, vcc_lo
	v_lshl_add_u32 v104, v105, 23, 0x3b800000
	s_delay_alu instid0(VALU_DEP_2) | instskip(NEXT) | instid1(VALU_DEP_1)
	v_lshlrev_b32_e32 v15, 20, v15
	v_or3_b32 v104, v11, v104, v15
.LBB6_7128:                             ;   in Loop: Header=BB6_6112 Depth=3
	s_or_b32 exec_lo, exec_lo, s16
	s_delay_alu instid0(VALU_DEP_1) | instskip(NEXT) | instid1(VALU_DEP_1)
	v_add_f32_e32 v15, v95, v104
	v_and_b32_e32 v11, 0x7f800000, v15
	s_delay_alu instid0(VALU_DEP_1)
	v_cmp_ne_u32_e32 vcc_lo, 0x7f800000, v11
	v_mov_b32_e32 v11, 0x8000
	s_and_saveexec_b32 s16, vcc_lo
	s_cbranch_execz .LBB6_6111
; %bb.7129:                             ;   in Loop: Header=BB6_6112 Depth=3
	v_mov_b32_e32 v11, 0
	s_mov_b32 s17, exec_lo
	v_cmpx_ne_u32_e32 0, v15
	s_cbranch_execz .LBB6_6110
; %bb.7130:                             ;   in Loop: Header=BB6_6112 Depth=3
	v_bfe_u32 v11, v15, 23, 8
	s_delay_alu instid0(VALU_DEP_1) | instskip(SKIP_1) | instid1(VALU_DEP_2)
	v_sub_nc_u32_e32 v104, 0x78, v11
	v_cmp_gt_u32_e32 vcc_lo, 0x79, v11
	v_dual_cndmask_b32 v104, 0, v104 :: v_dual_and_b32 v95, 0x7fffff, v15
	s_delay_alu instid0(VALU_DEP_1) | instskip(SKIP_2) | instid1(VALU_DEP_4)
	v_or_b32_e32 v105, 0x800000, v95
	v_cmp_eq_u32_e32 vcc_lo, 0, v11
	v_add_nc_u32_e32 v11, 0xffffff89, v11
	v_cndmask_b32_e64 v104, v104, 0x77, vcc_lo
	s_delay_alu instid0(VALU_DEP_4) | instskip(NEXT) | instid1(VALU_DEP_3)
	v_cndmask_b32_e32 v95, v105, v95, vcc_lo
	v_cndmask_b32_e64 v11, v11, 0xffffff8a, vcc_lo
	s_delay_alu instid0(VALU_DEP_3) | instskip(NEXT) | instid1(VALU_DEP_3)
	v_lshl_add_u32 v105, 0x100000, v104, -1
	v_lshrrev_b32_e32 v106, v104, v95
	v_lshlrev_b32_e64 v108, v104, 0x80000
	s_delay_alu instid0(VALU_DEP_4) | instskip(NEXT) | instid1(VALU_DEP_4)
	v_add_nc_u32_e32 v104, v104, v11
	v_and_b32_e32 v95, v105, v95
	s_delay_alu instid0(VALU_DEP_4) | instskip(NEXT) | instid1(VALU_DEP_2)
	v_bfe_u32 v107, v106, 20, 1
	v_cmp_eq_u32_e64 s13, v95, v108
	s_delay_alu instid0(VALU_DEP_2) | instskip(NEXT) | instid1(VALU_DEP_1)
	v_add_nc_u32_e32 v105, -1, v107
	v_cndmask_b32_e64 v95, 0, v105, s13
	v_lshrrev_b32_e32 v105, 23, v106
	s_mov_b32 s13, exec_lo
	s_delay_alu instid0(VALU_DEP_2) | instskip(NEXT) | instid1(VALU_DEP_2)
	v_add_nc_u32_e32 v95, v95, v106
	v_xor_b32_e32 v105, 1, v105
	s_delay_alu instid0(VALU_DEP_2) | instskip(NEXT) | instid1(VALU_DEP_1)
	v_and_b32_e32 v11, 0xfffff, v95
	v_add_nc_u32_e32 v95, v11, v106
                                        ; implicit-def: $vgpr11
	s_delay_alu instid0(VALU_DEP_3)
	v_cmpx_ne_u32_e64 v104, v105
	s_xor_b32 s13, exec_lo, s13
; %bb.7131:                             ;   in Loop: Header=BB6_6112 Depth=3
	s_delay_alu instid0(VALU_DEP_2) | instskip(SKIP_2) | instid1(VALU_DEP_2)
	v_cmp_lt_u32_e32 vcc_lo, 0xffffff, v95
	v_sub_nc_u32_e32 v11, v104, v105
	v_cndmask_b32_e64 v104, 0, 1, vcc_lo
	v_add_co_ci_u32_e32 v11, vcc_lo, 0, v11, vcc_lo
	s_delay_alu instid0(VALU_DEP_2)
	v_lshrrev_b32_e32 v95, v104, v95
; %bb.7132:                             ;   in Loop: Header=BB6_6112 Depth=3
	s_and_not1_saveexec_b32 s13, s13
	s_cbranch_execz .LBB6_6109
; %bb.7133:                             ;   in Loop: Header=BB6_6112 Depth=3
	s_delay_alu instid0(VALU_DEP_1)
	v_bfe_u32 v11, v95, 23, 1
	s_branch .LBB6_6109
.LBB6_7134:                             ;   in Loop: Header=BB6_6112 Depth=3
	s_mov_b32 s13, -1
	s_mov_b32 s30, exec_lo
                                        ; implicit-def: $sgpr16
	v_cmpx_eq_u16_e64 0x80, v183
; %bb.7135:                             ;   in Loop: Header=BB6_6112 Depth=3
	s_mov_b32 s16, 0x7f800001
	s_xor_b32 s13, exec_lo, -1
; %bb.7136:                             ;   in Loop: Header=BB6_6112 Depth=3
	s_or_b32 exec_lo, exec_lo, s30
	s_delay_alu instid0(SALU_CYCLE_1)
	s_and_b32 s13, s13, exec_lo
                                        ; implicit-def: $vgpr183
	s_or_saveexec_b32 s17, s17
	v_mov_b32_e32 v117, s16
	s_xor_b32 exec_lo, exec_lo, s17
	s_cbranch_execz .LBB6_6114
.LBB6_7137:                             ;   in Loop: Header=BB6_6112 Depth=3
	v_cmp_ne_u16_e64 vcc_lo, 0, v183
	v_mov_b32_e32 v117, 0
	s_and_not1_b32 s13, s13, exec_lo
	s_delay_alu instid0(VALU_DEP_2) | instskip(NEXT) | instid1(SALU_CYCLE_1)
	s_and_b32 s16, vcc_lo, exec_lo
	s_or_b32 s13, s13, s16
	s_or_b32 exec_lo, exec_lo, s17
	s_and_saveexec_b32 s16, s13
	s_cbranch_execnz .LBB6_6115
	s_branch .LBB6_6116
.LBB6_7138:                             ;   in Loop: Header=BB6_6112 Depth=3
	s_mov_b32 s13, -1
	s_mov_b32 s30, exec_lo
                                        ; implicit-def: $sgpr16
	v_cmpx_eq_u16_e32 0x80, v40
; %bb.7139:                             ;   in Loop: Header=BB6_6112 Depth=3
	s_mov_b32 s16, 0x7f800001
	s_xor_b32 s13, exec_lo, -1
; %bb.7140:                             ;   in Loop: Header=BB6_6112 Depth=3
	s_or_b32 exec_lo, exec_lo, s30
	s_delay_alu instid0(SALU_CYCLE_1)
	s_and_b32 s13, s13, exec_lo
                                        ; implicit-def: $vgpr40
	s_or_saveexec_b32 s17, s17
	v_mov_b32_e32 v183, s16
	s_xor_b32 exec_lo, exec_lo, s17
	s_cbranch_execz .LBB6_6118
.LBB6_7141:                             ;   in Loop: Header=BB6_6112 Depth=3
	v_cmp_ne_u16_e32 vcc_lo, 0, v40
	v_mov_b32_e32 v183, 0
	s_and_not1_b32 s13, s13, exec_lo
	s_and_b32 s16, vcc_lo, exec_lo
	s_delay_alu instid0(SALU_CYCLE_1)
	s_or_b32 s13, s13, s16
	s_or_b32 exec_lo, exec_lo, s17
	s_and_saveexec_b32 s16, s13
	s_cbranch_execnz .LBB6_6119
	s_branch .LBB6_6120
.LBB6_7142:                             ;   in Loop: Header=BB6_6112 Depth=3
	s_mov_b32 s13, -1
	s_mov_b32 s30, exec_lo
                                        ; implicit-def: $sgpr16
	v_cmpx_eq_u16_e32 0x80, v40
; %bb.7143:                             ;   in Loop: Header=BB6_6112 Depth=3
	s_mov_b32 s16, 0x7f800001
	s_xor_b32 s13, exec_lo, -1
; %bb.7144:                             ;   in Loop: Header=BB6_6112 Depth=3
	s_or_b32 exec_lo, exec_lo, s30
	s_delay_alu instid0(SALU_CYCLE_1)
	s_and_b32 s13, s13, exec_lo
	s_or_saveexec_b32 s17, s17
	v_mov_b32_e32 v183, s16
	s_xor_b32 exec_lo, exec_lo, s17
	s_cbranch_execz .LBB6_6130
.LBB6_7145:                             ;   in Loop: Header=BB6_6112 Depth=3
	v_cmp_ne_u16_e32 vcc_lo, 0, v40
	v_mov_b32_e32 v183, 0
	s_and_not1_b32 s13, s13, exec_lo
	s_and_b32 s16, vcc_lo, exec_lo
	s_delay_alu instid0(SALU_CYCLE_1)
	s_or_b32 s13, s13, s16
	s_or_b32 exec_lo, exec_lo, s17
	s_and_saveexec_b32 s16, s13
	s_cbranch_execnz .LBB6_6131
	s_branch .LBB6_6132
.LBB6_7146:                             ;   in Loop: Header=BB6_6112 Depth=3
	s_mov_b32 s13, -1
	s_mov_b32 s30, exec_lo
                                        ; implicit-def: $sgpr16
	v_cmpx_eq_u16_e32 0x80, v40
; %bb.7147:                             ;   in Loop: Header=BB6_6112 Depth=3
	s_mov_b32 s16, 0x7f800001
	s_xor_b32 s13, exec_lo, -1
; %bb.7148:                             ;   in Loop: Header=BB6_6112 Depth=3
	s_or_b32 exec_lo, exec_lo, s30
	s_delay_alu instid0(SALU_CYCLE_1)
	s_and_b32 s13, s13, exec_lo
	s_or_saveexec_b32 s17, s17
	v_mov_b32_e32 v41, s16
	s_xor_b32 exec_lo, exec_lo, s17
	s_cbranch_execz .LBB6_6134
.LBB6_7149:                             ;   in Loop: Header=BB6_6112 Depth=3
	v_cmp_ne_u16_e32 vcc_lo, 0, v40
	v_mov_b32_e32 v41, 0
	s_and_not1_b32 s13, s13, exec_lo
	s_and_b32 s16, vcc_lo, exec_lo
	s_delay_alu instid0(SALU_CYCLE_1)
	s_or_b32 s13, s13, s16
	s_or_b32 exec_lo, exec_lo, s17
	s_and_saveexec_b32 s16, s13
	s_cbranch_execnz .LBB6_6135
	s_branch .LBB6_6136
.LBB6_7150:                             ;   in Loop: Header=BB6_6112 Depth=3
	s_mov_b32 s13, -1
	s_mov_b32 s30, exec_lo
                                        ; implicit-def: $sgpr16
	v_cmpx_eq_u16_e32 0x80, v42
; %bb.7151:                             ;   in Loop: Header=BB6_6112 Depth=3
	s_mov_b32 s16, 0x7f800001
	s_xor_b32 s13, exec_lo, -1
; %bb.7152:                             ;   in Loop: Header=BB6_6112 Depth=3
	s_or_b32 exec_lo, exec_lo, s30
	s_delay_alu instid0(SALU_CYCLE_1)
	s_and_b32 s13, s13, exec_lo
                                        ; implicit-def: $vgpr42
	s_or_saveexec_b32 s17, s17
	v_mov_b32_e32 v40, s16
	s_xor_b32 exec_lo, exec_lo, s17
	s_cbranch_execz .LBB6_6146
.LBB6_7153:                             ;   in Loop: Header=BB6_6112 Depth=3
	v_cmp_ne_u16_e32 vcc_lo, 0, v42
	v_mov_b32_e32 v40, 0
	s_and_not1_b32 s13, s13, exec_lo
	s_and_b32 s16, vcc_lo, exec_lo
	s_delay_alu instid0(SALU_CYCLE_1)
	s_or_b32 s13, s13, s16
	s_or_b32 exec_lo, exec_lo, s17
	s_and_saveexec_b32 s16, s13
	s_cbranch_execnz .LBB6_6147
	s_branch .LBB6_6148
.LBB6_7154:                             ;   in Loop: Header=BB6_6112 Depth=3
	s_mov_b32 s13, -1
	s_mov_b32 s30, exec_lo
                                        ; implicit-def: $sgpr16
	v_cmpx_eq_u16_e32 0x80, v43
; %bb.7155:                             ;   in Loop: Header=BB6_6112 Depth=3
	s_mov_b32 s16, 0x7f800001
	s_xor_b32 s13, exec_lo, -1
; %bb.7156:                             ;   in Loop: Header=BB6_6112 Depth=3
	s_or_b32 exec_lo, exec_lo, s30
	s_delay_alu instid0(SALU_CYCLE_1)
	s_and_b32 s13, s13, exec_lo
                                        ; implicit-def: $vgpr43
	s_or_saveexec_b32 s17, s17
	v_mov_b32_e32 v42, s16
	s_xor_b32 exec_lo, exec_lo, s17
	s_cbranch_execz .LBB6_6150
.LBB6_7157:                             ;   in Loop: Header=BB6_6112 Depth=3
	v_cmp_ne_u16_e32 vcc_lo, 0, v43
	v_mov_b32_e32 v42, 0
	s_and_not1_b32 s13, s13, exec_lo
	s_and_b32 s16, vcc_lo, exec_lo
	s_delay_alu instid0(SALU_CYCLE_1)
	s_or_b32 s13, s13, s16
	s_or_b32 exec_lo, exec_lo, s17
	s_and_saveexec_b32 s16, s13
	s_cbranch_execnz .LBB6_6151
	s_branch .LBB6_6152
.LBB6_7158:                             ;   in Loop: Header=BB6_6112 Depth=3
	s_mov_b32 s13, -1
	s_mov_b32 s30, exec_lo
                                        ; implicit-def: $sgpr16
	v_cmpx_eq_u16_e32 0x80, v42
; %bb.7159:                             ;   in Loop: Header=BB6_6112 Depth=3
	s_mov_b32 s16, 0x7f800001
	s_xor_b32 s13, exec_lo, -1
; %bb.7160:                             ;   in Loop: Header=BB6_6112 Depth=3
	s_or_b32 exec_lo, exec_lo, s30
	s_delay_alu instid0(SALU_CYCLE_1)
	s_and_b32 s13, s13, exec_lo
	s_or_saveexec_b32 s17, s17
	v_mov_b32_e32 v41, s16
	s_xor_b32 exec_lo, exec_lo, s17
	s_cbranch_execz .LBB6_6162
.LBB6_7161:                             ;   in Loop: Header=BB6_6112 Depth=3
	v_cmp_ne_u16_e32 vcc_lo, 0, v42
	v_mov_b32_e32 v41, 0
	s_and_not1_b32 s13, s13, exec_lo
	s_and_b32 s16, vcc_lo, exec_lo
	s_delay_alu instid0(SALU_CYCLE_1)
	s_or_b32 s13, s13, s16
	s_or_b32 exec_lo, exec_lo, s17
	s_and_saveexec_b32 s16, s13
	s_cbranch_execnz .LBB6_6163
	s_branch .LBB6_6164
.LBB6_7162:                             ;   in Loop: Header=BB6_6112 Depth=3
	s_mov_b32 s13, -1
	s_mov_b32 s30, exec_lo
                                        ; implicit-def: $sgpr16
	v_cmpx_eq_u16_e32 0x80, v48
; %bb.7163:                             ;   in Loop: Header=BB6_6112 Depth=3
	s_mov_b32 s16, 0x7f800001
	s_xor_b32 s13, exec_lo, -1
; %bb.7164:                             ;   in Loop: Header=BB6_6112 Depth=3
	s_or_b32 exec_lo, exec_lo, s30
	s_delay_alu instid0(SALU_CYCLE_1)
	s_and_b32 s13, s13, exec_lo
	s_or_saveexec_b32 s17, s17
	v_mov_b32_e32 v42, s16
	s_xor_b32 exec_lo, exec_lo, s17
	s_cbranch_execz .LBB6_6166
.LBB6_7165:                             ;   in Loop: Header=BB6_6112 Depth=3
	v_cmp_ne_u16_e32 vcc_lo, 0, v48
	v_mov_b32_e32 v42, 0
	s_and_not1_b32 s13, s13, exec_lo
	s_and_b32 s16, vcc_lo, exec_lo
	s_delay_alu instid0(SALU_CYCLE_1)
	s_or_b32 s13, s13, s16
	s_or_b32 exec_lo, exec_lo, s17
	s_and_saveexec_b32 s16, s13
	s_cbranch_execnz .LBB6_6167
	s_branch .LBB6_6168
.LBB6_7166:                             ;   in Loop: Header=BB6_6112 Depth=3
	s_mov_b32 s13, -1
	s_mov_b32 s30, exec_lo
                                        ; implicit-def: $sgpr16
	v_cmpx_eq_u16_e32 0x80, v41
; %bb.7167:                             ;   in Loop: Header=BB6_6112 Depth=3
	s_mov_b32 s16, 0x7f800001
	s_xor_b32 s13, exec_lo, -1
; %bb.7168:                             ;   in Loop: Header=BB6_6112 Depth=3
	s_or_b32 exec_lo, exec_lo, s30
	s_delay_alu instid0(SALU_CYCLE_1)
	s_and_b32 s13, s13, exec_lo
                                        ; implicit-def: $vgpr41
	s_or_saveexec_b32 s17, s17
	v_mov_b32_e32 v48, s16
	s_xor_b32 exec_lo, exec_lo, s17
	s_cbranch_execz .LBB6_6178
.LBB6_7169:                             ;   in Loop: Header=BB6_6112 Depth=3
	v_cmp_ne_u16_e32 vcc_lo, 0, v41
	v_mov_b32_e32 v48, 0
	s_and_not1_b32 s13, s13, exec_lo
	s_and_b32 s16, vcc_lo, exec_lo
	s_delay_alu instid0(SALU_CYCLE_1)
	s_or_b32 s13, s13, s16
	s_or_b32 exec_lo, exec_lo, s17
	s_and_saveexec_b32 s16, s13
	s_cbranch_execnz .LBB6_6179
	s_branch .LBB6_6180
.LBB6_7170:                             ;   in Loop: Header=BB6_6112 Depth=3
	s_mov_b32 s13, -1
	s_mov_b32 s30, exec_lo
                                        ; implicit-def: $sgpr16
	v_cmpx_eq_u16_e32 0x80, v42
; %bb.7171:                             ;   in Loop: Header=BB6_6112 Depth=3
	s_mov_b32 s16, 0x7f800001
	s_xor_b32 s13, exec_lo, -1
; %bb.7172:                             ;   in Loop: Header=BB6_6112 Depth=3
	s_or_b32 exec_lo, exec_lo, s30
	s_delay_alu instid0(SALU_CYCLE_1)
	s_and_b32 s13, s13, exec_lo
                                        ; implicit-def: $vgpr42
	s_or_saveexec_b32 s17, s17
	v_mov_b32_e32 v41, s16
	s_xor_b32 exec_lo, exec_lo, s17
	s_cbranch_execz .LBB6_6182
.LBB6_7173:                             ;   in Loop: Header=BB6_6112 Depth=3
	v_cmp_ne_u16_e32 vcc_lo, 0, v42
	v_mov_b32_e32 v41, 0
	s_and_not1_b32 s13, s13, exec_lo
	s_and_b32 s16, vcc_lo, exec_lo
	s_delay_alu instid0(SALU_CYCLE_1)
	s_or_b32 s13, s13, s16
	s_or_b32 exec_lo, exec_lo, s17
	s_and_saveexec_b32 s16, s13
	s_cbranch_execnz .LBB6_6183
	s_branch .LBB6_6184
.LBB6_7174:                             ;   in Loop: Header=BB6_6112 Depth=3
	s_mov_b32 s13, -1
	s_mov_b32 s30, exec_lo
                                        ; implicit-def: $sgpr16
	v_cmpx_eq_u16_e32 0x80, v42
; %bb.7175:                             ;   in Loop: Header=BB6_6112 Depth=3
	s_mov_b32 s16, 0x7f800001
	s_xor_b32 s13, exec_lo, -1
; %bb.7176:                             ;   in Loop: Header=BB6_6112 Depth=3
	s_or_b32 exec_lo, exec_lo, s30
	s_delay_alu instid0(SALU_CYCLE_1)
	s_and_b32 s13, s13, exec_lo
	s_or_saveexec_b32 s17, s17
	v_mov_b32_e32 v41, s16
	s_xor_b32 exec_lo, exec_lo, s17
	s_cbranch_execz .LBB6_6194
.LBB6_7177:                             ;   in Loop: Header=BB6_6112 Depth=3
	v_cmp_ne_u16_e32 vcc_lo, 0, v42
	v_mov_b32_e32 v41, 0
	s_and_not1_b32 s13, s13, exec_lo
	s_and_b32 s16, vcc_lo, exec_lo
	s_delay_alu instid0(SALU_CYCLE_1)
	s_or_b32 s13, s13, s16
	s_or_b32 exec_lo, exec_lo, s17
	s_and_saveexec_b32 s16, s13
	s_cbranch_execnz .LBB6_6195
	s_branch .LBB6_6196
.LBB6_7178:                             ;   in Loop: Header=BB6_6112 Depth=3
	s_mov_b32 s13, -1
	s_mov_b32 s30, exec_lo
                                        ; implicit-def: $sgpr16
	v_cmpx_eq_u16_e32 0x80, v42
; %bb.7179:                             ;   in Loop: Header=BB6_6112 Depth=3
	s_mov_b32 s16, 0x7f800001
	s_xor_b32 s13, exec_lo, -1
; %bb.7180:                             ;   in Loop: Header=BB6_6112 Depth=3
	s_or_b32 exec_lo, exec_lo, s30
	s_delay_alu instid0(SALU_CYCLE_1)
	s_and_b32 s13, s13, exec_lo
	s_or_saveexec_b32 s17, s17
	v_mov_b32_e32 v43, s16
	s_xor_b32 exec_lo, exec_lo, s17
	s_cbranch_execz .LBB6_6198
.LBB6_7181:                             ;   in Loop: Header=BB6_6112 Depth=3
	v_cmp_ne_u16_e32 vcc_lo, 0, v42
	v_mov_b32_e32 v43, 0
	s_and_not1_b32 s13, s13, exec_lo
	s_and_b32 s16, vcc_lo, exec_lo
	s_delay_alu instid0(SALU_CYCLE_1)
	s_or_b32 s13, s13, s16
	s_or_b32 exec_lo, exec_lo, s17
	s_and_saveexec_b32 s16, s13
	s_cbranch_execnz .LBB6_6199
	s_branch .LBB6_6200
.LBB6_7182:                             ;   in Loop: Header=BB6_6112 Depth=3
	s_mov_b32 s13, -1
	s_mov_b32 s30, exec_lo
                                        ; implicit-def: $sgpr16
	v_cmpx_eq_u16_e32 0x80, v44
; %bb.7183:                             ;   in Loop: Header=BB6_6112 Depth=3
	s_mov_b32 s16, 0x7f800001
	s_xor_b32 s13, exec_lo, -1
; %bb.7184:                             ;   in Loop: Header=BB6_6112 Depth=3
	s_or_b32 exec_lo, exec_lo, s30
	s_delay_alu instid0(SALU_CYCLE_1)
	s_and_b32 s13, s13, exec_lo
                                        ; implicit-def: $vgpr44
	s_or_saveexec_b32 s17, s17
	v_mov_b32_e32 v42, s16
	s_xor_b32 exec_lo, exec_lo, s17
	s_cbranch_execz .LBB6_6210
.LBB6_7185:                             ;   in Loop: Header=BB6_6112 Depth=3
	v_cmp_ne_u16_e32 vcc_lo, 0, v44
	v_mov_b32_e32 v42, 0
	s_and_not1_b32 s13, s13, exec_lo
	s_and_b32 s16, vcc_lo, exec_lo
	s_delay_alu instid0(SALU_CYCLE_1)
	s_or_b32 s13, s13, s16
	s_or_b32 exec_lo, exec_lo, s17
	s_and_saveexec_b32 s16, s13
	s_cbranch_execnz .LBB6_6211
	s_branch .LBB6_6212
.LBB6_7186:                             ;   in Loop: Header=BB6_6112 Depth=3
	s_mov_b32 s13, -1
	s_mov_b32 s30, exec_lo
                                        ; implicit-def: $sgpr16
	v_cmpx_eq_u16_e32 0x80, v45
; %bb.7187:                             ;   in Loop: Header=BB6_6112 Depth=3
	s_mov_b32 s16, 0x7f800001
	s_xor_b32 s13, exec_lo, -1
; %bb.7188:                             ;   in Loop: Header=BB6_6112 Depth=3
	s_or_b32 exec_lo, exec_lo, s30
	s_delay_alu instid0(SALU_CYCLE_1)
	s_and_b32 s13, s13, exec_lo
                                        ; implicit-def: $vgpr45
	s_or_saveexec_b32 s17, s17
	v_mov_b32_e32 v44, s16
	s_xor_b32 exec_lo, exec_lo, s17
	s_cbranch_execz .LBB6_6214
.LBB6_7189:                             ;   in Loop: Header=BB6_6112 Depth=3
	v_cmp_ne_u16_e32 vcc_lo, 0, v45
	v_mov_b32_e32 v44, 0
	s_and_not1_b32 s13, s13, exec_lo
	s_and_b32 s16, vcc_lo, exec_lo
	s_delay_alu instid0(SALU_CYCLE_1)
	s_or_b32 s13, s13, s16
	s_or_b32 exec_lo, exec_lo, s17
	s_and_saveexec_b32 s16, s13
	s_cbranch_execnz .LBB6_6215
	s_branch .LBB6_6216
.LBB6_7190:                             ;   in Loop: Header=BB6_6112 Depth=3
	s_mov_b32 s13, -1
	s_mov_b32 s30, exec_lo
                                        ; implicit-def: $sgpr16
	v_cmpx_eq_u16_e32 0x80, v44
; %bb.7191:                             ;   in Loop: Header=BB6_6112 Depth=3
	s_mov_b32 s16, 0x7f800001
	s_xor_b32 s13, exec_lo, -1
; %bb.7192:                             ;   in Loop: Header=BB6_6112 Depth=3
	s_or_b32 exec_lo, exec_lo, s30
	s_delay_alu instid0(SALU_CYCLE_1)
	s_and_b32 s13, s13, exec_lo
	s_or_saveexec_b32 s17, s17
	v_mov_b32_e32 v43, s16
	s_xor_b32 exec_lo, exec_lo, s17
	s_cbranch_execz .LBB6_6226
.LBB6_7193:                             ;   in Loop: Header=BB6_6112 Depth=3
	v_cmp_ne_u16_e32 vcc_lo, 0, v44
	v_mov_b32_e32 v43, 0
	s_and_not1_b32 s13, s13, exec_lo
	s_and_b32 s16, vcc_lo, exec_lo
	s_delay_alu instid0(SALU_CYCLE_1)
	s_or_b32 s13, s13, s16
	s_or_b32 exec_lo, exec_lo, s17
	s_and_saveexec_b32 s16, s13
	s_cbranch_execnz .LBB6_6227
	s_branch .LBB6_6228
.LBB6_7194:                             ;   in Loop: Header=BB6_6112 Depth=3
	s_mov_b32 s13, -1
	s_mov_b32 s30, exec_lo
                                        ; implicit-def: $sgpr16
	v_cmpx_eq_u16_e32 0x80, v49
; %bb.7195:                             ;   in Loop: Header=BB6_6112 Depth=3
	s_mov_b32 s16, 0x7f800001
	s_xor_b32 s13, exec_lo, -1
; %bb.7196:                             ;   in Loop: Header=BB6_6112 Depth=3
	s_or_b32 exec_lo, exec_lo, s30
	s_delay_alu instid0(SALU_CYCLE_1)
	s_and_b32 s13, s13, exec_lo
	s_or_saveexec_b32 s17, s17
	v_mov_b32_e32 v44, s16
	s_xor_b32 exec_lo, exec_lo, s17
	s_cbranch_execz .LBB6_6230
.LBB6_7197:                             ;   in Loop: Header=BB6_6112 Depth=3
	v_cmp_ne_u16_e32 vcc_lo, 0, v49
	v_mov_b32_e32 v44, 0
	s_and_not1_b32 s13, s13, exec_lo
	s_and_b32 s16, vcc_lo, exec_lo
	s_delay_alu instid0(SALU_CYCLE_1)
	s_or_b32 s13, s13, s16
	s_or_b32 exec_lo, exec_lo, s17
	s_and_saveexec_b32 s16, s13
	s_cbranch_execnz .LBB6_6231
	s_branch .LBB6_6232
.LBB6_7198:                             ;   in Loop: Header=BB6_6112 Depth=3
	s_mov_b32 s13, -1
	s_mov_b32 s30, exec_lo
                                        ; implicit-def: $sgpr16
	v_cmpx_eq_u16_e32 0x80, v43
; %bb.7199:                             ;   in Loop: Header=BB6_6112 Depth=3
	s_mov_b32 s16, 0x7f800001
	s_xor_b32 s13, exec_lo, -1
; %bb.7200:                             ;   in Loop: Header=BB6_6112 Depth=3
	s_or_b32 exec_lo, exec_lo, s30
	s_delay_alu instid0(SALU_CYCLE_1)
	s_and_b32 s13, s13, exec_lo
                                        ; implicit-def: $vgpr43
	s_or_saveexec_b32 s17, s17
	v_mov_b32_e32 v49, s16
	s_xor_b32 exec_lo, exec_lo, s17
	s_cbranch_execz .LBB6_6242
.LBB6_7201:                             ;   in Loop: Header=BB6_6112 Depth=3
	v_cmp_ne_u16_e32 vcc_lo, 0, v43
	v_mov_b32_e32 v49, 0
	s_and_not1_b32 s13, s13, exec_lo
	s_and_b32 s16, vcc_lo, exec_lo
	s_delay_alu instid0(SALU_CYCLE_1)
	s_or_b32 s13, s13, s16
	s_or_b32 exec_lo, exec_lo, s17
	s_and_saveexec_b32 s16, s13
	s_cbranch_execnz .LBB6_6243
	s_branch .LBB6_6244
.LBB6_7202:                             ;   in Loop: Header=BB6_6112 Depth=3
	s_mov_b32 s13, -1
	s_mov_b32 s30, exec_lo
                                        ; implicit-def: $sgpr16
	v_cmpx_eq_u16_e32 0x80, v44
; %bb.7203:                             ;   in Loop: Header=BB6_6112 Depth=3
	s_mov_b32 s16, 0x7f800001
	s_xor_b32 s13, exec_lo, -1
; %bb.7204:                             ;   in Loop: Header=BB6_6112 Depth=3
	s_or_b32 exec_lo, exec_lo, s30
	s_delay_alu instid0(SALU_CYCLE_1)
	s_and_b32 s13, s13, exec_lo
                                        ; implicit-def: $vgpr44
	s_or_saveexec_b32 s17, s17
	v_mov_b32_e32 v43, s16
	s_xor_b32 exec_lo, exec_lo, s17
	s_cbranch_execz .LBB6_6246
.LBB6_7205:                             ;   in Loop: Header=BB6_6112 Depth=3
	v_cmp_ne_u16_e32 vcc_lo, 0, v44
	v_mov_b32_e32 v43, 0
	s_and_not1_b32 s13, s13, exec_lo
	s_and_b32 s16, vcc_lo, exec_lo
	s_delay_alu instid0(SALU_CYCLE_1)
	s_or_b32 s13, s13, s16
	s_or_b32 exec_lo, exec_lo, s17
	s_and_saveexec_b32 s16, s13
	s_cbranch_execnz .LBB6_6247
	s_branch .LBB6_6248
.LBB6_7206:                             ;   in Loop: Header=BB6_6112 Depth=3
	s_mov_b32 s13, -1
	s_mov_b32 s30, exec_lo
                                        ; implicit-def: $sgpr16
	v_cmpx_eq_u16_e32 0x80, v44
; %bb.7207:                             ;   in Loop: Header=BB6_6112 Depth=3
	s_mov_b32 s16, 0x7f800001
	s_xor_b32 s13, exec_lo, -1
; %bb.7208:                             ;   in Loop: Header=BB6_6112 Depth=3
	s_or_b32 exec_lo, exec_lo, s30
	s_delay_alu instid0(SALU_CYCLE_1)
	s_and_b32 s13, s13, exec_lo
	s_or_saveexec_b32 s17, s17
	v_mov_b32_e32 v43, s16
	s_xor_b32 exec_lo, exec_lo, s17
	s_cbranch_execz .LBB6_6258
.LBB6_7209:                             ;   in Loop: Header=BB6_6112 Depth=3
	v_cmp_ne_u16_e32 vcc_lo, 0, v44
	v_mov_b32_e32 v43, 0
	s_and_not1_b32 s13, s13, exec_lo
	s_and_b32 s16, vcc_lo, exec_lo
	s_delay_alu instid0(SALU_CYCLE_1)
	s_or_b32 s13, s13, s16
	s_or_b32 exec_lo, exec_lo, s17
	s_and_saveexec_b32 s16, s13
	s_cbranch_execnz .LBB6_6259
	s_branch .LBB6_6260
.LBB6_7210:                             ;   in Loop: Header=BB6_6112 Depth=3
	s_mov_b32 s13, -1
	s_mov_b32 s30, exec_lo
                                        ; implicit-def: $sgpr16
	v_cmpx_eq_u16_e32 0x80, v44
; %bb.7211:                             ;   in Loop: Header=BB6_6112 Depth=3
	s_mov_b32 s16, 0x7f800001
	s_xor_b32 s13, exec_lo, -1
; %bb.7212:                             ;   in Loop: Header=BB6_6112 Depth=3
	s_or_b32 exec_lo, exec_lo, s30
	s_delay_alu instid0(SALU_CYCLE_1)
	s_and_b32 s13, s13, exec_lo
	s_or_saveexec_b32 s17, s17
	v_mov_b32_e32 v45, s16
	s_xor_b32 exec_lo, exec_lo, s17
	s_cbranch_execz .LBB6_6262
.LBB6_7213:                             ;   in Loop: Header=BB6_6112 Depth=3
	v_cmp_ne_u16_e32 vcc_lo, 0, v44
	v_mov_b32_e32 v45, 0
	s_and_not1_b32 s13, s13, exec_lo
	s_and_b32 s16, vcc_lo, exec_lo
	s_delay_alu instid0(SALU_CYCLE_1)
	s_or_b32 s13, s13, s16
	s_or_b32 exec_lo, exec_lo, s17
	s_and_saveexec_b32 s16, s13
	s_cbranch_execnz .LBB6_6263
	s_branch .LBB6_6264
.LBB6_7214:                             ;   in Loop: Header=BB6_6112 Depth=3
	s_mov_b32 s13, -1
	s_mov_b32 s30, exec_lo
                                        ; implicit-def: $sgpr16
	v_cmpx_eq_u16_e32 0x80, v46
; %bb.7215:                             ;   in Loop: Header=BB6_6112 Depth=3
	s_mov_b32 s16, 0x7f800001
	s_xor_b32 s13, exec_lo, -1
; %bb.7216:                             ;   in Loop: Header=BB6_6112 Depth=3
	s_or_b32 exec_lo, exec_lo, s30
	s_delay_alu instid0(SALU_CYCLE_1)
	s_and_b32 s13, s13, exec_lo
                                        ; implicit-def: $vgpr46
	s_or_saveexec_b32 s17, s17
	v_mov_b32_e32 v44, s16
	s_xor_b32 exec_lo, exec_lo, s17
	s_cbranch_execz .LBB6_6274
.LBB6_7217:                             ;   in Loop: Header=BB6_6112 Depth=3
	v_cmp_ne_u16_e32 vcc_lo, 0, v46
	v_mov_b32_e32 v44, 0
	s_and_not1_b32 s13, s13, exec_lo
	s_and_b32 s16, vcc_lo, exec_lo
	s_delay_alu instid0(SALU_CYCLE_1)
	s_or_b32 s13, s13, s16
	s_or_b32 exec_lo, exec_lo, s17
	s_and_saveexec_b32 s16, s13
	s_cbranch_execnz .LBB6_6275
	s_branch .LBB6_6276
.LBB6_7218:                             ;   in Loop: Header=BB6_6112 Depth=3
	s_mov_b32 s13, -1
	s_mov_b32 s30, exec_lo
                                        ; implicit-def: $sgpr16
	v_cmpx_eq_u16_e32 0x80, v47
; %bb.7219:                             ;   in Loop: Header=BB6_6112 Depth=3
	s_mov_b32 s16, 0x7f800001
	s_xor_b32 s13, exec_lo, -1
; %bb.7220:                             ;   in Loop: Header=BB6_6112 Depth=3
	s_or_b32 exec_lo, exec_lo, s30
	s_delay_alu instid0(SALU_CYCLE_1)
	s_and_b32 s13, s13, exec_lo
                                        ; implicit-def: $vgpr47
	s_or_saveexec_b32 s17, s17
	v_mov_b32_e32 v46, s16
	s_xor_b32 exec_lo, exec_lo, s17
	s_cbranch_execz .LBB6_6278
.LBB6_7221:                             ;   in Loop: Header=BB6_6112 Depth=3
	v_cmp_ne_u16_e32 vcc_lo, 0, v47
	v_mov_b32_e32 v46, 0
	s_and_not1_b32 s13, s13, exec_lo
	s_and_b32 s16, vcc_lo, exec_lo
	s_delay_alu instid0(SALU_CYCLE_1)
	s_or_b32 s13, s13, s16
	s_or_b32 exec_lo, exec_lo, s17
	s_and_saveexec_b32 s16, s13
	s_cbranch_execnz .LBB6_6279
	s_branch .LBB6_6280
.LBB6_7222:                             ;   in Loop: Header=BB6_6112 Depth=3
	s_mov_b32 s13, -1
	s_mov_b32 s30, exec_lo
                                        ; implicit-def: $sgpr16
	v_cmpx_eq_u16_e32 0x80, v46
; %bb.7223:                             ;   in Loop: Header=BB6_6112 Depth=3
	s_mov_b32 s16, 0x7f800001
	s_xor_b32 s13, exec_lo, -1
; %bb.7224:                             ;   in Loop: Header=BB6_6112 Depth=3
	s_or_b32 exec_lo, exec_lo, s30
	s_delay_alu instid0(SALU_CYCLE_1)
	s_and_b32 s13, s13, exec_lo
	s_or_saveexec_b32 s17, s17
	v_mov_b32_e32 v45, s16
	s_xor_b32 exec_lo, exec_lo, s17
	s_cbranch_execz .LBB6_6290
.LBB6_7225:                             ;   in Loop: Header=BB6_6112 Depth=3
	v_cmp_ne_u16_e32 vcc_lo, 0, v46
	v_mov_b32_e32 v45, 0
	s_and_not1_b32 s13, s13, exec_lo
	s_and_b32 s16, vcc_lo, exec_lo
	s_delay_alu instid0(SALU_CYCLE_1)
	s_or_b32 s13, s13, s16
	s_or_b32 exec_lo, exec_lo, s17
	s_and_saveexec_b32 s16, s13
	s_cbranch_execnz .LBB6_6291
	s_branch .LBB6_6292
.LBB6_7226:                             ;   in Loop: Header=BB6_6112 Depth=3
	s_mov_b32 s13, -1
	s_mov_b32 s30, exec_lo
                                        ; implicit-def: $sgpr16
	v_cmpx_eq_u16_e32 0x80, v50
; %bb.7227:                             ;   in Loop: Header=BB6_6112 Depth=3
	s_mov_b32 s16, 0x7f800001
	s_xor_b32 s13, exec_lo, -1
; %bb.7228:                             ;   in Loop: Header=BB6_6112 Depth=3
	s_or_b32 exec_lo, exec_lo, s30
	s_delay_alu instid0(SALU_CYCLE_1)
	s_and_b32 s13, s13, exec_lo
	s_or_saveexec_b32 s17, s17
	v_mov_b32_e32 v46, s16
	s_xor_b32 exec_lo, exec_lo, s17
	s_cbranch_execz .LBB6_6294
.LBB6_7229:                             ;   in Loop: Header=BB6_6112 Depth=3
	v_cmp_ne_u16_e32 vcc_lo, 0, v50
	v_mov_b32_e32 v46, 0
	s_and_not1_b32 s13, s13, exec_lo
	s_and_b32 s16, vcc_lo, exec_lo
	s_delay_alu instid0(SALU_CYCLE_1)
	s_or_b32 s13, s13, s16
	s_or_b32 exec_lo, exec_lo, s17
	s_and_saveexec_b32 s16, s13
	s_cbranch_execnz .LBB6_6295
	s_branch .LBB6_6296
.LBB6_7230:                             ;   in Loop: Header=BB6_6112 Depth=3
	s_mov_b32 s13, -1
	s_mov_b32 s30, exec_lo
                                        ; implicit-def: $sgpr16
	v_cmpx_eq_u16_e32 0x80, v45
; %bb.7231:                             ;   in Loop: Header=BB6_6112 Depth=3
	s_mov_b32 s16, 0x7f800001
	s_xor_b32 s13, exec_lo, -1
; %bb.7232:                             ;   in Loop: Header=BB6_6112 Depth=3
	s_or_b32 exec_lo, exec_lo, s30
	s_delay_alu instid0(SALU_CYCLE_1)
	s_and_b32 s13, s13, exec_lo
                                        ; implicit-def: $vgpr45
	s_or_saveexec_b32 s17, s17
	v_mov_b32_e32 v50, s16
	s_xor_b32 exec_lo, exec_lo, s17
	s_cbranch_execz .LBB6_6306
.LBB6_7233:                             ;   in Loop: Header=BB6_6112 Depth=3
	v_cmp_ne_u16_e32 vcc_lo, 0, v45
	v_mov_b32_e32 v50, 0
	s_and_not1_b32 s13, s13, exec_lo
	s_and_b32 s16, vcc_lo, exec_lo
	s_delay_alu instid0(SALU_CYCLE_1)
	s_or_b32 s13, s13, s16
	s_or_b32 exec_lo, exec_lo, s17
	s_and_saveexec_b32 s16, s13
	s_cbranch_execnz .LBB6_6307
	s_branch .LBB6_6308
.LBB6_7234:                             ;   in Loop: Header=BB6_6112 Depth=3
	s_mov_b32 s13, -1
	s_mov_b32 s30, exec_lo
                                        ; implicit-def: $sgpr16
	v_cmpx_eq_u16_e32 0x80, v46
; %bb.7235:                             ;   in Loop: Header=BB6_6112 Depth=3
	s_mov_b32 s16, 0x7f800001
	s_xor_b32 s13, exec_lo, -1
; %bb.7236:                             ;   in Loop: Header=BB6_6112 Depth=3
	s_or_b32 exec_lo, exec_lo, s30
	s_delay_alu instid0(SALU_CYCLE_1)
	s_and_b32 s13, s13, exec_lo
                                        ; implicit-def: $vgpr46
	s_or_saveexec_b32 s17, s17
	v_mov_b32_e32 v45, s16
	s_xor_b32 exec_lo, exec_lo, s17
	s_cbranch_execz .LBB6_6310
.LBB6_7237:                             ;   in Loop: Header=BB6_6112 Depth=3
	v_cmp_ne_u16_e32 vcc_lo, 0, v46
	v_mov_b32_e32 v45, 0
	s_and_not1_b32 s13, s13, exec_lo
	s_and_b32 s16, vcc_lo, exec_lo
	s_delay_alu instid0(SALU_CYCLE_1)
	s_or_b32 s13, s13, s16
	s_or_b32 exec_lo, exec_lo, s17
	s_and_saveexec_b32 s16, s13
	s_cbranch_execnz .LBB6_6311
	s_branch .LBB6_6312
.LBB6_7238:                             ;   in Loop: Header=BB6_6112 Depth=3
	s_mov_b32 s13, -1
	s_mov_b32 s30, exec_lo
                                        ; implicit-def: $sgpr16
	v_cmpx_eq_u16_e32 0x80, v46
; %bb.7239:                             ;   in Loop: Header=BB6_6112 Depth=3
	s_mov_b32 s16, 0x7f800001
	s_xor_b32 s13, exec_lo, -1
; %bb.7240:                             ;   in Loop: Header=BB6_6112 Depth=3
	s_or_b32 exec_lo, exec_lo, s30
	s_delay_alu instid0(SALU_CYCLE_1)
	s_and_b32 s13, s13, exec_lo
	s_or_saveexec_b32 s17, s17
	v_mov_b32_e32 v45, s16
	s_xor_b32 exec_lo, exec_lo, s17
	s_cbranch_execz .LBB6_6322
.LBB6_7241:                             ;   in Loop: Header=BB6_6112 Depth=3
	v_cmp_ne_u16_e32 vcc_lo, 0, v46
	v_mov_b32_e32 v45, 0
	s_and_not1_b32 s13, s13, exec_lo
	s_and_b32 s16, vcc_lo, exec_lo
	s_delay_alu instid0(SALU_CYCLE_1)
	s_or_b32 s13, s13, s16
	s_or_b32 exec_lo, exec_lo, s17
	s_and_saveexec_b32 s16, s13
	s_cbranch_execnz .LBB6_6323
	s_branch .LBB6_6324
.LBB6_7242:                             ;   in Loop: Header=BB6_6112 Depth=3
	s_mov_b32 s13, -1
	s_mov_b32 s30, exec_lo
                                        ; implicit-def: $sgpr16
	v_cmpx_eq_u16_e32 0x80, v46
; %bb.7243:                             ;   in Loop: Header=BB6_6112 Depth=3
	s_mov_b32 s16, 0x7f800001
	s_xor_b32 s13, exec_lo, -1
; %bb.7244:                             ;   in Loop: Header=BB6_6112 Depth=3
	s_or_b32 exec_lo, exec_lo, s30
	s_delay_alu instid0(SALU_CYCLE_1)
	s_and_b32 s13, s13, exec_lo
	s_or_saveexec_b32 s17, s17
	v_mov_b32_e32 v47, s16
	s_xor_b32 exec_lo, exec_lo, s17
	s_cbranch_execz .LBB6_6326
.LBB6_7245:                             ;   in Loop: Header=BB6_6112 Depth=3
	v_cmp_ne_u16_e32 vcc_lo, 0, v46
	v_mov_b32_e32 v47, 0
	s_and_not1_b32 s13, s13, exec_lo
	s_and_b32 s16, vcc_lo, exec_lo
	s_delay_alu instid0(SALU_CYCLE_1)
	s_or_b32 s13, s13, s16
	s_or_b32 exec_lo, exec_lo, s17
	s_and_saveexec_b32 s16, s13
	s_cbranch_execnz .LBB6_6327
	s_branch .LBB6_6328
.LBB6_7246:                             ;   in Loop: Header=BB6_6112 Depth=3
	s_mov_b32 s13, -1
	s_mov_b32 s30, exec_lo
                                        ; implicit-def: $sgpr16
	v_cmpx_eq_u16_e32 0x80, v56
; %bb.7247:                             ;   in Loop: Header=BB6_6112 Depth=3
	s_mov_b32 s16, 0x7f800001
	s_xor_b32 s13, exec_lo, -1
; %bb.7248:                             ;   in Loop: Header=BB6_6112 Depth=3
	s_or_b32 exec_lo, exec_lo, s30
	s_delay_alu instid0(SALU_CYCLE_1)
	s_and_b32 s13, s13, exec_lo
                                        ; implicit-def: $vgpr56
	s_or_saveexec_b32 s17, s17
	v_mov_b32_e32 v46, s16
	s_xor_b32 exec_lo, exec_lo, s17
	s_cbranch_execz .LBB6_6338
.LBB6_7249:                             ;   in Loop: Header=BB6_6112 Depth=3
	v_cmp_ne_u16_e32 vcc_lo, 0, v56
	v_mov_b32_e32 v46, 0
	s_and_not1_b32 s13, s13, exec_lo
	s_and_b32 s16, vcc_lo, exec_lo
	s_delay_alu instid0(SALU_CYCLE_1)
	s_or_b32 s13, s13, s16
	s_or_b32 exec_lo, exec_lo, s17
	s_and_saveexec_b32 s16, s13
	s_cbranch_execnz .LBB6_6339
	s_branch .LBB6_6340
.LBB6_7250:                             ;   in Loop: Header=BB6_6112 Depth=3
	s_mov_b32 s13, -1
	s_mov_b32 s30, exec_lo
                                        ; implicit-def: $sgpr16
	v_cmpx_eq_u16_e32 0x80, v57
; %bb.7251:                             ;   in Loop: Header=BB6_6112 Depth=3
	s_mov_b32 s16, 0x7f800001
	s_xor_b32 s13, exec_lo, -1
; %bb.7252:                             ;   in Loop: Header=BB6_6112 Depth=3
	s_or_b32 exec_lo, exec_lo, s30
	s_delay_alu instid0(SALU_CYCLE_1)
	s_and_b32 s13, s13, exec_lo
                                        ; implicit-def: $vgpr57
	s_or_saveexec_b32 s17, s17
	v_mov_b32_e32 v56, s16
	s_xor_b32 exec_lo, exec_lo, s17
	s_cbranch_execz .LBB6_6342
.LBB6_7253:                             ;   in Loop: Header=BB6_6112 Depth=3
	v_cmp_ne_u16_e32 vcc_lo, 0, v57
	v_mov_b32_e32 v56, 0
	s_and_not1_b32 s13, s13, exec_lo
	s_and_b32 s16, vcc_lo, exec_lo
	s_delay_alu instid0(SALU_CYCLE_1)
	s_or_b32 s13, s13, s16
	s_or_b32 exec_lo, exec_lo, s17
	s_and_saveexec_b32 s16, s13
	s_cbranch_execnz .LBB6_6343
	s_branch .LBB6_6344
.LBB6_7254:                             ;   in Loop: Header=BB6_6112 Depth=3
	s_mov_b32 s13, -1
	s_mov_b32 s30, exec_lo
                                        ; implicit-def: $sgpr16
	v_cmpx_eq_u16_e32 0x80, v56
; %bb.7255:                             ;   in Loop: Header=BB6_6112 Depth=3
	s_mov_b32 s16, 0x7f800001
	s_xor_b32 s13, exec_lo, -1
; %bb.7256:                             ;   in Loop: Header=BB6_6112 Depth=3
	s_or_b32 exec_lo, exec_lo, s30
	s_delay_alu instid0(SALU_CYCLE_1)
	s_and_b32 s13, s13, exec_lo
	s_or_saveexec_b32 s17, s17
	v_mov_b32_e32 v47, s16
	s_xor_b32 exec_lo, exec_lo, s17
	s_cbranch_execz .LBB6_6354
.LBB6_7257:                             ;   in Loop: Header=BB6_6112 Depth=3
	v_cmp_ne_u16_e32 vcc_lo, 0, v56
	v_mov_b32_e32 v47, 0
	s_and_not1_b32 s13, s13, exec_lo
	s_and_b32 s16, vcc_lo, exec_lo
	s_delay_alu instid0(SALU_CYCLE_1)
	s_or_b32 s13, s13, s16
	s_or_b32 exec_lo, exec_lo, s17
	s_and_saveexec_b32 s16, s13
	s_cbranch_execnz .LBB6_6355
	s_branch .LBB6_6356
.LBB6_7258:                             ;   in Loop: Header=BB6_6112 Depth=3
	s_mov_b32 s13, -1
	s_mov_b32 s30, exec_lo
                                        ; implicit-def: $sgpr16
	v_cmpx_eq_u16_e32 0x80, v51
; %bb.7259:                             ;   in Loop: Header=BB6_6112 Depth=3
	s_mov_b32 s16, 0x7f800001
	s_xor_b32 s13, exec_lo, -1
; %bb.7260:                             ;   in Loop: Header=BB6_6112 Depth=3
	s_or_b32 exec_lo, exec_lo, s30
	s_delay_alu instid0(SALU_CYCLE_1)
	s_and_b32 s13, s13, exec_lo
	s_or_saveexec_b32 s17, s17
	v_mov_b32_e32 v56, s16
	s_xor_b32 exec_lo, exec_lo, s17
	s_cbranch_execz .LBB6_6358
.LBB6_7261:                             ;   in Loop: Header=BB6_6112 Depth=3
	v_cmp_ne_u16_e32 vcc_lo, 0, v51
	v_mov_b32_e32 v56, 0
	s_and_not1_b32 s13, s13, exec_lo
	s_and_b32 s16, vcc_lo, exec_lo
	s_delay_alu instid0(SALU_CYCLE_1)
	s_or_b32 s13, s13, s16
	s_or_b32 exec_lo, exec_lo, s17
	s_and_saveexec_b32 s16, s13
	s_cbranch_execnz .LBB6_6359
	s_branch .LBB6_6360
.LBB6_7262:                             ;   in Loop: Header=BB6_6112 Depth=3
	s_mov_b32 s13, -1
	s_mov_b32 s30, exec_lo
                                        ; implicit-def: $sgpr16
	v_cmpx_eq_u16_e32 0x80, v47
; %bb.7263:                             ;   in Loop: Header=BB6_6112 Depth=3
	s_mov_b32 s16, 0x7f800001
	s_xor_b32 s13, exec_lo, -1
; %bb.7264:                             ;   in Loop: Header=BB6_6112 Depth=3
	s_or_b32 exec_lo, exec_lo, s30
	s_delay_alu instid0(SALU_CYCLE_1)
	s_and_b32 s13, s13, exec_lo
                                        ; implicit-def: $vgpr47
	s_or_saveexec_b32 s17, s17
	v_mov_b32_e32 v51, s16
	s_xor_b32 exec_lo, exec_lo, s17
	s_cbranch_execz .LBB6_6370
.LBB6_7265:                             ;   in Loop: Header=BB6_6112 Depth=3
	v_cmp_ne_u16_e32 vcc_lo, 0, v47
	v_mov_b32_e32 v51, 0
	s_and_not1_b32 s13, s13, exec_lo
	s_and_b32 s16, vcc_lo, exec_lo
	s_delay_alu instid0(SALU_CYCLE_1)
	s_or_b32 s13, s13, s16
	s_or_b32 exec_lo, exec_lo, s17
	s_and_saveexec_b32 s16, s13
	s_cbranch_execnz .LBB6_6371
	s_branch .LBB6_6372
.LBB6_7266:                             ;   in Loop: Header=BB6_6112 Depth=3
	s_mov_b32 s13, -1
	s_mov_b32 s30, exec_lo
                                        ; implicit-def: $sgpr16
	v_cmpx_eq_u16_e32 0x80, v56
; %bb.7267:                             ;   in Loop: Header=BB6_6112 Depth=3
	s_mov_b32 s16, 0x7f800001
	s_xor_b32 s13, exec_lo, -1
; %bb.7268:                             ;   in Loop: Header=BB6_6112 Depth=3
	s_or_b32 exec_lo, exec_lo, s30
	s_delay_alu instid0(SALU_CYCLE_1)
	s_and_b32 s13, s13, exec_lo
                                        ; implicit-def: $vgpr56
	s_or_saveexec_b32 s17, s17
	v_mov_b32_e32 v47, s16
	s_xor_b32 exec_lo, exec_lo, s17
	s_cbranch_execz .LBB6_6374
.LBB6_7269:                             ;   in Loop: Header=BB6_6112 Depth=3
	v_cmp_ne_u16_e32 vcc_lo, 0, v56
	v_mov_b32_e32 v47, 0
	s_and_not1_b32 s13, s13, exec_lo
	s_and_b32 s16, vcc_lo, exec_lo
	s_delay_alu instid0(SALU_CYCLE_1)
	s_or_b32 s13, s13, s16
	s_or_b32 exec_lo, exec_lo, s17
	s_and_saveexec_b32 s16, s13
	s_cbranch_execnz .LBB6_6375
	s_branch .LBB6_6376
.LBB6_7270:                             ;   in Loop: Header=BB6_6112 Depth=3
	s_mov_b32 s13, -1
	s_mov_b32 s30, exec_lo
                                        ; implicit-def: $sgpr16
	v_cmpx_eq_u16_e32 0x80, v56
; %bb.7271:                             ;   in Loop: Header=BB6_6112 Depth=3
	s_mov_b32 s16, 0x7f800001
	s_xor_b32 s13, exec_lo, -1
; %bb.7272:                             ;   in Loop: Header=BB6_6112 Depth=3
	s_or_b32 exec_lo, exec_lo, s30
	s_delay_alu instid0(SALU_CYCLE_1)
	s_and_b32 s13, s13, exec_lo
	s_or_saveexec_b32 s17, s17
	v_mov_b32_e32 v47, s16
	s_xor_b32 exec_lo, exec_lo, s17
	s_cbranch_execz .LBB6_6386
.LBB6_7273:                             ;   in Loop: Header=BB6_6112 Depth=3
	v_cmp_ne_u16_e32 vcc_lo, 0, v56
	v_mov_b32_e32 v47, 0
	s_and_not1_b32 s13, s13, exec_lo
	s_and_b32 s16, vcc_lo, exec_lo
	s_delay_alu instid0(SALU_CYCLE_1)
	s_or_b32 s13, s13, s16
	s_or_b32 exec_lo, exec_lo, s17
	s_and_saveexec_b32 s16, s13
	s_cbranch_execnz .LBB6_6387
	s_branch .LBB6_6388
.LBB6_7274:                             ;   in Loop: Header=BB6_6112 Depth=3
	s_mov_b32 s13, -1
	s_mov_b32 s30, exec_lo
                                        ; implicit-def: $sgpr16
	v_cmpx_eq_u16_e32 0x80, v56
; %bb.7275:                             ;   in Loop: Header=BB6_6112 Depth=3
	s_mov_b32 s16, 0x7f800001
	s_xor_b32 s13, exec_lo, -1
; %bb.7276:                             ;   in Loop: Header=BB6_6112 Depth=3
	s_or_b32 exec_lo, exec_lo, s30
	s_delay_alu instid0(SALU_CYCLE_1)
	s_and_b32 s13, s13, exec_lo
	s_or_saveexec_b32 s17, s17
	v_mov_b32_e32 v57, s16
	s_xor_b32 exec_lo, exec_lo, s17
	s_cbranch_execz .LBB6_6390
.LBB6_7277:                             ;   in Loop: Header=BB6_6112 Depth=3
	v_cmp_ne_u16_e32 vcc_lo, 0, v56
	v_mov_b32_e32 v57, 0
	s_and_not1_b32 s13, s13, exec_lo
	s_and_b32 s16, vcc_lo, exec_lo
	s_delay_alu instid0(SALU_CYCLE_1)
	s_or_b32 s13, s13, s16
	s_or_b32 exec_lo, exec_lo, s17
	s_and_saveexec_b32 s16, s13
	s_cbranch_execnz .LBB6_6391
	s_branch .LBB6_6392
.LBB6_7278:                             ;   in Loop: Header=BB6_6112 Depth=3
	s_mov_b32 s13, -1
	s_mov_b32 s30, exec_lo
                                        ; implicit-def: $sgpr16
	v_cmpx_eq_u16_e32 0x80, v58
; %bb.7279:                             ;   in Loop: Header=BB6_6112 Depth=3
	s_mov_b32 s16, 0x7f800001
	s_xor_b32 s13, exec_lo, -1
; %bb.7280:                             ;   in Loop: Header=BB6_6112 Depth=3
	s_or_b32 exec_lo, exec_lo, s30
	s_delay_alu instid0(SALU_CYCLE_1)
	s_and_b32 s13, s13, exec_lo
                                        ; implicit-def: $vgpr58
	s_or_saveexec_b32 s17, s17
	v_mov_b32_e32 v56, s16
	s_xor_b32 exec_lo, exec_lo, s17
	s_cbranch_execz .LBB6_6402
.LBB6_7281:                             ;   in Loop: Header=BB6_6112 Depth=3
	v_cmp_ne_u16_e32 vcc_lo, 0, v58
	v_mov_b32_e32 v56, 0
	s_and_not1_b32 s13, s13, exec_lo
	s_and_b32 s16, vcc_lo, exec_lo
	s_delay_alu instid0(SALU_CYCLE_1)
	s_or_b32 s13, s13, s16
	s_or_b32 exec_lo, exec_lo, s17
	s_and_saveexec_b32 s16, s13
	s_cbranch_execnz .LBB6_6403
	s_branch .LBB6_6404
.LBB6_7282:                             ;   in Loop: Header=BB6_6112 Depth=3
	s_mov_b32 s13, -1
	s_mov_b32 s30, exec_lo
                                        ; implicit-def: $sgpr16
	v_cmpx_eq_u16_e32 0x80, v59
; %bb.7283:                             ;   in Loop: Header=BB6_6112 Depth=3
	s_mov_b32 s16, 0x7f800001
	s_xor_b32 s13, exec_lo, -1
; %bb.7284:                             ;   in Loop: Header=BB6_6112 Depth=3
	s_or_b32 exec_lo, exec_lo, s30
	s_delay_alu instid0(SALU_CYCLE_1)
	s_and_b32 s13, s13, exec_lo
                                        ; implicit-def: $vgpr59
	s_or_saveexec_b32 s17, s17
	v_mov_b32_e32 v58, s16
	s_xor_b32 exec_lo, exec_lo, s17
	s_cbranch_execz .LBB6_6406
.LBB6_7285:                             ;   in Loop: Header=BB6_6112 Depth=3
	v_cmp_ne_u16_e32 vcc_lo, 0, v59
	v_mov_b32_e32 v58, 0
	s_and_not1_b32 s13, s13, exec_lo
	s_and_b32 s16, vcc_lo, exec_lo
	s_delay_alu instid0(SALU_CYCLE_1)
	s_or_b32 s13, s13, s16
	s_or_b32 exec_lo, exec_lo, s17
	s_and_saveexec_b32 s16, s13
	s_cbranch_execnz .LBB6_6407
	s_branch .LBB6_6408
.LBB6_7286:                             ;   in Loop: Header=BB6_6112 Depth=3
	s_mov_b32 s13, -1
	s_mov_b32 s30, exec_lo
                                        ; implicit-def: $sgpr16
	v_cmpx_eq_u16_e32 0x80, v58
; %bb.7287:                             ;   in Loop: Header=BB6_6112 Depth=3
	s_mov_b32 s16, 0x7f800001
	s_xor_b32 s13, exec_lo, -1
; %bb.7288:                             ;   in Loop: Header=BB6_6112 Depth=3
	s_or_b32 exec_lo, exec_lo, s30
	s_delay_alu instid0(SALU_CYCLE_1)
	s_and_b32 s13, s13, exec_lo
	s_or_saveexec_b32 s17, s17
	v_mov_b32_e32 v57, s16
	s_xor_b32 exec_lo, exec_lo, s17
	s_cbranch_execz .LBB6_6418
.LBB6_7289:                             ;   in Loop: Header=BB6_6112 Depth=3
	v_cmp_ne_u16_e32 vcc_lo, 0, v58
	v_mov_b32_e32 v57, 0
	s_and_not1_b32 s13, s13, exec_lo
	s_and_b32 s16, vcc_lo, exec_lo
	s_delay_alu instid0(SALU_CYCLE_1)
	s_or_b32 s13, s13, s16
	s_or_b32 exec_lo, exec_lo, s17
	s_and_saveexec_b32 s16, s13
	s_cbranch_execnz .LBB6_6419
	s_branch .LBB6_6420
.LBB6_7290:                             ;   in Loop: Header=BB6_6112 Depth=3
	s_mov_b32 s13, -1
	s_mov_b32 s30, exec_lo
                                        ; implicit-def: $sgpr16
	v_cmpx_eq_u16_e32 0x80, v32
; %bb.7291:                             ;   in Loop: Header=BB6_6112 Depth=3
	s_mov_b32 s16, 0x7f800001
	s_xor_b32 s13, exec_lo, -1
; %bb.7292:                             ;   in Loop: Header=BB6_6112 Depth=3
	s_or_b32 exec_lo, exec_lo, s30
	s_delay_alu instid0(SALU_CYCLE_1)
	s_and_b32 s13, s13, exec_lo
	s_or_saveexec_b32 s17, s17
	v_mov_b32_e32 v58, s16
	s_xor_b32 exec_lo, exec_lo, s17
	s_cbranch_execz .LBB6_6422
.LBB6_7293:                             ;   in Loop: Header=BB6_6112 Depth=3
	v_cmp_ne_u16_e32 vcc_lo, 0, v32
	v_mov_b32_e32 v58, 0
	s_and_not1_b32 s13, s13, exec_lo
	s_and_b32 s16, vcc_lo, exec_lo
	s_delay_alu instid0(SALU_CYCLE_1)
	s_or_b32 s13, s13, s16
	s_or_b32 exec_lo, exec_lo, s17
	s_and_saveexec_b32 s16, s13
	s_cbranch_execnz .LBB6_6423
	s_branch .LBB6_6424
.LBB6_7294:                             ;   in Loop: Header=BB6_6112 Depth=3
	s_mov_b32 s13, -1
	s_mov_b32 s30, exec_lo
                                        ; implicit-def: $sgpr16
	v_cmpx_eq_u16_e32 0x80, v57
; %bb.7295:                             ;   in Loop: Header=BB6_6112 Depth=3
	s_mov_b32 s16, 0x7f800001
	s_xor_b32 s13, exec_lo, -1
; %bb.7296:                             ;   in Loop: Header=BB6_6112 Depth=3
	s_or_b32 exec_lo, exec_lo, s30
	s_delay_alu instid0(SALU_CYCLE_1)
	s_and_b32 s13, s13, exec_lo
                                        ; implicit-def: $vgpr57
	s_or_saveexec_b32 s17, s17
	v_mov_b32_e32 v32, s16
	s_xor_b32 exec_lo, exec_lo, s17
	s_cbranch_execz .LBB6_6434
.LBB6_7297:                             ;   in Loop: Header=BB6_6112 Depth=3
	v_cmp_ne_u16_e32 vcc_lo, 0, v57
	v_mov_b32_e32 v32, 0
	s_and_not1_b32 s13, s13, exec_lo
	s_and_b32 s16, vcc_lo, exec_lo
	s_delay_alu instid0(SALU_CYCLE_1)
	s_or_b32 s13, s13, s16
	s_or_b32 exec_lo, exec_lo, s17
	s_and_saveexec_b32 s16, s13
	s_cbranch_execnz .LBB6_6435
	s_branch .LBB6_6436
.LBB6_7298:                             ;   in Loop: Header=BB6_6112 Depth=3
	s_mov_b32 s13, -1
	s_mov_b32 s30, exec_lo
                                        ; implicit-def: $sgpr16
	v_cmpx_eq_u16_e32 0x80, v58
; %bb.7299:                             ;   in Loop: Header=BB6_6112 Depth=3
	s_mov_b32 s16, 0x7f800001
	s_xor_b32 s13, exec_lo, -1
; %bb.7300:                             ;   in Loop: Header=BB6_6112 Depth=3
	s_or_b32 exec_lo, exec_lo, s30
	s_delay_alu instid0(SALU_CYCLE_1)
	s_and_b32 s13, s13, exec_lo
                                        ; implicit-def: $vgpr58
	s_or_saveexec_b32 s17, s17
	v_mov_b32_e32 v57, s16
	s_xor_b32 exec_lo, exec_lo, s17
	s_cbranch_execz .LBB6_6438
.LBB6_7301:                             ;   in Loop: Header=BB6_6112 Depth=3
	v_cmp_ne_u16_e32 vcc_lo, 0, v58
	v_mov_b32_e32 v57, 0
	s_and_not1_b32 s13, s13, exec_lo
	s_and_b32 s16, vcc_lo, exec_lo
	s_delay_alu instid0(SALU_CYCLE_1)
	s_or_b32 s13, s13, s16
	s_or_b32 exec_lo, exec_lo, s17
	s_and_saveexec_b32 s16, s13
	s_cbranch_execnz .LBB6_6439
	s_branch .LBB6_6440
.LBB6_7302:                             ;   in Loop: Header=BB6_6112 Depth=3
	s_mov_b32 s13, -1
	s_mov_b32 s30, exec_lo
                                        ; implicit-def: $sgpr16
	v_cmpx_eq_u16_e32 0x80, v58
; %bb.7303:                             ;   in Loop: Header=BB6_6112 Depth=3
	s_mov_b32 s16, 0x7f800001
	s_xor_b32 s13, exec_lo, -1
; %bb.7304:                             ;   in Loop: Header=BB6_6112 Depth=3
	s_or_b32 exec_lo, exec_lo, s30
	s_delay_alu instid0(SALU_CYCLE_1)
	s_and_b32 s13, s13, exec_lo
	s_or_saveexec_b32 s17, s17
	v_mov_b32_e32 v57, s16
	s_xor_b32 exec_lo, exec_lo, s17
	s_cbranch_execz .LBB6_6450
.LBB6_7305:                             ;   in Loop: Header=BB6_6112 Depth=3
	v_cmp_ne_u16_e32 vcc_lo, 0, v58
	v_mov_b32_e32 v57, 0
	s_and_not1_b32 s13, s13, exec_lo
	s_and_b32 s16, vcc_lo, exec_lo
	s_delay_alu instid0(SALU_CYCLE_1)
	s_or_b32 s13, s13, s16
	s_or_b32 exec_lo, exec_lo, s17
	s_and_saveexec_b32 s16, s13
	s_cbranch_execnz .LBB6_6451
	s_branch .LBB6_6452
.LBB6_7306:                             ;   in Loop: Header=BB6_6112 Depth=3
	s_mov_b32 s13, -1
	s_mov_b32 s30, exec_lo
                                        ; implicit-def: $sgpr16
	v_cmpx_eq_u16_e32 0x80, v58
; %bb.7307:                             ;   in Loop: Header=BB6_6112 Depth=3
	s_mov_b32 s16, 0x7f800001
	s_xor_b32 s13, exec_lo, -1
; %bb.7308:                             ;   in Loop: Header=BB6_6112 Depth=3
	s_or_b32 exec_lo, exec_lo, s30
	s_delay_alu instid0(SALU_CYCLE_1)
	s_and_b32 s13, s13, exec_lo
	s_or_saveexec_b32 s17, s17
	v_mov_b32_e32 v59, s16
	s_xor_b32 exec_lo, exec_lo, s17
	s_cbranch_execz .LBB6_6454
.LBB6_7309:                             ;   in Loop: Header=BB6_6112 Depth=3
	v_cmp_ne_u16_e32 vcc_lo, 0, v58
	v_mov_b32_e32 v59, 0
	s_and_not1_b32 s13, s13, exec_lo
	s_and_b32 s16, vcc_lo, exec_lo
	s_delay_alu instid0(SALU_CYCLE_1)
	s_or_b32 s13, s13, s16
	s_or_b32 exec_lo, exec_lo, s17
	s_and_saveexec_b32 s16, s13
	s_cbranch_execnz .LBB6_6455
	s_branch .LBB6_6456
.LBB6_7310:                             ;   in Loop: Header=BB6_6112 Depth=3
	s_mov_b32 s13, -1
	s_mov_b32 s30, exec_lo
                                        ; implicit-def: $sgpr16
	v_cmpx_eq_u16_e32 0x80, v60
; %bb.7311:                             ;   in Loop: Header=BB6_6112 Depth=3
	s_mov_b32 s16, 0x7f800001
	s_xor_b32 s13, exec_lo, -1
; %bb.7312:                             ;   in Loop: Header=BB6_6112 Depth=3
	s_or_b32 exec_lo, exec_lo, s30
	s_delay_alu instid0(SALU_CYCLE_1)
	s_and_b32 s13, s13, exec_lo
                                        ; implicit-def: $vgpr60
	s_or_saveexec_b32 s17, s17
	v_mov_b32_e32 v58, s16
	s_xor_b32 exec_lo, exec_lo, s17
	s_cbranch_execz .LBB6_6466
.LBB6_7313:                             ;   in Loop: Header=BB6_6112 Depth=3
	v_cmp_ne_u16_e32 vcc_lo, 0, v60
	v_mov_b32_e32 v58, 0
	s_and_not1_b32 s13, s13, exec_lo
	s_and_b32 s16, vcc_lo, exec_lo
	s_delay_alu instid0(SALU_CYCLE_1)
	s_or_b32 s13, s13, s16
	s_or_b32 exec_lo, exec_lo, s17
	s_and_saveexec_b32 s16, s13
	s_cbranch_execnz .LBB6_6467
	s_branch .LBB6_6468
.LBB6_7314:                             ;   in Loop: Header=BB6_6112 Depth=3
	s_mov_b32 s13, -1
	s_mov_b32 s30, exec_lo
                                        ; implicit-def: $sgpr16
	v_cmpx_eq_u16_e32 0x80, v61
; %bb.7315:                             ;   in Loop: Header=BB6_6112 Depth=3
	s_mov_b32 s16, 0x7f800001
	s_xor_b32 s13, exec_lo, -1
; %bb.7316:                             ;   in Loop: Header=BB6_6112 Depth=3
	s_or_b32 exec_lo, exec_lo, s30
	s_delay_alu instid0(SALU_CYCLE_1)
	s_and_b32 s13, s13, exec_lo
                                        ; implicit-def: $vgpr61
	s_or_saveexec_b32 s17, s17
	v_mov_b32_e32 v60, s16
	s_xor_b32 exec_lo, exec_lo, s17
	s_cbranch_execz .LBB6_6470
.LBB6_7317:                             ;   in Loop: Header=BB6_6112 Depth=3
	v_cmp_ne_u16_e32 vcc_lo, 0, v61
	v_mov_b32_e32 v60, 0
	s_and_not1_b32 s13, s13, exec_lo
	s_and_b32 s16, vcc_lo, exec_lo
	s_delay_alu instid0(SALU_CYCLE_1)
	s_or_b32 s13, s13, s16
	s_or_b32 exec_lo, exec_lo, s17
	s_and_saveexec_b32 s16, s13
	s_cbranch_execnz .LBB6_6471
	s_branch .LBB6_6472
.LBB6_7318:                             ;   in Loop: Header=BB6_6112 Depth=3
	s_mov_b32 s13, -1
	s_mov_b32 s30, exec_lo
                                        ; implicit-def: $sgpr16
	v_cmpx_eq_u16_e32 0x80, v60
; %bb.7319:                             ;   in Loop: Header=BB6_6112 Depth=3
	s_mov_b32 s16, 0x7f800001
	s_xor_b32 s13, exec_lo, -1
; %bb.7320:                             ;   in Loop: Header=BB6_6112 Depth=3
	s_or_b32 exec_lo, exec_lo, s30
	s_delay_alu instid0(SALU_CYCLE_1)
	s_and_b32 s13, s13, exec_lo
	s_or_saveexec_b32 s17, s17
	v_mov_b32_e32 v59, s16
	s_xor_b32 exec_lo, exec_lo, s17
	s_cbranch_execz .LBB6_6482
.LBB6_7321:                             ;   in Loop: Header=BB6_6112 Depth=3
	v_cmp_ne_u16_e32 vcc_lo, 0, v60
	v_mov_b32_e32 v59, 0
	s_and_not1_b32 s13, s13, exec_lo
	s_and_b32 s16, vcc_lo, exec_lo
	s_delay_alu instid0(SALU_CYCLE_1)
	s_or_b32 s13, s13, s16
	s_or_b32 exec_lo, exec_lo, s17
	s_and_saveexec_b32 s16, s13
	s_cbranch_execnz .LBB6_6483
	s_branch .LBB6_6484
.LBB6_7322:                             ;   in Loop: Header=BB6_6112 Depth=3
	s_mov_b32 s13, -1
	s_mov_b32 s30, exec_lo
                                        ; implicit-def: $sgpr16
	v_cmpx_eq_u16_e32 0x80, v33
; %bb.7323:                             ;   in Loop: Header=BB6_6112 Depth=3
	s_mov_b32 s16, 0x7f800001
	s_xor_b32 s13, exec_lo, -1
; %bb.7324:                             ;   in Loop: Header=BB6_6112 Depth=3
	s_or_b32 exec_lo, exec_lo, s30
	s_delay_alu instid0(SALU_CYCLE_1)
	s_and_b32 s13, s13, exec_lo
	s_or_saveexec_b32 s17, s17
	v_mov_b32_e32 v60, s16
	s_xor_b32 exec_lo, exec_lo, s17
	s_cbranch_execz .LBB6_6486
.LBB6_7325:                             ;   in Loop: Header=BB6_6112 Depth=3
	v_cmp_ne_u16_e32 vcc_lo, 0, v33
	v_mov_b32_e32 v60, 0
	s_and_not1_b32 s13, s13, exec_lo
	s_and_b32 s16, vcc_lo, exec_lo
	s_delay_alu instid0(SALU_CYCLE_1)
	s_or_b32 s13, s13, s16
	s_or_b32 exec_lo, exec_lo, s17
	s_and_saveexec_b32 s16, s13
	s_cbranch_execnz .LBB6_6487
	s_branch .LBB6_6488
.LBB6_7326:                             ;   in Loop: Header=BB6_6112 Depth=3
	s_mov_b32 s13, -1
	s_mov_b32 s30, exec_lo
                                        ; implicit-def: $sgpr16
	v_cmpx_eq_u16_e32 0x80, v59
; %bb.7327:                             ;   in Loop: Header=BB6_6112 Depth=3
	s_mov_b32 s16, 0x7f800001
	s_xor_b32 s13, exec_lo, -1
; %bb.7328:                             ;   in Loop: Header=BB6_6112 Depth=3
	s_or_b32 exec_lo, exec_lo, s30
	s_delay_alu instid0(SALU_CYCLE_1)
	s_and_b32 s13, s13, exec_lo
                                        ; implicit-def: $vgpr59
	s_or_saveexec_b32 s17, s17
	v_mov_b32_e32 v33, s16
	s_xor_b32 exec_lo, exec_lo, s17
	s_cbranch_execz .LBB6_6498
.LBB6_7329:                             ;   in Loop: Header=BB6_6112 Depth=3
	v_cmp_ne_u16_e32 vcc_lo, 0, v59
	v_mov_b32_e32 v33, 0
	s_and_not1_b32 s13, s13, exec_lo
	s_and_b32 s16, vcc_lo, exec_lo
	s_delay_alu instid0(SALU_CYCLE_1)
	s_or_b32 s13, s13, s16
	s_or_b32 exec_lo, exec_lo, s17
	s_and_saveexec_b32 s16, s13
	s_cbranch_execnz .LBB6_6499
	s_branch .LBB6_6500
.LBB6_7330:                             ;   in Loop: Header=BB6_6112 Depth=3
	s_mov_b32 s13, -1
	s_mov_b32 s30, exec_lo
                                        ; implicit-def: $sgpr16
	v_cmpx_eq_u16_e32 0x80, v60
; %bb.7331:                             ;   in Loop: Header=BB6_6112 Depth=3
	s_mov_b32 s16, 0x7f800001
	s_xor_b32 s13, exec_lo, -1
; %bb.7332:                             ;   in Loop: Header=BB6_6112 Depth=3
	s_or_b32 exec_lo, exec_lo, s30
	s_delay_alu instid0(SALU_CYCLE_1)
	s_and_b32 s13, s13, exec_lo
                                        ; implicit-def: $vgpr60
	s_or_saveexec_b32 s17, s17
	v_mov_b32_e32 v59, s16
	s_xor_b32 exec_lo, exec_lo, s17
	s_cbranch_execz .LBB6_6502
.LBB6_7333:                             ;   in Loop: Header=BB6_6112 Depth=3
	v_cmp_ne_u16_e32 vcc_lo, 0, v60
	v_mov_b32_e32 v59, 0
	s_and_not1_b32 s13, s13, exec_lo
	s_and_b32 s16, vcc_lo, exec_lo
	s_delay_alu instid0(SALU_CYCLE_1)
	s_or_b32 s13, s13, s16
	s_or_b32 exec_lo, exec_lo, s17
	s_and_saveexec_b32 s16, s13
	s_cbranch_execnz .LBB6_6503
	s_branch .LBB6_6504
.LBB6_7334:                             ;   in Loop: Header=BB6_6112 Depth=3
	s_mov_b32 s13, -1
	s_mov_b32 s30, exec_lo
                                        ; implicit-def: $sgpr16
	v_cmpx_eq_u16_e32 0x80, v60
; %bb.7335:                             ;   in Loop: Header=BB6_6112 Depth=3
	s_mov_b32 s16, 0x7f800001
	s_xor_b32 s13, exec_lo, -1
; %bb.7336:                             ;   in Loop: Header=BB6_6112 Depth=3
	s_or_b32 exec_lo, exec_lo, s30
	s_delay_alu instid0(SALU_CYCLE_1)
	s_and_b32 s13, s13, exec_lo
	s_or_saveexec_b32 s17, s17
	v_mov_b32_e32 v59, s16
	s_xor_b32 exec_lo, exec_lo, s17
	s_cbranch_execz .LBB6_6514
.LBB6_7337:                             ;   in Loop: Header=BB6_6112 Depth=3
	v_cmp_ne_u16_e32 vcc_lo, 0, v60
	v_mov_b32_e32 v59, 0
	s_and_not1_b32 s13, s13, exec_lo
	s_and_b32 s16, vcc_lo, exec_lo
	s_delay_alu instid0(SALU_CYCLE_1)
	s_or_b32 s13, s13, s16
	s_or_b32 exec_lo, exec_lo, s17
	s_and_saveexec_b32 s16, s13
	s_cbranch_execnz .LBB6_6515
	s_branch .LBB6_6516
.LBB6_7338:                             ;   in Loop: Header=BB6_6112 Depth=3
	s_mov_b32 s13, -1
	s_mov_b32 s30, exec_lo
                                        ; implicit-def: $sgpr16
	v_cmpx_eq_u16_e32 0x80, v60
; %bb.7339:                             ;   in Loop: Header=BB6_6112 Depth=3
	s_mov_b32 s16, 0x7f800001
	s_xor_b32 s13, exec_lo, -1
; %bb.7340:                             ;   in Loop: Header=BB6_6112 Depth=3
	s_or_b32 exec_lo, exec_lo, s30
	s_delay_alu instid0(SALU_CYCLE_1)
	s_and_b32 s13, s13, exec_lo
	s_or_saveexec_b32 s17, s17
	v_mov_b32_e32 v61, s16
	s_xor_b32 exec_lo, exec_lo, s17
	s_cbranch_execz .LBB6_6518
.LBB6_7341:                             ;   in Loop: Header=BB6_6112 Depth=3
	v_cmp_ne_u16_e32 vcc_lo, 0, v60
	v_mov_b32_e32 v61, 0
	s_and_not1_b32 s13, s13, exec_lo
	s_and_b32 s16, vcc_lo, exec_lo
	s_delay_alu instid0(SALU_CYCLE_1)
	s_or_b32 s13, s13, s16
	s_or_b32 exec_lo, exec_lo, s17
	s_and_saveexec_b32 s16, s13
	s_cbranch_execnz .LBB6_6519
	s_branch .LBB6_6520
.LBB6_7342:                             ;   in Loop: Header=BB6_6112 Depth=3
	s_mov_b32 s13, -1
	s_mov_b32 s30, exec_lo
                                        ; implicit-def: $sgpr16
	v_cmpx_eq_u16_e32 0x80, v62
; %bb.7343:                             ;   in Loop: Header=BB6_6112 Depth=3
	s_mov_b32 s16, 0x7f800001
	s_xor_b32 s13, exec_lo, -1
; %bb.7344:                             ;   in Loop: Header=BB6_6112 Depth=3
	s_or_b32 exec_lo, exec_lo, s30
	s_delay_alu instid0(SALU_CYCLE_1)
	s_and_b32 s13, s13, exec_lo
                                        ; implicit-def: $vgpr62
	s_or_saveexec_b32 s17, s17
	v_mov_b32_e32 v60, s16
	s_xor_b32 exec_lo, exec_lo, s17
	s_cbranch_execz .LBB6_6530
.LBB6_7345:                             ;   in Loop: Header=BB6_6112 Depth=3
	v_cmp_ne_u16_e32 vcc_lo, 0, v62
	v_mov_b32_e32 v60, 0
	s_and_not1_b32 s13, s13, exec_lo
	s_and_b32 s16, vcc_lo, exec_lo
	s_delay_alu instid0(SALU_CYCLE_1)
	s_or_b32 s13, s13, s16
	s_or_b32 exec_lo, exec_lo, s17
	s_and_saveexec_b32 s16, s13
	s_cbranch_execnz .LBB6_6531
	s_branch .LBB6_6532
.LBB6_7346:                             ;   in Loop: Header=BB6_6112 Depth=3
	s_mov_b32 s13, -1
	s_mov_b32 s30, exec_lo
                                        ; implicit-def: $sgpr16
	v_cmpx_eq_u16_e32 0x80, v63
; %bb.7347:                             ;   in Loop: Header=BB6_6112 Depth=3
	s_mov_b32 s16, 0x7f800001
	s_xor_b32 s13, exec_lo, -1
; %bb.7348:                             ;   in Loop: Header=BB6_6112 Depth=3
	s_or_b32 exec_lo, exec_lo, s30
	s_delay_alu instid0(SALU_CYCLE_1)
	s_and_b32 s13, s13, exec_lo
                                        ; implicit-def: $vgpr63
	s_or_saveexec_b32 s17, s17
	v_mov_b32_e32 v62, s16
	s_xor_b32 exec_lo, exec_lo, s17
	s_cbranch_execz .LBB6_6534
.LBB6_7349:                             ;   in Loop: Header=BB6_6112 Depth=3
	v_cmp_ne_u16_e32 vcc_lo, 0, v63
	v_mov_b32_e32 v62, 0
	s_and_not1_b32 s13, s13, exec_lo
	s_and_b32 s16, vcc_lo, exec_lo
	s_delay_alu instid0(SALU_CYCLE_1)
	s_or_b32 s13, s13, s16
	s_or_b32 exec_lo, exec_lo, s17
	s_and_saveexec_b32 s16, s13
	s_cbranch_execnz .LBB6_6535
	s_branch .LBB6_6536
.LBB6_7350:                             ;   in Loop: Header=BB6_6112 Depth=3
	s_mov_b32 s13, -1
	s_mov_b32 s30, exec_lo
                                        ; implicit-def: $sgpr16
	v_cmpx_eq_u16_e32 0x80, v62
; %bb.7351:                             ;   in Loop: Header=BB6_6112 Depth=3
	s_mov_b32 s16, 0x7f800001
	s_xor_b32 s13, exec_lo, -1
; %bb.7352:                             ;   in Loop: Header=BB6_6112 Depth=3
	s_or_b32 exec_lo, exec_lo, s30
	s_delay_alu instid0(SALU_CYCLE_1)
	s_and_b32 s13, s13, exec_lo
	s_or_saveexec_b32 s17, s17
	v_mov_b32_e32 v61, s16
	s_xor_b32 exec_lo, exec_lo, s17
	s_cbranch_execz .LBB6_6546
.LBB6_7353:                             ;   in Loop: Header=BB6_6112 Depth=3
	v_cmp_ne_u16_e32 vcc_lo, 0, v62
	v_mov_b32_e32 v61, 0
	s_and_not1_b32 s13, s13, exec_lo
	s_and_b32 s16, vcc_lo, exec_lo
	s_delay_alu instid0(SALU_CYCLE_1)
	s_or_b32 s13, s13, s16
	s_or_b32 exec_lo, exec_lo, s17
	s_and_saveexec_b32 s16, s13
	s_cbranch_execnz .LBB6_6547
	s_branch .LBB6_6548
.LBB6_7354:                             ;   in Loop: Header=BB6_6112 Depth=3
	s_mov_b32 s13, -1
	s_mov_b32 s30, exec_lo
                                        ; implicit-def: $sgpr16
	v_cmpx_eq_u16_e32 0x80, v34
; %bb.7355:                             ;   in Loop: Header=BB6_6112 Depth=3
	s_mov_b32 s16, 0x7f800001
	s_xor_b32 s13, exec_lo, -1
; %bb.7356:                             ;   in Loop: Header=BB6_6112 Depth=3
	s_or_b32 exec_lo, exec_lo, s30
	s_delay_alu instid0(SALU_CYCLE_1)
	s_and_b32 s13, s13, exec_lo
	s_or_saveexec_b32 s17, s17
	v_mov_b32_e32 v62, s16
	s_xor_b32 exec_lo, exec_lo, s17
	s_cbranch_execz .LBB6_6550
.LBB6_7357:                             ;   in Loop: Header=BB6_6112 Depth=3
	v_cmp_ne_u16_e32 vcc_lo, 0, v34
	v_mov_b32_e32 v62, 0
	s_and_not1_b32 s13, s13, exec_lo
	s_and_b32 s16, vcc_lo, exec_lo
	s_delay_alu instid0(SALU_CYCLE_1)
	s_or_b32 s13, s13, s16
	s_or_b32 exec_lo, exec_lo, s17
	s_and_saveexec_b32 s16, s13
	s_cbranch_execnz .LBB6_6551
	s_branch .LBB6_6552
.LBB6_7358:                             ;   in Loop: Header=BB6_6112 Depth=3
	s_mov_b32 s13, -1
	s_mov_b32 s30, exec_lo
                                        ; implicit-def: $sgpr16
	v_cmpx_eq_u16_e32 0x80, v61
; %bb.7359:                             ;   in Loop: Header=BB6_6112 Depth=3
	s_mov_b32 s16, 0x7f800001
	s_xor_b32 s13, exec_lo, -1
; %bb.7360:                             ;   in Loop: Header=BB6_6112 Depth=3
	s_or_b32 exec_lo, exec_lo, s30
	s_delay_alu instid0(SALU_CYCLE_1)
	s_and_b32 s13, s13, exec_lo
                                        ; implicit-def: $vgpr61
	s_or_saveexec_b32 s17, s17
	v_mov_b32_e32 v34, s16
	s_xor_b32 exec_lo, exec_lo, s17
	s_cbranch_execz .LBB6_6562
.LBB6_7361:                             ;   in Loop: Header=BB6_6112 Depth=3
	v_cmp_ne_u16_e32 vcc_lo, 0, v61
	v_mov_b32_e32 v34, 0
	s_and_not1_b32 s13, s13, exec_lo
	s_and_b32 s16, vcc_lo, exec_lo
	s_delay_alu instid0(SALU_CYCLE_1)
	s_or_b32 s13, s13, s16
	s_or_b32 exec_lo, exec_lo, s17
	s_and_saveexec_b32 s16, s13
	s_cbranch_execnz .LBB6_6563
	s_branch .LBB6_6564
.LBB6_7362:                             ;   in Loop: Header=BB6_6112 Depth=3
	s_mov_b32 s13, -1
	s_mov_b32 s30, exec_lo
                                        ; implicit-def: $sgpr16
	v_cmpx_eq_u16_e32 0x80, v62
; %bb.7363:                             ;   in Loop: Header=BB6_6112 Depth=3
	s_mov_b32 s16, 0x7f800001
	s_xor_b32 s13, exec_lo, -1
; %bb.7364:                             ;   in Loop: Header=BB6_6112 Depth=3
	s_or_b32 exec_lo, exec_lo, s30
	s_delay_alu instid0(SALU_CYCLE_1)
	s_and_b32 s13, s13, exec_lo
                                        ; implicit-def: $vgpr62
	s_or_saveexec_b32 s17, s17
	v_mov_b32_e32 v61, s16
	s_xor_b32 exec_lo, exec_lo, s17
	s_cbranch_execz .LBB6_6566
.LBB6_7365:                             ;   in Loop: Header=BB6_6112 Depth=3
	v_cmp_ne_u16_e32 vcc_lo, 0, v62
	v_mov_b32_e32 v61, 0
	s_and_not1_b32 s13, s13, exec_lo
	s_and_b32 s16, vcc_lo, exec_lo
	s_delay_alu instid0(SALU_CYCLE_1)
	s_or_b32 s13, s13, s16
	s_or_b32 exec_lo, exec_lo, s17
	s_and_saveexec_b32 s16, s13
	s_cbranch_execnz .LBB6_6567
	s_branch .LBB6_6568
.LBB6_7366:                             ;   in Loop: Header=BB6_6112 Depth=3
	s_mov_b32 s13, -1
	s_mov_b32 s30, exec_lo
                                        ; implicit-def: $sgpr16
	v_cmpx_eq_u16_e32 0x80, v62
; %bb.7367:                             ;   in Loop: Header=BB6_6112 Depth=3
	s_mov_b32 s16, 0x7f800001
	s_xor_b32 s13, exec_lo, -1
; %bb.7368:                             ;   in Loop: Header=BB6_6112 Depth=3
	s_or_b32 exec_lo, exec_lo, s30
	s_delay_alu instid0(SALU_CYCLE_1)
	s_and_b32 s13, s13, exec_lo
	s_or_saveexec_b32 s17, s17
	v_mov_b32_e32 v61, s16
	s_xor_b32 exec_lo, exec_lo, s17
	s_cbranch_execz .LBB6_6578
.LBB6_7369:                             ;   in Loop: Header=BB6_6112 Depth=3
	v_cmp_ne_u16_e32 vcc_lo, 0, v62
	v_mov_b32_e32 v61, 0
	s_and_not1_b32 s13, s13, exec_lo
	s_and_b32 s16, vcc_lo, exec_lo
	s_delay_alu instid0(SALU_CYCLE_1)
	s_or_b32 s13, s13, s16
	s_or_b32 exec_lo, exec_lo, s17
	s_and_saveexec_b32 s16, s13
	s_cbranch_execnz .LBB6_6579
	s_branch .LBB6_6580
.LBB6_7370:                             ;   in Loop: Header=BB6_6112 Depth=3
	s_mov_b32 s13, -1
	s_mov_b32 s30, exec_lo
                                        ; implicit-def: $sgpr16
	v_cmpx_eq_u16_e32 0x80, v62
; %bb.7371:                             ;   in Loop: Header=BB6_6112 Depth=3
	s_mov_b32 s16, 0x7f800001
	s_xor_b32 s13, exec_lo, -1
; %bb.7372:                             ;   in Loop: Header=BB6_6112 Depth=3
	s_or_b32 exec_lo, exec_lo, s30
	s_delay_alu instid0(SALU_CYCLE_1)
	s_and_b32 s13, s13, exec_lo
	s_or_saveexec_b32 s17, s17
	v_mov_b32_e32 v63, s16
	s_xor_b32 exec_lo, exec_lo, s17
	s_cbranch_execz .LBB6_6582
.LBB6_7373:                             ;   in Loop: Header=BB6_6112 Depth=3
	v_cmp_ne_u16_e32 vcc_lo, 0, v62
	v_mov_b32_e32 v63, 0
	s_and_not1_b32 s13, s13, exec_lo
	s_and_b32 s16, vcc_lo, exec_lo
	s_delay_alu instid0(SALU_CYCLE_1)
	s_or_b32 s13, s13, s16
	s_or_b32 exec_lo, exec_lo, s17
	s_and_saveexec_b32 s16, s13
	s_cbranch_execnz .LBB6_6583
	s_branch .LBB6_6584
.LBB6_7374:                             ;   in Loop: Header=BB6_6112 Depth=3
	s_mov_b32 s13, -1
	s_mov_b32 s30, exec_lo
                                        ; implicit-def: $sgpr16
	v_cmpx_eq_u16_e32 0x80, v72
; %bb.7375:                             ;   in Loop: Header=BB6_6112 Depth=3
	s_mov_b32 s16, 0x7f800001
	s_xor_b32 s13, exec_lo, -1
; %bb.7376:                             ;   in Loop: Header=BB6_6112 Depth=3
	s_or_b32 exec_lo, exec_lo, s30
	s_delay_alu instid0(SALU_CYCLE_1)
	s_and_b32 s13, s13, exec_lo
                                        ; implicit-def: $vgpr72
	s_or_saveexec_b32 s17, s17
	v_mov_b32_e32 v62, s16
	s_xor_b32 exec_lo, exec_lo, s17
	s_cbranch_execz .LBB6_6594
.LBB6_7377:                             ;   in Loop: Header=BB6_6112 Depth=3
	v_cmp_ne_u16_e32 vcc_lo, 0, v72
	v_mov_b32_e32 v62, 0
	s_and_not1_b32 s13, s13, exec_lo
	s_and_b32 s16, vcc_lo, exec_lo
	s_delay_alu instid0(SALU_CYCLE_1)
	s_or_b32 s13, s13, s16
	s_or_b32 exec_lo, exec_lo, s17
	s_and_saveexec_b32 s16, s13
	s_cbranch_execnz .LBB6_6595
	s_branch .LBB6_6596
.LBB6_7378:                             ;   in Loop: Header=BB6_6112 Depth=3
	s_mov_b32 s13, -1
	s_mov_b32 s30, exec_lo
                                        ; implicit-def: $sgpr16
	v_cmpx_eq_u16_e32 0x80, v73
; %bb.7379:                             ;   in Loop: Header=BB6_6112 Depth=3
	s_mov_b32 s16, 0x7f800001
	s_xor_b32 s13, exec_lo, -1
; %bb.7380:                             ;   in Loop: Header=BB6_6112 Depth=3
	s_or_b32 exec_lo, exec_lo, s30
	s_delay_alu instid0(SALU_CYCLE_1)
	s_and_b32 s13, s13, exec_lo
                                        ; implicit-def: $vgpr73
	s_or_saveexec_b32 s17, s17
	v_mov_b32_e32 v72, s16
	s_xor_b32 exec_lo, exec_lo, s17
	s_cbranch_execz .LBB6_6598
.LBB6_7381:                             ;   in Loop: Header=BB6_6112 Depth=3
	v_cmp_ne_u16_e32 vcc_lo, 0, v73
	v_mov_b32_e32 v72, 0
	s_and_not1_b32 s13, s13, exec_lo
	s_and_b32 s16, vcc_lo, exec_lo
	s_delay_alu instid0(SALU_CYCLE_1)
	s_or_b32 s13, s13, s16
	s_or_b32 exec_lo, exec_lo, s17
	s_and_saveexec_b32 s16, s13
	s_cbranch_execnz .LBB6_6599
	s_branch .LBB6_6600
.LBB6_7382:                             ;   in Loop: Header=BB6_6112 Depth=3
	s_mov_b32 s13, -1
	s_mov_b32 s30, exec_lo
                                        ; implicit-def: $sgpr16
	v_cmpx_eq_u16_e32 0x80, v72
; %bb.7383:                             ;   in Loop: Header=BB6_6112 Depth=3
	s_mov_b32 s16, 0x7f800001
	s_xor_b32 s13, exec_lo, -1
; %bb.7384:                             ;   in Loop: Header=BB6_6112 Depth=3
	s_or_b32 exec_lo, exec_lo, s30
	s_delay_alu instid0(SALU_CYCLE_1)
	s_and_b32 s13, s13, exec_lo
	s_or_saveexec_b32 s17, s17
	v_mov_b32_e32 v63, s16
	s_xor_b32 exec_lo, exec_lo, s17
	s_cbranch_execz .LBB6_6610
.LBB6_7385:                             ;   in Loop: Header=BB6_6112 Depth=3
	v_cmp_ne_u16_e32 vcc_lo, 0, v72
	v_mov_b32_e32 v63, 0
	s_and_not1_b32 s13, s13, exec_lo
	s_and_b32 s16, vcc_lo, exec_lo
	s_delay_alu instid0(SALU_CYCLE_1)
	s_or_b32 s13, s13, s16
	s_or_b32 exec_lo, exec_lo, s17
	s_and_saveexec_b32 s16, s13
	s_cbranch_execnz .LBB6_6611
	s_branch .LBB6_6612
.LBB6_7386:                             ;   in Loop: Header=BB6_6112 Depth=3
	s_mov_b32 s13, -1
	s_mov_b32 s30, exec_lo
                                        ; implicit-def: $sgpr16
	v_cmpx_eq_u16_e32 0x80, v35
; %bb.7387:                             ;   in Loop: Header=BB6_6112 Depth=3
	s_mov_b32 s16, 0x7f800001
	s_xor_b32 s13, exec_lo, -1
; %bb.7388:                             ;   in Loop: Header=BB6_6112 Depth=3
	s_or_b32 exec_lo, exec_lo, s30
	s_delay_alu instid0(SALU_CYCLE_1)
	s_and_b32 s13, s13, exec_lo
	s_or_saveexec_b32 s17, s17
	v_mov_b32_e32 v72, s16
	s_xor_b32 exec_lo, exec_lo, s17
	s_cbranch_execz .LBB6_6614
.LBB6_7389:                             ;   in Loop: Header=BB6_6112 Depth=3
	v_cmp_ne_u16_e32 vcc_lo, 0, v35
	v_mov_b32_e32 v72, 0
	s_and_not1_b32 s13, s13, exec_lo
	s_and_b32 s16, vcc_lo, exec_lo
	s_delay_alu instid0(SALU_CYCLE_1)
	s_or_b32 s13, s13, s16
	s_or_b32 exec_lo, exec_lo, s17
	s_and_saveexec_b32 s16, s13
	s_cbranch_execnz .LBB6_6615
	s_branch .LBB6_6616
.LBB6_7390:                             ;   in Loop: Header=BB6_6112 Depth=3
	s_mov_b32 s13, -1
	s_mov_b32 s30, exec_lo
                                        ; implicit-def: $sgpr16
	v_cmpx_eq_u16_e32 0x80, v63
; %bb.7391:                             ;   in Loop: Header=BB6_6112 Depth=3
	s_mov_b32 s16, 0x7f800001
	s_xor_b32 s13, exec_lo, -1
; %bb.7392:                             ;   in Loop: Header=BB6_6112 Depth=3
	s_or_b32 exec_lo, exec_lo, s30
	s_delay_alu instid0(SALU_CYCLE_1)
	s_and_b32 s13, s13, exec_lo
                                        ; implicit-def: $vgpr63
	s_or_saveexec_b32 s17, s17
	v_mov_b32_e32 v35, s16
	s_xor_b32 exec_lo, exec_lo, s17
	s_cbranch_execz .LBB6_6626
.LBB6_7393:                             ;   in Loop: Header=BB6_6112 Depth=3
	v_cmp_ne_u16_e32 vcc_lo, 0, v63
	v_mov_b32_e32 v35, 0
	s_and_not1_b32 s13, s13, exec_lo
	s_and_b32 s16, vcc_lo, exec_lo
	s_delay_alu instid0(SALU_CYCLE_1)
	s_or_b32 s13, s13, s16
	s_or_b32 exec_lo, exec_lo, s17
	s_and_saveexec_b32 s16, s13
	s_cbranch_execnz .LBB6_6627
	s_branch .LBB6_6628
.LBB6_7394:                             ;   in Loop: Header=BB6_6112 Depth=3
	s_mov_b32 s13, -1
	s_mov_b32 s30, exec_lo
                                        ; implicit-def: $sgpr16
	v_cmpx_eq_u16_e32 0x80, v72
; %bb.7395:                             ;   in Loop: Header=BB6_6112 Depth=3
	s_mov_b32 s16, 0x7f800001
	s_xor_b32 s13, exec_lo, -1
; %bb.7396:                             ;   in Loop: Header=BB6_6112 Depth=3
	s_or_b32 exec_lo, exec_lo, s30
	s_delay_alu instid0(SALU_CYCLE_1)
	s_and_b32 s13, s13, exec_lo
                                        ; implicit-def: $vgpr72
	s_or_saveexec_b32 s17, s17
	v_mov_b32_e32 v63, s16
	s_xor_b32 exec_lo, exec_lo, s17
	s_cbranch_execz .LBB6_6630
.LBB6_7397:                             ;   in Loop: Header=BB6_6112 Depth=3
	v_cmp_ne_u16_e32 vcc_lo, 0, v72
	v_mov_b32_e32 v63, 0
	s_and_not1_b32 s13, s13, exec_lo
	s_and_b32 s16, vcc_lo, exec_lo
	s_delay_alu instid0(SALU_CYCLE_1)
	s_or_b32 s13, s13, s16
	s_or_b32 exec_lo, exec_lo, s17
	s_and_saveexec_b32 s16, s13
	s_cbranch_execnz .LBB6_6631
	s_branch .LBB6_6632
.LBB6_7398:                             ;   in Loop: Header=BB6_6112 Depth=3
	s_mov_b32 s13, -1
	s_mov_b32 s30, exec_lo
                                        ; implicit-def: $sgpr16
	v_cmpx_eq_u16_e32 0x80, v72
; %bb.7399:                             ;   in Loop: Header=BB6_6112 Depth=3
	s_mov_b32 s16, 0x7f800001
	s_xor_b32 s13, exec_lo, -1
; %bb.7400:                             ;   in Loop: Header=BB6_6112 Depth=3
	s_or_b32 exec_lo, exec_lo, s30
	s_delay_alu instid0(SALU_CYCLE_1)
	s_and_b32 s13, s13, exec_lo
	s_or_saveexec_b32 s17, s17
	v_mov_b32_e32 v63, s16
	s_xor_b32 exec_lo, exec_lo, s17
	s_cbranch_execz .LBB6_6642
.LBB6_7401:                             ;   in Loop: Header=BB6_6112 Depth=3
	v_cmp_ne_u16_e32 vcc_lo, 0, v72
	v_mov_b32_e32 v63, 0
	s_and_not1_b32 s13, s13, exec_lo
	s_and_b32 s16, vcc_lo, exec_lo
	s_delay_alu instid0(SALU_CYCLE_1)
	s_or_b32 s13, s13, s16
	s_or_b32 exec_lo, exec_lo, s17
	s_and_saveexec_b32 s16, s13
	s_cbranch_execnz .LBB6_6643
	s_branch .LBB6_6644
.LBB6_7402:                             ;   in Loop: Header=BB6_6112 Depth=3
	s_mov_b32 s13, -1
	s_mov_b32 s30, exec_lo
                                        ; implicit-def: $sgpr16
	v_cmpx_eq_u16_e32 0x80, v72
; %bb.7403:                             ;   in Loop: Header=BB6_6112 Depth=3
	s_mov_b32 s16, 0x7f800001
	s_xor_b32 s13, exec_lo, -1
; %bb.7404:                             ;   in Loop: Header=BB6_6112 Depth=3
	s_or_b32 exec_lo, exec_lo, s30
	s_delay_alu instid0(SALU_CYCLE_1)
	s_and_b32 s13, s13, exec_lo
	s_or_saveexec_b32 s17, s17
	v_mov_b32_e32 v73, s16
	s_xor_b32 exec_lo, exec_lo, s17
	s_cbranch_execz .LBB6_6646
.LBB6_7405:                             ;   in Loop: Header=BB6_6112 Depth=3
	v_cmp_ne_u16_e32 vcc_lo, 0, v72
	v_mov_b32_e32 v73, 0
	s_and_not1_b32 s13, s13, exec_lo
	s_and_b32 s16, vcc_lo, exec_lo
	s_delay_alu instid0(SALU_CYCLE_1)
	s_or_b32 s13, s13, s16
	s_or_b32 exec_lo, exec_lo, s17
	s_and_saveexec_b32 s16, s13
	s_cbranch_execnz .LBB6_6647
	s_branch .LBB6_6648
.LBB6_7406:                             ;   in Loop: Header=BB6_6112 Depth=3
	s_mov_b32 s13, -1
	s_mov_b32 s30, exec_lo
                                        ; implicit-def: $sgpr16
	v_cmpx_eq_u16_e32 0x80, v74
; %bb.7407:                             ;   in Loop: Header=BB6_6112 Depth=3
	s_mov_b32 s16, 0x7f800001
	s_xor_b32 s13, exec_lo, -1
; %bb.7408:                             ;   in Loop: Header=BB6_6112 Depth=3
	s_or_b32 exec_lo, exec_lo, s30
	s_delay_alu instid0(SALU_CYCLE_1)
	s_and_b32 s13, s13, exec_lo
                                        ; implicit-def: $vgpr74
	s_or_saveexec_b32 s17, s17
	v_mov_b32_e32 v72, s16
	s_xor_b32 exec_lo, exec_lo, s17
	s_cbranch_execz .LBB6_6658
.LBB6_7409:                             ;   in Loop: Header=BB6_6112 Depth=3
	v_cmp_ne_u16_e32 vcc_lo, 0, v74
	v_mov_b32_e32 v72, 0
	s_and_not1_b32 s13, s13, exec_lo
	s_and_b32 s16, vcc_lo, exec_lo
	s_delay_alu instid0(SALU_CYCLE_1)
	s_or_b32 s13, s13, s16
	s_or_b32 exec_lo, exec_lo, s17
	s_and_saveexec_b32 s16, s13
	s_cbranch_execnz .LBB6_6659
	s_branch .LBB6_6660
.LBB6_7410:                             ;   in Loop: Header=BB6_6112 Depth=3
	s_mov_b32 s13, -1
	s_mov_b32 s30, exec_lo
                                        ; implicit-def: $sgpr16
	v_cmpx_eq_u16_e32 0x80, v75
; %bb.7411:                             ;   in Loop: Header=BB6_6112 Depth=3
	s_mov_b32 s16, 0x7f800001
	s_xor_b32 s13, exec_lo, -1
; %bb.7412:                             ;   in Loop: Header=BB6_6112 Depth=3
	s_or_b32 exec_lo, exec_lo, s30
	s_delay_alu instid0(SALU_CYCLE_1)
	s_and_b32 s13, s13, exec_lo
                                        ; implicit-def: $vgpr75
	s_or_saveexec_b32 s17, s17
	v_mov_b32_e32 v74, s16
	s_xor_b32 exec_lo, exec_lo, s17
	s_cbranch_execz .LBB6_6662
.LBB6_7413:                             ;   in Loop: Header=BB6_6112 Depth=3
	v_cmp_ne_u16_e32 vcc_lo, 0, v75
	v_mov_b32_e32 v74, 0
	s_and_not1_b32 s13, s13, exec_lo
	s_and_b32 s16, vcc_lo, exec_lo
	s_delay_alu instid0(SALU_CYCLE_1)
	s_or_b32 s13, s13, s16
	s_or_b32 exec_lo, exec_lo, s17
	s_and_saveexec_b32 s16, s13
	s_cbranch_execnz .LBB6_6663
	s_branch .LBB6_6664
.LBB6_7414:                             ;   in Loop: Header=BB6_6112 Depth=3
	s_mov_b32 s13, -1
	s_mov_b32 s30, exec_lo
                                        ; implicit-def: $sgpr16
	v_cmpx_eq_u16_e32 0x80, v74
; %bb.7415:                             ;   in Loop: Header=BB6_6112 Depth=3
	s_mov_b32 s16, 0x7f800001
	s_xor_b32 s13, exec_lo, -1
; %bb.7416:                             ;   in Loop: Header=BB6_6112 Depth=3
	s_or_b32 exec_lo, exec_lo, s30
	s_delay_alu instid0(SALU_CYCLE_1)
	s_and_b32 s13, s13, exec_lo
	s_or_saveexec_b32 s17, s17
	v_mov_b32_e32 v73, s16
	s_xor_b32 exec_lo, exec_lo, s17
	s_cbranch_execz .LBB6_6674
.LBB6_7417:                             ;   in Loop: Header=BB6_6112 Depth=3
	v_cmp_ne_u16_e32 vcc_lo, 0, v74
	v_mov_b32_e32 v73, 0
	s_and_not1_b32 s13, s13, exec_lo
	s_and_b32 s16, vcc_lo, exec_lo
	s_delay_alu instid0(SALU_CYCLE_1)
	s_or_b32 s13, s13, s16
	s_or_b32 exec_lo, exec_lo, s17
	s_and_saveexec_b32 s16, s13
	s_cbranch_execnz .LBB6_6675
	s_branch .LBB6_6676
.LBB6_7418:                             ;   in Loop: Header=BB6_6112 Depth=3
	s_mov_b32 s13, -1
	s_mov_b32 s30, exec_lo
                                        ; implicit-def: $sgpr16
	v_cmpx_eq_u16_e32 0x80, v20
; %bb.7419:                             ;   in Loop: Header=BB6_6112 Depth=3
	s_mov_b32 s16, 0x7f800001
	s_xor_b32 s13, exec_lo, -1
; %bb.7420:                             ;   in Loop: Header=BB6_6112 Depth=3
	s_or_b32 exec_lo, exec_lo, s30
	s_delay_alu instid0(SALU_CYCLE_1)
	s_and_b32 s13, s13, exec_lo
	s_or_saveexec_b32 s17, s17
	v_mov_b32_e32 v74, s16
	s_xor_b32 exec_lo, exec_lo, s17
	s_cbranch_execz .LBB6_6678
.LBB6_7421:                             ;   in Loop: Header=BB6_6112 Depth=3
	v_cmp_ne_u16_e32 vcc_lo, 0, v20
	v_mov_b32_e32 v74, 0
	s_and_not1_b32 s13, s13, exec_lo
	s_and_b32 s16, vcc_lo, exec_lo
	s_delay_alu instid0(SALU_CYCLE_1)
	s_or_b32 s13, s13, s16
	s_or_b32 exec_lo, exec_lo, s17
	s_and_saveexec_b32 s16, s13
	s_cbranch_execnz .LBB6_6679
	s_branch .LBB6_6680
.LBB6_7422:                             ;   in Loop: Header=BB6_6112 Depth=3
	s_mov_b32 s13, -1
	s_mov_b32 s30, exec_lo
                                        ; implicit-def: $sgpr16
	v_cmpx_eq_u16_e32 0x80, v73
; %bb.7423:                             ;   in Loop: Header=BB6_6112 Depth=3
	s_mov_b32 s16, 0x7f800001
	s_xor_b32 s13, exec_lo, -1
; %bb.7424:                             ;   in Loop: Header=BB6_6112 Depth=3
	s_or_b32 exec_lo, exec_lo, s30
	s_delay_alu instid0(SALU_CYCLE_1)
	s_and_b32 s13, s13, exec_lo
                                        ; implicit-def: $vgpr73
	s_or_saveexec_b32 s17, s17
	v_mov_b32_e32 v20, s16
	s_xor_b32 exec_lo, exec_lo, s17
	s_cbranch_execz .LBB6_6690
.LBB6_7425:                             ;   in Loop: Header=BB6_6112 Depth=3
	v_cmp_ne_u16_e32 vcc_lo, 0, v73
	v_mov_b32_e32 v20, 0
	s_and_not1_b32 s13, s13, exec_lo
	s_and_b32 s16, vcc_lo, exec_lo
	s_delay_alu instid0(SALU_CYCLE_1)
	s_or_b32 s13, s13, s16
	s_or_b32 exec_lo, exec_lo, s17
	s_and_saveexec_b32 s16, s13
	s_cbranch_execnz .LBB6_6691
	s_branch .LBB6_6692
.LBB6_7426:                             ;   in Loop: Header=BB6_6112 Depth=3
	s_mov_b32 s13, -1
	s_mov_b32 s30, exec_lo
                                        ; implicit-def: $sgpr16
	v_cmpx_eq_u16_e32 0x80, v74
; %bb.7427:                             ;   in Loop: Header=BB6_6112 Depth=3
	s_mov_b32 s16, 0x7f800001
	s_xor_b32 s13, exec_lo, -1
; %bb.7428:                             ;   in Loop: Header=BB6_6112 Depth=3
	s_or_b32 exec_lo, exec_lo, s30
	s_delay_alu instid0(SALU_CYCLE_1)
	s_and_b32 s13, s13, exec_lo
                                        ; implicit-def: $vgpr74
	s_or_saveexec_b32 s17, s17
	v_mov_b32_e32 v73, s16
	s_xor_b32 exec_lo, exec_lo, s17
	s_cbranch_execz .LBB6_6694
.LBB6_7429:                             ;   in Loop: Header=BB6_6112 Depth=3
	v_cmp_ne_u16_e32 vcc_lo, 0, v74
	v_mov_b32_e32 v73, 0
	s_and_not1_b32 s13, s13, exec_lo
	s_and_b32 s16, vcc_lo, exec_lo
	s_delay_alu instid0(SALU_CYCLE_1)
	s_or_b32 s13, s13, s16
	s_or_b32 exec_lo, exec_lo, s17
	s_and_saveexec_b32 s16, s13
	s_cbranch_execnz .LBB6_6695
	s_branch .LBB6_6696
.LBB6_7430:                             ;   in Loop: Header=BB6_6112 Depth=3
	s_mov_b32 s13, -1
	s_mov_b32 s30, exec_lo
                                        ; implicit-def: $sgpr16
	v_cmpx_eq_u16_e32 0x80, v74
; %bb.7431:                             ;   in Loop: Header=BB6_6112 Depth=3
	s_mov_b32 s16, 0x7f800001
	s_xor_b32 s13, exec_lo, -1
; %bb.7432:                             ;   in Loop: Header=BB6_6112 Depth=3
	s_or_b32 exec_lo, exec_lo, s30
	s_delay_alu instid0(SALU_CYCLE_1)
	s_and_b32 s13, s13, exec_lo
	s_or_saveexec_b32 s17, s17
	v_mov_b32_e32 v73, s16
	s_xor_b32 exec_lo, exec_lo, s17
	s_cbranch_execz .LBB6_6706
.LBB6_7433:                             ;   in Loop: Header=BB6_6112 Depth=3
	v_cmp_ne_u16_e32 vcc_lo, 0, v74
	v_mov_b32_e32 v73, 0
	s_and_not1_b32 s13, s13, exec_lo
	s_and_b32 s16, vcc_lo, exec_lo
	s_delay_alu instid0(SALU_CYCLE_1)
	s_or_b32 s13, s13, s16
	s_or_b32 exec_lo, exec_lo, s17
	s_and_saveexec_b32 s16, s13
	s_cbranch_execnz .LBB6_6707
	s_branch .LBB6_6708
.LBB6_7434:                             ;   in Loop: Header=BB6_6112 Depth=3
	s_mov_b32 s13, -1
	s_mov_b32 s30, exec_lo
                                        ; implicit-def: $sgpr16
	v_cmpx_eq_u16_e32 0x80, v74
; %bb.7435:                             ;   in Loop: Header=BB6_6112 Depth=3
	s_mov_b32 s16, 0x7f800001
	s_xor_b32 s13, exec_lo, -1
; %bb.7436:                             ;   in Loop: Header=BB6_6112 Depth=3
	s_or_b32 exec_lo, exec_lo, s30
	s_delay_alu instid0(SALU_CYCLE_1)
	s_and_b32 s13, s13, exec_lo
	s_or_saveexec_b32 s17, s17
	v_mov_b32_e32 v75, s16
	s_xor_b32 exec_lo, exec_lo, s17
	s_cbranch_execz .LBB6_6710
.LBB6_7437:                             ;   in Loop: Header=BB6_6112 Depth=3
	v_cmp_ne_u16_e32 vcc_lo, 0, v74
	v_mov_b32_e32 v75, 0
	s_and_not1_b32 s13, s13, exec_lo
	s_and_b32 s16, vcc_lo, exec_lo
	s_delay_alu instid0(SALU_CYCLE_1)
	s_or_b32 s13, s13, s16
	s_or_b32 exec_lo, exec_lo, s17
	s_and_saveexec_b32 s16, s13
	s_cbranch_execnz .LBB6_6711
	s_branch .LBB6_6712
.LBB6_7438:                             ;   in Loop: Header=BB6_6112 Depth=3
	s_mov_b32 s13, -1
	s_mov_b32 s30, exec_lo
                                        ; implicit-def: $sgpr16
	v_cmpx_eq_u16_e32 0x80, v76
; %bb.7439:                             ;   in Loop: Header=BB6_6112 Depth=3
	s_mov_b32 s16, 0x7f800001
	s_xor_b32 s13, exec_lo, -1
; %bb.7440:                             ;   in Loop: Header=BB6_6112 Depth=3
	s_or_b32 exec_lo, exec_lo, s30
	s_delay_alu instid0(SALU_CYCLE_1)
	s_and_b32 s13, s13, exec_lo
                                        ; implicit-def: $vgpr76
	s_or_saveexec_b32 s17, s17
	v_mov_b32_e32 v74, s16
	s_xor_b32 exec_lo, exec_lo, s17
	s_cbranch_execz .LBB6_6722
.LBB6_7441:                             ;   in Loop: Header=BB6_6112 Depth=3
	v_cmp_ne_u16_e32 vcc_lo, 0, v76
	v_mov_b32_e32 v74, 0
	s_and_not1_b32 s13, s13, exec_lo
	s_and_b32 s16, vcc_lo, exec_lo
	s_delay_alu instid0(SALU_CYCLE_1)
	s_or_b32 s13, s13, s16
	s_or_b32 exec_lo, exec_lo, s17
	s_and_saveexec_b32 s16, s13
	s_cbranch_execnz .LBB6_6723
	s_branch .LBB6_6724
.LBB6_7442:                             ;   in Loop: Header=BB6_6112 Depth=3
	s_mov_b32 s13, -1
	s_mov_b32 s30, exec_lo
                                        ; implicit-def: $sgpr16
	v_cmpx_eq_u16_e32 0x80, v77
; %bb.7443:                             ;   in Loop: Header=BB6_6112 Depth=3
	s_mov_b32 s16, 0x7f800001
	s_xor_b32 s13, exec_lo, -1
; %bb.7444:                             ;   in Loop: Header=BB6_6112 Depth=3
	s_or_b32 exec_lo, exec_lo, s30
	s_delay_alu instid0(SALU_CYCLE_1)
	s_and_b32 s13, s13, exec_lo
                                        ; implicit-def: $vgpr77
	s_or_saveexec_b32 s17, s17
	v_mov_b32_e32 v76, s16
	s_xor_b32 exec_lo, exec_lo, s17
	s_cbranch_execz .LBB6_6726
.LBB6_7445:                             ;   in Loop: Header=BB6_6112 Depth=3
	v_cmp_ne_u16_e32 vcc_lo, 0, v77
	v_mov_b32_e32 v76, 0
	s_and_not1_b32 s13, s13, exec_lo
	s_and_b32 s16, vcc_lo, exec_lo
	s_delay_alu instid0(SALU_CYCLE_1)
	s_or_b32 s13, s13, s16
	s_or_b32 exec_lo, exec_lo, s17
	s_and_saveexec_b32 s16, s13
	s_cbranch_execnz .LBB6_6727
	s_branch .LBB6_6728
.LBB6_7446:                             ;   in Loop: Header=BB6_6112 Depth=3
	s_mov_b32 s13, -1
	s_mov_b32 s30, exec_lo
                                        ; implicit-def: $sgpr16
	v_cmpx_eq_u16_e32 0x80, v76
; %bb.7447:                             ;   in Loop: Header=BB6_6112 Depth=3
	s_mov_b32 s16, 0x7f800001
	s_xor_b32 s13, exec_lo, -1
; %bb.7448:                             ;   in Loop: Header=BB6_6112 Depth=3
	s_or_b32 exec_lo, exec_lo, s30
	s_delay_alu instid0(SALU_CYCLE_1)
	s_and_b32 s13, s13, exec_lo
	s_or_saveexec_b32 s17, s17
	v_mov_b32_e32 v75, s16
	s_xor_b32 exec_lo, exec_lo, s17
	s_cbranch_execz .LBB6_6738
.LBB6_7449:                             ;   in Loop: Header=BB6_6112 Depth=3
	v_cmp_ne_u16_e32 vcc_lo, 0, v76
	v_mov_b32_e32 v75, 0
	s_and_not1_b32 s13, s13, exec_lo
	s_and_b32 s16, vcc_lo, exec_lo
	s_delay_alu instid0(SALU_CYCLE_1)
	s_or_b32 s13, s13, s16
	s_or_b32 exec_lo, exec_lo, s17
	s_and_saveexec_b32 s16, s13
	s_cbranch_execnz .LBB6_6739
	s_branch .LBB6_6740
.LBB6_7450:                             ;   in Loop: Header=BB6_6112 Depth=3
	s_mov_b32 s13, -1
	s_mov_b32 s30, exec_lo
                                        ; implicit-def: $sgpr16
	v_cmpx_eq_u16_e32 0x80, v21
; %bb.7451:                             ;   in Loop: Header=BB6_6112 Depth=3
	s_mov_b32 s16, 0x7f800001
	s_xor_b32 s13, exec_lo, -1
; %bb.7452:                             ;   in Loop: Header=BB6_6112 Depth=3
	s_or_b32 exec_lo, exec_lo, s30
	s_delay_alu instid0(SALU_CYCLE_1)
	s_and_b32 s13, s13, exec_lo
	s_or_saveexec_b32 s17, s17
	v_mov_b32_e32 v76, s16
	s_xor_b32 exec_lo, exec_lo, s17
	s_cbranch_execz .LBB6_6742
.LBB6_7453:                             ;   in Loop: Header=BB6_6112 Depth=3
	v_cmp_ne_u16_e32 vcc_lo, 0, v21
	v_mov_b32_e32 v76, 0
	s_and_not1_b32 s13, s13, exec_lo
	s_and_b32 s16, vcc_lo, exec_lo
	s_delay_alu instid0(SALU_CYCLE_1)
	s_or_b32 s13, s13, s16
	s_or_b32 exec_lo, exec_lo, s17
	s_and_saveexec_b32 s16, s13
	s_cbranch_execnz .LBB6_6743
	s_branch .LBB6_6744
.LBB6_7454:                             ;   in Loop: Header=BB6_6112 Depth=3
	s_mov_b32 s13, -1
	s_mov_b32 s30, exec_lo
                                        ; implicit-def: $sgpr16
	v_cmpx_eq_u16_e32 0x80, v75
; %bb.7455:                             ;   in Loop: Header=BB6_6112 Depth=3
	s_mov_b32 s16, 0x7f800001
	s_xor_b32 s13, exec_lo, -1
; %bb.7456:                             ;   in Loop: Header=BB6_6112 Depth=3
	s_or_b32 exec_lo, exec_lo, s30
	s_delay_alu instid0(SALU_CYCLE_1)
	s_and_b32 s13, s13, exec_lo
                                        ; implicit-def: $vgpr75
	s_or_saveexec_b32 s17, s17
	v_mov_b32_e32 v21, s16
	s_xor_b32 exec_lo, exec_lo, s17
	s_cbranch_execz .LBB6_6754
.LBB6_7457:                             ;   in Loop: Header=BB6_6112 Depth=3
	v_cmp_ne_u16_e32 vcc_lo, 0, v75
	v_mov_b32_e32 v21, 0
	s_and_not1_b32 s13, s13, exec_lo
	s_and_b32 s16, vcc_lo, exec_lo
	s_delay_alu instid0(SALU_CYCLE_1)
	s_or_b32 s13, s13, s16
	s_or_b32 exec_lo, exec_lo, s17
	s_and_saveexec_b32 s16, s13
	s_cbranch_execnz .LBB6_6755
	s_branch .LBB6_6756
.LBB6_7458:                             ;   in Loop: Header=BB6_6112 Depth=3
	s_mov_b32 s13, -1
	s_mov_b32 s30, exec_lo
                                        ; implicit-def: $sgpr16
	v_cmpx_eq_u16_e32 0x80, v76
; %bb.7459:                             ;   in Loop: Header=BB6_6112 Depth=3
	s_mov_b32 s16, 0x7f800001
	s_xor_b32 s13, exec_lo, -1
; %bb.7460:                             ;   in Loop: Header=BB6_6112 Depth=3
	s_or_b32 exec_lo, exec_lo, s30
	s_delay_alu instid0(SALU_CYCLE_1)
	s_and_b32 s13, s13, exec_lo
                                        ; implicit-def: $vgpr76
	s_or_saveexec_b32 s17, s17
	v_mov_b32_e32 v75, s16
	s_xor_b32 exec_lo, exec_lo, s17
	s_cbranch_execz .LBB6_6758
.LBB6_7461:                             ;   in Loop: Header=BB6_6112 Depth=3
	v_cmp_ne_u16_e32 vcc_lo, 0, v76
	v_mov_b32_e32 v75, 0
	s_and_not1_b32 s13, s13, exec_lo
	s_and_b32 s16, vcc_lo, exec_lo
	s_delay_alu instid0(SALU_CYCLE_1)
	s_or_b32 s13, s13, s16
	s_or_b32 exec_lo, exec_lo, s17
	s_and_saveexec_b32 s16, s13
	s_cbranch_execnz .LBB6_6759
	s_branch .LBB6_6760
.LBB6_7462:                             ;   in Loop: Header=BB6_6112 Depth=3
	s_mov_b32 s13, -1
	s_mov_b32 s30, exec_lo
                                        ; implicit-def: $sgpr16
	v_cmpx_eq_u16_e32 0x80, v76
; %bb.7463:                             ;   in Loop: Header=BB6_6112 Depth=3
	s_mov_b32 s16, 0x7f800001
	s_xor_b32 s13, exec_lo, -1
; %bb.7464:                             ;   in Loop: Header=BB6_6112 Depth=3
	s_or_b32 exec_lo, exec_lo, s30
	s_delay_alu instid0(SALU_CYCLE_1)
	s_and_b32 s13, s13, exec_lo
	s_or_saveexec_b32 s17, s17
	v_mov_b32_e32 v75, s16
	s_xor_b32 exec_lo, exec_lo, s17
	s_cbranch_execz .LBB6_6770
.LBB6_7465:                             ;   in Loop: Header=BB6_6112 Depth=3
	v_cmp_ne_u16_e32 vcc_lo, 0, v76
	v_mov_b32_e32 v75, 0
	s_and_not1_b32 s13, s13, exec_lo
	s_and_b32 s16, vcc_lo, exec_lo
	s_delay_alu instid0(SALU_CYCLE_1)
	s_or_b32 s13, s13, s16
	s_or_b32 exec_lo, exec_lo, s17
	s_and_saveexec_b32 s16, s13
	s_cbranch_execnz .LBB6_6771
	s_branch .LBB6_6772
.LBB6_7466:                             ;   in Loop: Header=BB6_6112 Depth=3
	s_mov_b32 s13, -1
	s_mov_b32 s30, exec_lo
                                        ; implicit-def: $sgpr16
	v_cmpx_eq_u16_e32 0x80, v76
; %bb.7467:                             ;   in Loop: Header=BB6_6112 Depth=3
	s_mov_b32 s16, 0x7f800001
	s_xor_b32 s13, exec_lo, -1
; %bb.7468:                             ;   in Loop: Header=BB6_6112 Depth=3
	s_or_b32 exec_lo, exec_lo, s30
	s_delay_alu instid0(SALU_CYCLE_1)
	s_and_b32 s13, s13, exec_lo
	s_or_saveexec_b32 s17, s17
	v_mov_b32_e32 v77, s16
	s_xor_b32 exec_lo, exec_lo, s17
	s_cbranch_execz .LBB6_6774
.LBB6_7469:                             ;   in Loop: Header=BB6_6112 Depth=3
	v_cmp_ne_u16_e32 vcc_lo, 0, v76
	v_mov_b32_e32 v77, 0
	s_and_not1_b32 s13, s13, exec_lo
	s_and_b32 s16, vcc_lo, exec_lo
	s_delay_alu instid0(SALU_CYCLE_1)
	s_or_b32 s13, s13, s16
	s_or_b32 exec_lo, exec_lo, s17
	s_and_saveexec_b32 s16, s13
	s_cbranch_execnz .LBB6_6775
	s_branch .LBB6_6776
.LBB6_7470:                             ;   in Loop: Header=BB6_6112 Depth=3
	s_mov_b32 s13, -1
	s_mov_b32 s30, exec_lo
                                        ; implicit-def: $sgpr16
	v_cmpx_eq_u16_e32 0x80, v78
; %bb.7471:                             ;   in Loop: Header=BB6_6112 Depth=3
	s_mov_b32 s16, 0x7f800001
	s_xor_b32 s13, exec_lo, -1
; %bb.7472:                             ;   in Loop: Header=BB6_6112 Depth=3
	s_or_b32 exec_lo, exec_lo, s30
	s_delay_alu instid0(SALU_CYCLE_1)
	s_and_b32 s13, s13, exec_lo
                                        ; implicit-def: $vgpr78
	s_or_saveexec_b32 s17, s17
	v_mov_b32_e32 v76, s16
	s_xor_b32 exec_lo, exec_lo, s17
	s_cbranch_execz .LBB6_6786
.LBB6_7473:                             ;   in Loop: Header=BB6_6112 Depth=3
	v_cmp_ne_u16_e32 vcc_lo, 0, v78
	v_mov_b32_e32 v76, 0
	s_and_not1_b32 s13, s13, exec_lo
	s_and_b32 s16, vcc_lo, exec_lo
	s_delay_alu instid0(SALU_CYCLE_1)
	s_or_b32 s13, s13, s16
	s_or_b32 exec_lo, exec_lo, s17
	s_and_saveexec_b32 s16, s13
	s_cbranch_execnz .LBB6_6787
	s_branch .LBB6_6788
.LBB6_7474:                             ;   in Loop: Header=BB6_6112 Depth=3
	s_mov_b32 s13, -1
	s_mov_b32 s30, exec_lo
                                        ; implicit-def: $sgpr16
	v_cmpx_eq_u16_e32 0x80, v79
; %bb.7475:                             ;   in Loop: Header=BB6_6112 Depth=3
	s_mov_b32 s16, 0x7f800001
	s_xor_b32 s13, exec_lo, -1
; %bb.7476:                             ;   in Loop: Header=BB6_6112 Depth=3
	s_or_b32 exec_lo, exec_lo, s30
	s_delay_alu instid0(SALU_CYCLE_1)
	s_and_b32 s13, s13, exec_lo
                                        ; implicit-def: $vgpr79
	s_or_saveexec_b32 s17, s17
	v_mov_b32_e32 v78, s16
	s_xor_b32 exec_lo, exec_lo, s17
	s_cbranch_execz .LBB6_6790
.LBB6_7477:                             ;   in Loop: Header=BB6_6112 Depth=3
	v_cmp_ne_u16_e32 vcc_lo, 0, v79
	v_mov_b32_e32 v78, 0
	s_and_not1_b32 s13, s13, exec_lo
	s_and_b32 s16, vcc_lo, exec_lo
	s_delay_alu instid0(SALU_CYCLE_1)
	s_or_b32 s13, s13, s16
	s_or_b32 exec_lo, exec_lo, s17
	s_and_saveexec_b32 s16, s13
	s_cbranch_execnz .LBB6_6791
	s_branch .LBB6_6792
.LBB6_7478:                             ;   in Loop: Header=BB6_6112 Depth=3
	s_mov_b32 s13, -1
	s_mov_b32 s30, exec_lo
                                        ; implicit-def: $sgpr16
	v_cmpx_eq_u16_e32 0x80, v78
; %bb.7479:                             ;   in Loop: Header=BB6_6112 Depth=3
	s_mov_b32 s16, 0x7f800001
	s_xor_b32 s13, exec_lo, -1
; %bb.7480:                             ;   in Loop: Header=BB6_6112 Depth=3
	s_or_b32 exec_lo, exec_lo, s30
	s_delay_alu instid0(SALU_CYCLE_1)
	s_and_b32 s13, s13, exec_lo
	s_or_saveexec_b32 s17, s17
	v_mov_b32_e32 v77, s16
	s_xor_b32 exec_lo, exec_lo, s17
	s_cbranch_execz .LBB6_6802
.LBB6_7481:                             ;   in Loop: Header=BB6_6112 Depth=3
	v_cmp_ne_u16_e32 vcc_lo, 0, v78
	v_mov_b32_e32 v77, 0
	s_and_not1_b32 s13, s13, exec_lo
	s_and_b32 s16, vcc_lo, exec_lo
	s_delay_alu instid0(SALU_CYCLE_1)
	s_or_b32 s13, s13, s16
	s_or_b32 exec_lo, exec_lo, s17
	s_and_saveexec_b32 s16, s13
	s_cbranch_execnz .LBB6_6803
	s_branch .LBB6_6804
.LBB6_7482:                             ;   in Loop: Header=BB6_6112 Depth=3
	s_mov_b32 s13, -1
	s_mov_b32 s30, exec_lo
                                        ; implicit-def: $sgpr16
	v_cmpx_eq_u16_e32 0x80, v22
; %bb.7483:                             ;   in Loop: Header=BB6_6112 Depth=3
	s_mov_b32 s16, 0x7f800001
	s_xor_b32 s13, exec_lo, -1
; %bb.7484:                             ;   in Loop: Header=BB6_6112 Depth=3
	s_or_b32 exec_lo, exec_lo, s30
	s_delay_alu instid0(SALU_CYCLE_1)
	s_and_b32 s13, s13, exec_lo
	s_or_saveexec_b32 s17, s17
	v_mov_b32_e32 v78, s16
	s_xor_b32 exec_lo, exec_lo, s17
	s_cbranch_execz .LBB6_6806
.LBB6_7485:                             ;   in Loop: Header=BB6_6112 Depth=3
	v_cmp_ne_u16_e32 vcc_lo, 0, v22
	v_mov_b32_e32 v78, 0
	s_and_not1_b32 s13, s13, exec_lo
	s_and_b32 s16, vcc_lo, exec_lo
	s_delay_alu instid0(SALU_CYCLE_1)
	s_or_b32 s13, s13, s16
	s_or_b32 exec_lo, exec_lo, s17
	s_and_saveexec_b32 s16, s13
	s_cbranch_execnz .LBB6_6807
	s_branch .LBB6_6808
.LBB6_7486:                             ;   in Loop: Header=BB6_6112 Depth=3
	s_mov_b32 s13, -1
	s_mov_b32 s30, exec_lo
                                        ; implicit-def: $sgpr16
	v_cmpx_eq_u16_e32 0x80, v77
; %bb.7487:                             ;   in Loop: Header=BB6_6112 Depth=3
	s_mov_b32 s16, 0x7f800001
	s_xor_b32 s13, exec_lo, -1
; %bb.7488:                             ;   in Loop: Header=BB6_6112 Depth=3
	s_or_b32 exec_lo, exec_lo, s30
	s_delay_alu instid0(SALU_CYCLE_1)
	s_and_b32 s13, s13, exec_lo
                                        ; implicit-def: $vgpr77
	s_or_saveexec_b32 s17, s17
	v_mov_b32_e32 v22, s16
	s_xor_b32 exec_lo, exec_lo, s17
	s_cbranch_execz .LBB6_6818
.LBB6_7489:                             ;   in Loop: Header=BB6_6112 Depth=3
	v_cmp_ne_u16_e32 vcc_lo, 0, v77
	v_mov_b32_e32 v22, 0
	s_and_not1_b32 s13, s13, exec_lo
	s_and_b32 s16, vcc_lo, exec_lo
	s_delay_alu instid0(SALU_CYCLE_1)
	s_or_b32 s13, s13, s16
	s_or_b32 exec_lo, exec_lo, s17
	s_and_saveexec_b32 s16, s13
	s_cbranch_execnz .LBB6_6819
	s_branch .LBB6_6820
.LBB6_7490:                             ;   in Loop: Header=BB6_6112 Depth=3
	s_mov_b32 s13, -1
	s_mov_b32 s30, exec_lo
                                        ; implicit-def: $sgpr16
	v_cmpx_eq_u16_e32 0x80, v78
; %bb.7491:                             ;   in Loop: Header=BB6_6112 Depth=3
	s_mov_b32 s16, 0x7f800001
	s_xor_b32 s13, exec_lo, -1
; %bb.7492:                             ;   in Loop: Header=BB6_6112 Depth=3
	s_or_b32 exec_lo, exec_lo, s30
	s_delay_alu instid0(SALU_CYCLE_1)
	s_and_b32 s13, s13, exec_lo
                                        ; implicit-def: $vgpr78
	s_or_saveexec_b32 s17, s17
	v_mov_b32_e32 v77, s16
	s_xor_b32 exec_lo, exec_lo, s17
	s_cbranch_execz .LBB6_6822
.LBB6_7493:                             ;   in Loop: Header=BB6_6112 Depth=3
	v_cmp_ne_u16_e32 vcc_lo, 0, v78
	v_mov_b32_e32 v77, 0
	s_and_not1_b32 s13, s13, exec_lo
	s_and_b32 s16, vcc_lo, exec_lo
	s_delay_alu instid0(SALU_CYCLE_1)
	s_or_b32 s13, s13, s16
	s_or_b32 exec_lo, exec_lo, s17
	s_and_saveexec_b32 s16, s13
	s_cbranch_execnz .LBB6_6823
	s_branch .LBB6_6824
.LBB6_7494:                             ;   in Loop: Header=BB6_6112 Depth=3
	s_mov_b32 s13, -1
	s_mov_b32 s30, exec_lo
                                        ; implicit-def: $sgpr16
	v_cmpx_eq_u16_e32 0x80, v78
; %bb.7495:                             ;   in Loop: Header=BB6_6112 Depth=3
	s_mov_b32 s16, 0x7f800001
	s_xor_b32 s13, exec_lo, -1
; %bb.7496:                             ;   in Loop: Header=BB6_6112 Depth=3
	s_or_b32 exec_lo, exec_lo, s30
	s_delay_alu instid0(SALU_CYCLE_1)
	s_and_b32 s13, s13, exec_lo
	s_or_saveexec_b32 s17, s17
	v_mov_b32_e32 v77, s16
	s_xor_b32 exec_lo, exec_lo, s17
	s_cbranch_execz .LBB6_6834
.LBB6_7497:                             ;   in Loop: Header=BB6_6112 Depth=3
	v_cmp_ne_u16_e32 vcc_lo, 0, v78
	v_mov_b32_e32 v77, 0
	s_and_not1_b32 s13, s13, exec_lo
	s_and_b32 s16, vcc_lo, exec_lo
	s_delay_alu instid0(SALU_CYCLE_1)
	s_or_b32 s13, s13, s16
	s_or_b32 exec_lo, exec_lo, s17
	s_and_saveexec_b32 s16, s13
	s_cbranch_execnz .LBB6_6835
	s_branch .LBB6_6836
.LBB6_7498:                             ;   in Loop: Header=BB6_6112 Depth=3
	s_mov_b32 s13, -1
	s_mov_b32 s30, exec_lo
                                        ; implicit-def: $sgpr16
	v_cmpx_eq_u16_e32 0x80, v78
; %bb.7499:                             ;   in Loop: Header=BB6_6112 Depth=3
	s_mov_b32 s16, 0x7f800001
	s_xor_b32 s13, exec_lo, -1
; %bb.7500:                             ;   in Loop: Header=BB6_6112 Depth=3
	s_or_b32 exec_lo, exec_lo, s30
	s_delay_alu instid0(SALU_CYCLE_1)
	s_and_b32 s13, s13, exec_lo
	s_or_saveexec_b32 s17, s17
	v_mov_b32_e32 v79, s16
	s_xor_b32 exec_lo, exec_lo, s17
	s_cbranch_execz .LBB6_6838
.LBB6_7501:                             ;   in Loop: Header=BB6_6112 Depth=3
	v_cmp_ne_u16_e32 vcc_lo, 0, v78
	v_mov_b32_e32 v79, 0
	s_and_not1_b32 s13, s13, exec_lo
	s_and_b32 s16, vcc_lo, exec_lo
	s_delay_alu instid0(SALU_CYCLE_1)
	s_or_b32 s13, s13, s16
	s_or_b32 exec_lo, exec_lo, s17
	s_and_saveexec_b32 s16, s13
	s_cbranch_execnz .LBB6_6839
	s_branch .LBB6_6840
.LBB6_7502:                             ;   in Loop: Header=BB6_6112 Depth=3
	s_mov_b32 s13, -1
	s_mov_b32 s30, exec_lo
                                        ; implicit-def: $sgpr16
	v_cmpx_eq_u16_e32 0x80, v88
; %bb.7503:                             ;   in Loop: Header=BB6_6112 Depth=3
	s_mov_b32 s16, 0x7f800001
	s_xor_b32 s13, exec_lo, -1
; %bb.7504:                             ;   in Loop: Header=BB6_6112 Depth=3
	s_or_b32 exec_lo, exec_lo, s30
	s_delay_alu instid0(SALU_CYCLE_1)
	s_and_b32 s13, s13, exec_lo
                                        ; implicit-def: $vgpr88
	s_or_saveexec_b32 s17, s17
	v_mov_b32_e32 v78, s16
	s_xor_b32 exec_lo, exec_lo, s17
	s_cbranch_execz .LBB6_6850
.LBB6_7505:                             ;   in Loop: Header=BB6_6112 Depth=3
	v_cmp_ne_u16_e32 vcc_lo, 0, v88
	v_mov_b32_e32 v78, 0
	s_and_not1_b32 s13, s13, exec_lo
	s_and_b32 s16, vcc_lo, exec_lo
	s_delay_alu instid0(SALU_CYCLE_1)
	s_or_b32 s13, s13, s16
	s_or_b32 exec_lo, exec_lo, s17
	s_and_saveexec_b32 s16, s13
	s_cbranch_execnz .LBB6_6851
	s_branch .LBB6_6852
.LBB6_7506:                             ;   in Loop: Header=BB6_6112 Depth=3
	s_mov_b32 s13, -1
	s_mov_b32 s30, exec_lo
                                        ; implicit-def: $sgpr16
	v_cmpx_eq_u16_e32 0x80, v89
; %bb.7507:                             ;   in Loop: Header=BB6_6112 Depth=3
	s_mov_b32 s16, 0x7f800001
	s_xor_b32 s13, exec_lo, -1
; %bb.7508:                             ;   in Loop: Header=BB6_6112 Depth=3
	s_or_b32 exec_lo, exec_lo, s30
	s_delay_alu instid0(SALU_CYCLE_1)
	s_and_b32 s13, s13, exec_lo
                                        ; implicit-def: $vgpr89
	s_or_saveexec_b32 s17, s17
	v_mov_b32_e32 v88, s16
	s_xor_b32 exec_lo, exec_lo, s17
	s_cbranch_execz .LBB6_6854
.LBB6_7509:                             ;   in Loop: Header=BB6_6112 Depth=3
	v_cmp_ne_u16_e32 vcc_lo, 0, v89
	v_mov_b32_e32 v88, 0
	s_and_not1_b32 s13, s13, exec_lo
	s_and_b32 s16, vcc_lo, exec_lo
	s_delay_alu instid0(SALU_CYCLE_1)
	s_or_b32 s13, s13, s16
	s_or_b32 exec_lo, exec_lo, s17
	s_and_saveexec_b32 s16, s13
	s_cbranch_execnz .LBB6_6855
	s_branch .LBB6_6856
.LBB6_7510:                             ;   in Loop: Header=BB6_6112 Depth=3
	s_mov_b32 s13, -1
	s_mov_b32 s30, exec_lo
                                        ; implicit-def: $sgpr16
	v_cmpx_eq_u16_e32 0x80, v88
; %bb.7511:                             ;   in Loop: Header=BB6_6112 Depth=3
	s_mov_b32 s16, 0x7f800001
	s_xor_b32 s13, exec_lo, -1
; %bb.7512:                             ;   in Loop: Header=BB6_6112 Depth=3
	s_or_b32 exec_lo, exec_lo, s30
	s_delay_alu instid0(SALU_CYCLE_1)
	s_and_b32 s13, s13, exec_lo
	s_or_saveexec_b32 s17, s17
	v_mov_b32_e32 v79, s16
	s_xor_b32 exec_lo, exec_lo, s17
	s_cbranch_execz .LBB6_6866
.LBB6_7513:                             ;   in Loop: Header=BB6_6112 Depth=3
	v_cmp_ne_u16_e32 vcc_lo, 0, v88
	v_mov_b32_e32 v79, 0
	s_and_not1_b32 s13, s13, exec_lo
	s_and_b32 s16, vcc_lo, exec_lo
	s_delay_alu instid0(SALU_CYCLE_1)
	s_or_b32 s13, s13, s16
	s_or_b32 exec_lo, exec_lo, s17
	s_and_saveexec_b32 s16, s13
	s_cbranch_execnz .LBB6_6867
	s_branch .LBB6_6868
.LBB6_7514:                             ;   in Loop: Header=BB6_6112 Depth=3
	s_mov_b32 s13, -1
	s_mov_b32 s30, exec_lo
                                        ; implicit-def: $sgpr16
	v_cmpx_eq_u16_e32 0x80, v23
; %bb.7515:                             ;   in Loop: Header=BB6_6112 Depth=3
	s_mov_b32 s16, 0x7f800001
	s_xor_b32 s13, exec_lo, -1
; %bb.7516:                             ;   in Loop: Header=BB6_6112 Depth=3
	s_or_b32 exec_lo, exec_lo, s30
	s_delay_alu instid0(SALU_CYCLE_1)
	s_and_b32 s13, s13, exec_lo
	s_or_saveexec_b32 s17, s17
	v_mov_b32_e32 v88, s16
	s_xor_b32 exec_lo, exec_lo, s17
	s_cbranch_execz .LBB6_6870
.LBB6_7517:                             ;   in Loop: Header=BB6_6112 Depth=3
	v_cmp_ne_u16_e32 vcc_lo, 0, v23
	v_mov_b32_e32 v88, 0
	s_and_not1_b32 s13, s13, exec_lo
	s_and_b32 s16, vcc_lo, exec_lo
	s_delay_alu instid0(SALU_CYCLE_1)
	s_or_b32 s13, s13, s16
	s_or_b32 exec_lo, exec_lo, s17
	s_and_saveexec_b32 s16, s13
	s_cbranch_execnz .LBB6_6871
	s_branch .LBB6_6872
.LBB6_7518:                             ;   in Loop: Header=BB6_6112 Depth=3
	s_mov_b32 s13, -1
	s_mov_b32 s30, exec_lo
                                        ; implicit-def: $sgpr16
	v_cmpx_eq_u16_e32 0x80, v79
; %bb.7519:                             ;   in Loop: Header=BB6_6112 Depth=3
	s_mov_b32 s16, 0x7f800001
	s_xor_b32 s13, exec_lo, -1
; %bb.7520:                             ;   in Loop: Header=BB6_6112 Depth=3
	s_or_b32 exec_lo, exec_lo, s30
	s_delay_alu instid0(SALU_CYCLE_1)
	s_and_b32 s13, s13, exec_lo
                                        ; implicit-def: $vgpr79
	s_or_saveexec_b32 s17, s17
	v_mov_b32_e32 v23, s16
	s_xor_b32 exec_lo, exec_lo, s17
	s_cbranch_execz .LBB6_6882
.LBB6_7521:                             ;   in Loop: Header=BB6_6112 Depth=3
	v_cmp_ne_u16_e32 vcc_lo, 0, v79
	v_mov_b32_e32 v23, 0
	s_and_not1_b32 s13, s13, exec_lo
	s_and_b32 s16, vcc_lo, exec_lo
	s_delay_alu instid0(SALU_CYCLE_1)
	s_or_b32 s13, s13, s16
	s_or_b32 exec_lo, exec_lo, s17
	s_and_saveexec_b32 s16, s13
	s_cbranch_execnz .LBB6_6883
	s_branch .LBB6_6884
.LBB6_7522:                             ;   in Loop: Header=BB6_6112 Depth=3
	s_mov_b32 s13, -1
	s_mov_b32 s30, exec_lo
                                        ; implicit-def: $sgpr16
	v_cmpx_eq_u16_e32 0x80, v88
; %bb.7523:                             ;   in Loop: Header=BB6_6112 Depth=3
	s_mov_b32 s16, 0x7f800001
	s_xor_b32 s13, exec_lo, -1
; %bb.7524:                             ;   in Loop: Header=BB6_6112 Depth=3
	s_or_b32 exec_lo, exec_lo, s30
	s_delay_alu instid0(SALU_CYCLE_1)
	s_and_b32 s13, s13, exec_lo
                                        ; implicit-def: $vgpr88
	s_or_saveexec_b32 s17, s17
	v_mov_b32_e32 v79, s16
	s_xor_b32 exec_lo, exec_lo, s17
	s_cbranch_execz .LBB6_6886
.LBB6_7525:                             ;   in Loop: Header=BB6_6112 Depth=3
	v_cmp_ne_u16_e32 vcc_lo, 0, v88
	v_mov_b32_e32 v79, 0
	s_and_not1_b32 s13, s13, exec_lo
	s_and_b32 s16, vcc_lo, exec_lo
	s_delay_alu instid0(SALU_CYCLE_1)
	s_or_b32 s13, s13, s16
	s_or_b32 exec_lo, exec_lo, s17
	s_and_saveexec_b32 s16, s13
	s_cbranch_execnz .LBB6_6887
	s_branch .LBB6_6888
.LBB6_7526:                             ;   in Loop: Header=BB6_6112 Depth=3
	s_mov_b32 s13, -1
	s_mov_b32 s30, exec_lo
                                        ; implicit-def: $sgpr16
	v_cmpx_eq_u16_e32 0x80, v88
; %bb.7527:                             ;   in Loop: Header=BB6_6112 Depth=3
	s_mov_b32 s16, 0x7f800001
	s_xor_b32 s13, exec_lo, -1
; %bb.7528:                             ;   in Loop: Header=BB6_6112 Depth=3
	s_or_b32 exec_lo, exec_lo, s30
	s_delay_alu instid0(SALU_CYCLE_1)
	s_and_b32 s13, s13, exec_lo
	s_or_saveexec_b32 s17, s17
	v_mov_b32_e32 v79, s16
	s_xor_b32 exec_lo, exec_lo, s17
	s_cbranch_execz .LBB6_6898
.LBB6_7529:                             ;   in Loop: Header=BB6_6112 Depth=3
	v_cmp_ne_u16_e32 vcc_lo, 0, v88
	v_mov_b32_e32 v79, 0
	s_and_not1_b32 s13, s13, exec_lo
	s_and_b32 s16, vcc_lo, exec_lo
	s_delay_alu instid0(SALU_CYCLE_1)
	s_or_b32 s13, s13, s16
	s_or_b32 exec_lo, exec_lo, s17
	s_and_saveexec_b32 s16, s13
	s_cbranch_execnz .LBB6_6899
	s_branch .LBB6_6900
.LBB6_7530:                             ;   in Loop: Header=BB6_6112 Depth=3
	s_mov_b32 s13, -1
	s_mov_b32 s30, exec_lo
                                        ; implicit-def: $sgpr16
	v_cmpx_eq_u16_e32 0x80, v88
; %bb.7531:                             ;   in Loop: Header=BB6_6112 Depth=3
	s_mov_b32 s16, 0x7f800001
	s_xor_b32 s13, exec_lo, -1
; %bb.7532:                             ;   in Loop: Header=BB6_6112 Depth=3
	s_or_b32 exec_lo, exec_lo, s30
	s_delay_alu instid0(SALU_CYCLE_1)
	s_and_b32 s13, s13, exec_lo
	s_or_saveexec_b32 s17, s17
	v_mov_b32_e32 v89, s16
	s_xor_b32 exec_lo, exec_lo, s17
	s_cbranch_execz .LBB6_6902
.LBB6_7533:                             ;   in Loop: Header=BB6_6112 Depth=3
	v_cmp_ne_u16_e32 vcc_lo, 0, v88
	v_mov_b32_e32 v89, 0
	s_and_not1_b32 s13, s13, exec_lo
	s_and_b32 s16, vcc_lo, exec_lo
	s_delay_alu instid0(SALU_CYCLE_1)
	s_or_b32 s13, s13, s16
	s_or_b32 exec_lo, exec_lo, s17
	s_and_saveexec_b32 s16, s13
	s_cbranch_execnz .LBB6_6903
	s_branch .LBB6_6904
.LBB6_7534:                             ;   in Loop: Header=BB6_6112 Depth=3
	s_mov_b32 s13, -1
	s_mov_b32 s30, exec_lo
                                        ; implicit-def: $sgpr16
	v_cmpx_eq_u16_e32 0x80, v90
; %bb.7535:                             ;   in Loop: Header=BB6_6112 Depth=3
	s_mov_b32 s16, 0x7f800001
	s_xor_b32 s13, exec_lo, -1
; %bb.7536:                             ;   in Loop: Header=BB6_6112 Depth=3
	s_or_b32 exec_lo, exec_lo, s30
	s_delay_alu instid0(SALU_CYCLE_1)
	s_and_b32 s13, s13, exec_lo
                                        ; implicit-def: $vgpr90
	s_or_saveexec_b32 s17, s17
	v_mov_b32_e32 v88, s16
	s_xor_b32 exec_lo, exec_lo, s17
	s_cbranch_execz .LBB6_6914
.LBB6_7537:                             ;   in Loop: Header=BB6_6112 Depth=3
	v_cmp_ne_u16_e32 vcc_lo, 0, v90
	v_mov_b32_e32 v88, 0
	s_and_not1_b32 s13, s13, exec_lo
	s_and_b32 s16, vcc_lo, exec_lo
	s_delay_alu instid0(SALU_CYCLE_1)
	s_or_b32 s13, s13, s16
	s_or_b32 exec_lo, exec_lo, s17
	s_and_saveexec_b32 s16, s13
	s_cbranch_execnz .LBB6_6915
	s_branch .LBB6_6916
.LBB6_7538:                             ;   in Loop: Header=BB6_6112 Depth=3
	s_mov_b32 s13, -1
	s_mov_b32 s30, exec_lo
                                        ; implicit-def: $sgpr16
	v_cmpx_eq_u16_e32 0x80, v91
; %bb.7539:                             ;   in Loop: Header=BB6_6112 Depth=3
	s_mov_b32 s16, 0x7f800001
	s_xor_b32 s13, exec_lo, -1
; %bb.7540:                             ;   in Loop: Header=BB6_6112 Depth=3
	s_or_b32 exec_lo, exec_lo, s30
	s_delay_alu instid0(SALU_CYCLE_1)
	s_and_b32 s13, s13, exec_lo
                                        ; implicit-def: $vgpr91
	s_or_saveexec_b32 s17, s17
	v_mov_b32_e32 v90, s16
	s_xor_b32 exec_lo, exec_lo, s17
	s_cbranch_execz .LBB6_6918
.LBB6_7541:                             ;   in Loop: Header=BB6_6112 Depth=3
	v_cmp_ne_u16_e32 vcc_lo, 0, v91
	v_mov_b32_e32 v90, 0
	s_and_not1_b32 s13, s13, exec_lo
	s_and_b32 s16, vcc_lo, exec_lo
	s_delay_alu instid0(SALU_CYCLE_1)
	s_or_b32 s13, s13, s16
	s_or_b32 exec_lo, exec_lo, s17
	s_and_saveexec_b32 s16, s13
	s_cbranch_execnz .LBB6_6919
	s_branch .LBB6_6920
.LBB6_7542:                             ;   in Loop: Header=BB6_6112 Depth=3
	s_mov_b32 s13, -1
	s_mov_b32 s30, exec_lo
                                        ; implicit-def: $sgpr16
	v_cmpx_eq_u16_e32 0x80, v90
; %bb.7543:                             ;   in Loop: Header=BB6_6112 Depth=3
	s_mov_b32 s16, 0x7f800001
	s_xor_b32 s13, exec_lo, -1
; %bb.7544:                             ;   in Loop: Header=BB6_6112 Depth=3
	s_or_b32 exec_lo, exec_lo, s30
	s_delay_alu instid0(SALU_CYCLE_1)
	s_and_b32 s13, s13, exec_lo
	s_or_saveexec_b32 s17, s17
	v_mov_b32_e32 v89, s16
	s_xor_b32 exec_lo, exec_lo, s17
	s_cbranch_execz .LBB6_6930
.LBB6_7545:                             ;   in Loop: Header=BB6_6112 Depth=3
	v_cmp_ne_u16_e32 vcc_lo, 0, v90
	v_mov_b32_e32 v89, 0
	s_and_not1_b32 s13, s13, exec_lo
	s_and_b32 s16, vcc_lo, exec_lo
	s_delay_alu instid0(SALU_CYCLE_1)
	s_or_b32 s13, s13, s16
	s_or_b32 exec_lo, exec_lo, s17
	s_and_saveexec_b32 s16, s13
	s_cbranch_execnz .LBB6_6931
	s_branch .LBB6_6932
.LBB6_7546:                             ;   in Loop: Header=BB6_6112 Depth=3
	s_mov_b32 s13, -1
	s_mov_b32 s30, exec_lo
                                        ; implicit-def: $sgpr16
	v_cmpx_eq_u16_e32 0x80, v12
; %bb.7547:                             ;   in Loop: Header=BB6_6112 Depth=3
	s_mov_b32 s16, 0x7f800001
	s_xor_b32 s13, exec_lo, -1
; %bb.7548:                             ;   in Loop: Header=BB6_6112 Depth=3
	s_or_b32 exec_lo, exec_lo, s30
	s_delay_alu instid0(SALU_CYCLE_1)
	s_and_b32 s13, s13, exec_lo
	s_or_saveexec_b32 s17, s17
	v_mov_b32_e32 v90, s16
	s_xor_b32 exec_lo, exec_lo, s17
	s_cbranch_execz .LBB6_6934
.LBB6_7549:                             ;   in Loop: Header=BB6_6112 Depth=3
	v_cmp_ne_u16_e32 vcc_lo, 0, v12
	v_mov_b32_e32 v90, 0
	s_and_not1_b32 s13, s13, exec_lo
	s_and_b32 s16, vcc_lo, exec_lo
	s_delay_alu instid0(SALU_CYCLE_1)
	s_or_b32 s13, s13, s16
	s_or_b32 exec_lo, exec_lo, s17
	s_and_saveexec_b32 s16, s13
	s_cbranch_execnz .LBB6_6935
	s_branch .LBB6_6936
.LBB6_7550:                             ;   in Loop: Header=BB6_6112 Depth=3
	s_mov_b32 s13, -1
	s_mov_b32 s30, exec_lo
                                        ; implicit-def: $sgpr16
	v_cmpx_eq_u16_e32 0x80, v89
; %bb.7551:                             ;   in Loop: Header=BB6_6112 Depth=3
	s_mov_b32 s16, 0x7f800001
	s_xor_b32 s13, exec_lo, -1
; %bb.7552:                             ;   in Loop: Header=BB6_6112 Depth=3
	s_or_b32 exec_lo, exec_lo, s30
	s_delay_alu instid0(SALU_CYCLE_1)
	s_and_b32 s13, s13, exec_lo
                                        ; implicit-def: $vgpr89
	s_or_saveexec_b32 s17, s17
	v_mov_b32_e32 v12, s16
	s_xor_b32 exec_lo, exec_lo, s17
	s_cbranch_execz .LBB6_6946
.LBB6_7553:                             ;   in Loop: Header=BB6_6112 Depth=3
	v_cmp_ne_u16_e32 vcc_lo, 0, v89
	v_mov_b32_e32 v12, 0
	s_and_not1_b32 s13, s13, exec_lo
	s_and_b32 s16, vcc_lo, exec_lo
	s_delay_alu instid0(SALU_CYCLE_1)
	s_or_b32 s13, s13, s16
	s_or_b32 exec_lo, exec_lo, s17
	s_and_saveexec_b32 s16, s13
	s_cbranch_execnz .LBB6_6947
	s_branch .LBB6_6948
.LBB6_7554:                             ;   in Loop: Header=BB6_6112 Depth=3
	s_mov_b32 s13, -1
	s_mov_b32 s30, exec_lo
                                        ; implicit-def: $sgpr16
	v_cmpx_eq_u16_e32 0x80, v90
; %bb.7555:                             ;   in Loop: Header=BB6_6112 Depth=3
	s_mov_b32 s16, 0x7f800001
	s_xor_b32 s13, exec_lo, -1
; %bb.7556:                             ;   in Loop: Header=BB6_6112 Depth=3
	s_or_b32 exec_lo, exec_lo, s30
	s_delay_alu instid0(SALU_CYCLE_1)
	s_and_b32 s13, s13, exec_lo
                                        ; implicit-def: $vgpr90
	s_or_saveexec_b32 s17, s17
	v_mov_b32_e32 v89, s16
	s_xor_b32 exec_lo, exec_lo, s17
	s_cbranch_execz .LBB6_6950
.LBB6_7557:                             ;   in Loop: Header=BB6_6112 Depth=3
	v_cmp_ne_u16_e32 vcc_lo, 0, v90
	v_mov_b32_e32 v89, 0
	s_and_not1_b32 s13, s13, exec_lo
	s_and_b32 s16, vcc_lo, exec_lo
	s_delay_alu instid0(SALU_CYCLE_1)
	s_or_b32 s13, s13, s16
	s_or_b32 exec_lo, exec_lo, s17
	s_and_saveexec_b32 s16, s13
	s_cbranch_execnz .LBB6_6951
	s_branch .LBB6_6952
.LBB6_7558:                             ;   in Loop: Header=BB6_6112 Depth=3
	s_mov_b32 s13, -1
	s_mov_b32 s30, exec_lo
                                        ; implicit-def: $sgpr16
	v_cmpx_eq_u16_e32 0x80, v90
; %bb.7559:                             ;   in Loop: Header=BB6_6112 Depth=3
	s_mov_b32 s16, 0x7f800001
	s_xor_b32 s13, exec_lo, -1
; %bb.7560:                             ;   in Loop: Header=BB6_6112 Depth=3
	s_or_b32 exec_lo, exec_lo, s30
	s_delay_alu instid0(SALU_CYCLE_1)
	s_and_b32 s13, s13, exec_lo
	s_or_saveexec_b32 s17, s17
	v_mov_b32_e32 v89, s16
	s_xor_b32 exec_lo, exec_lo, s17
	s_cbranch_execz .LBB6_6962
.LBB6_7561:                             ;   in Loop: Header=BB6_6112 Depth=3
	v_cmp_ne_u16_e32 vcc_lo, 0, v90
	v_mov_b32_e32 v89, 0
	s_and_not1_b32 s13, s13, exec_lo
	s_and_b32 s16, vcc_lo, exec_lo
	s_delay_alu instid0(SALU_CYCLE_1)
	s_or_b32 s13, s13, s16
	s_or_b32 exec_lo, exec_lo, s17
	s_and_saveexec_b32 s16, s13
	s_cbranch_execnz .LBB6_6963
	s_branch .LBB6_6964
.LBB6_7562:                             ;   in Loop: Header=BB6_6112 Depth=3
	s_mov_b32 s13, -1
	s_mov_b32 s30, exec_lo
                                        ; implicit-def: $sgpr16
	v_cmpx_eq_u16_e32 0x80, v90
; %bb.7563:                             ;   in Loop: Header=BB6_6112 Depth=3
	s_mov_b32 s16, 0x7f800001
	s_xor_b32 s13, exec_lo, -1
; %bb.7564:                             ;   in Loop: Header=BB6_6112 Depth=3
	s_or_b32 exec_lo, exec_lo, s30
	s_delay_alu instid0(SALU_CYCLE_1)
	s_and_b32 s13, s13, exec_lo
	s_or_saveexec_b32 s17, s17
	v_mov_b32_e32 v91, s16
	s_xor_b32 exec_lo, exec_lo, s17
	s_cbranch_execz .LBB6_6966
.LBB6_7565:                             ;   in Loop: Header=BB6_6112 Depth=3
	v_cmp_ne_u16_e32 vcc_lo, 0, v90
	v_mov_b32_e32 v91, 0
	s_and_not1_b32 s13, s13, exec_lo
	s_and_b32 s16, vcc_lo, exec_lo
	s_delay_alu instid0(SALU_CYCLE_1)
	s_or_b32 s13, s13, s16
	s_or_b32 exec_lo, exec_lo, s17
	s_and_saveexec_b32 s16, s13
	s_cbranch_execnz .LBB6_6967
	s_branch .LBB6_6968
.LBB6_7566:                             ;   in Loop: Header=BB6_6112 Depth=3
	s_mov_b32 s13, -1
	s_mov_b32 s30, exec_lo
                                        ; implicit-def: $sgpr16
	v_cmpx_eq_u16_e32 0x80, v92
; %bb.7567:                             ;   in Loop: Header=BB6_6112 Depth=3
	s_mov_b32 s16, 0x7f800001
	s_xor_b32 s13, exec_lo, -1
; %bb.7568:                             ;   in Loop: Header=BB6_6112 Depth=3
	s_or_b32 exec_lo, exec_lo, s30
	s_delay_alu instid0(SALU_CYCLE_1)
	s_and_b32 s13, s13, exec_lo
                                        ; implicit-def: $vgpr92
	s_or_saveexec_b32 s17, s17
	v_mov_b32_e32 v90, s16
	s_xor_b32 exec_lo, exec_lo, s17
	s_cbranch_execz .LBB6_6978
.LBB6_7569:                             ;   in Loop: Header=BB6_6112 Depth=3
	v_cmp_ne_u16_e32 vcc_lo, 0, v92
	v_mov_b32_e32 v90, 0
	s_and_not1_b32 s13, s13, exec_lo
	s_and_b32 s16, vcc_lo, exec_lo
	s_delay_alu instid0(SALU_CYCLE_1)
	s_or_b32 s13, s13, s16
	s_or_b32 exec_lo, exec_lo, s17
	s_and_saveexec_b32 s16, s13
	s_cbranch_execnz .LBB6_6979
	s_branch .LBB6_6980
.LBB6_7570:                             ;   in Loop: Header=BB6_6112 Depth=3
	s_mov_b32 s13, -1
	s_mov_b32 s30, exec_lo
                                        ; implicit-def: $sgpr16
	v_cmpx_eq_u16_e32 0x80, v93
; %bb.7571:                             ;   in Loop: Header=BB6_6112 Depth=3
	s_mov_b32 s16, 0x7f800001
	s_xor_b32 s13, exec_lo, -1
; %bb.7572:                             ;   in Loop: Header=BB6_6112 Depth=3
	s_or_b32 exec_lo, exec_lo, s30
	s_delay_alu instid0(SALU_CYCLE_1)
	s_and_b32 s13, s13, exec_lo
                                        ; implicit-def: $vgpr93
	s_or_saveexec_b32 s17, s17
	v_mov_b32_e32 v92, s16
	s_xor_b32 exec_lo, exec_lo, s17
	s_cbranch_execz .LBB6_6982
.LBB6_7573:                             ;   in Loop: Header=BB6_6112 Depth=3
	v_cmp_ne_u16_e32 vcc_lo, 0, v93
	v_mov_b32_e32 v92, 0
	s_and_not1_b32 s13, s13, exec_lo
	s_and_b32 s16, vcc_lo, exec_lo
	s_delay_alu instid0(SALU_CYCLE_1)
	s_or_b32 s13, s13, s16
	s_or_b32 exec_lo, exec_lo, s17
	s_and_saveexec_b32 s16, s13
	s_cbranch_execnz .LBB6_6983
	s_branch .LBB6_6984
.LBB6_7574:                             ;   in Loop: Header=BB6_6112 Depth=3
	s_mov_b32 s13, -1
	s_mov_b32 s30, exec_lo
                                        ; implicit-def: $sgpr16
	v_cmpx_eq_u16_e32 0x80, v92
; %bb.7575:                             ;   in Loop: Header=BB6_6112 Depth=3
	s_mov_b32 s16, 0x7f800001
	s_xor_b32 s13, exec_lo, -1
; %bb.7576:                             ;   in Loop: Header=BB6_6112 Depth=3
	s_or_b32 exec_lo, exec_lo, s30
	s_delay_alu instid0(SALU_CYCLE_1)
	s_and_b32 s13, s13, exec_lo
	s_or_saveexec_b32 s17, s17
	v_mov_b32_e32 v91, s16
	s_xor_b32 exec_lo, exec_lo, s17
	s_cbranch_execz .LBB6_6994
.LBB6_7577:                             ;   in Loop: Header=BB6_6112 Depth=3
	v_cmp_ne_u16_e32 vcc_lo, 0, v92
	v_mov_b32_e32 v91, 0
	s_and_not1_b32 s13, s13, exec_lo
	s_and_b32 s16, vcc_lo, exec_lo
	s_delay_alu instid0(SALU_CYCLE_1)
	s_or_b32 s13, s13, s16
	s_or_b32 exec_lo, exec_lo, s17
	s_and_saveexec_b32 s16, s13
	s_cbranch_execnz .LBB6_6995
	s_branch .LBB6_6996
.LBB6_7578:                             ;   in Loop: Header=BB6_6112 Depth=3
	s_mov_b32 s13, -1
	s_mov_b32 s30, exec_lo
                                        ; implicit-def: $sgpr16
	v_cmpx_eq_u16_e32 0x80, v13
; %bb.7579:                             ;   in Loop: Header=BB6_6112 Depth=3
	s_mov_b32 s16, 0x7f800001
	s_xor_b32 s13, exec_lo, -1
; %bb.7580:                             ;   in Loop: Header=BB6_6112 Depth=3
	s_or_b32 exec_lo, exec_lo, s30
	s_delay_alu instid0(SALU_CYCLE_1)
	s_and_b32 s13, s13, exec_lo
	s_or_saveexec_b32 s17, s17
	v_mov_b32_e32 v92, s16
	s_xor_b32 exec_lo, exec_lo, s17
	s_cbranch_execz .LBB6_6998
.LBB6_7581:                             ;   in Loop: Header=BB6_6112 Depth=3
	v_cmp_ne_u16_e32 vcc_lo, 0, v13
	v_mov_b32_e32 v92, 0
	s_and_not1_b32 s13, s13, exec_lo
	s_and_b32 s16, vcc_lo, exec_lo
	s_delay_alu instid0(SALU_CYCLE_1)
	s_or_b32 s13, s13, s16
	s_or_b32 exec_lo, exec_lo, s17
	s_and_saveexec_b32 s16, s13
	s_cbranch_execnz .LBB6_6999
	s_branch .LBB6_7000
.LBB6_7582:                             ;   in Loop: Header=BB6_6112 Depth=3
	s_mov_b32 s13, -1
	s_mov_b32 s30, exec_lo
                                        ; implicit-def: $sgpr16
	v_cmpx_eq_u16_e32 0x80, v91
; %bb.7583:                             ;   in Loop: Header=BB6_6112 Depth=3
	s_mov_b32 s16, 0x7f800001
	s_xor_b32 s13, exec_lo, -1
; %bb.7584:                             ;   in Loop: Header=BB6_6112 Depth=3
	s_or_b32 exec_lo, exec_lo, s30
	s_delay_alu instid0(SALU_CYCLE_1)
	s_and_b32 s13, s13, exec_lo
                                        ; implicit-def: $vgpr91
	s_or_saveexec_b32 s17, s17
	v_mov_b32_e32 v13, s16
	s_xor_b32 exec_lo, exec_lo, s17
	s_cbranch_execz .LBB6_7010
.LBB6_7585:                             ;   in Loop: Header=BB6_6112 Depth=3
	v_cmp_ne_u16_e32 vcc_lo, 0, v91
	v_mov_b32_e32 v13, 0
	s_and_not1_b32 s13, s13, exec_lo
	s_and_b32 s16, vcc_lo, exec_lo
	s_delay_alu instid0(SALU_CYCLE_1)
	s_or_b32 s13, s13, s16
	s_or_b32 exec_lo, exec_lo, s17
	s_and_saveexec_b32 s16, s13
	s_cbranch_execnz .LBB6_7011
	s_branch .LBB6_7012
.LBB6_7586:                             ;   in Loop: Header=BB6_6112 Depth=3
	s_mov_b32 s13, -1
	s_mov_b32 s30, exec_lo
                                        ; implicit-def: $sgpr16
	v_cmpx_eq_u16_e32 0x80, v92
; %bb.7587:                             ;   in Loop: Header=BB6_6112 Depth=3
	s_mov_b32 s16, 0x7f800001
	s_xor_b32 s13, exec_lo, -1
; %bb.7588:                             ;   in Loop: Header=BB6_6112 Depth=3
	s_or_b32 exec_lo, exec_lo, s30
	s_delay_alu instid0(SALU_CYCLE_1)
	s_and_b32 s13, s13, exec_lo
                                        ; implicit-def: $vgpr92
	s_or_saveexec_b32 s17, s17
	v_mov_b32_e32 v91, s16
	s_xor_b32 exec_lo, exec_lo, s17
	s_cbranch_execz .LBB6_7014
.LBB6_7589:                             ;   in Loop: Header=BB6_6112 Depth=3
	v_cmp_ne_u16_e32 vcc_lo, 0, v92
	v_mov_b32_e32 v91, 0
	s_and_not1_b32 s13, s13, exec_lo
	s_and_b32 s16, vcc_lo, exec_lo
	s_delay_alu instid0(SALU_CYCLE_1)
	s_or_b32 s13, s13, s16
	s_or_b32 exec_lo, exec_lo, s17
	s_and_saveexec_b32 s16, s13
	s_cbranch_execnz .LBB6_7015
	s_branch .LBB6_7016
.LBB6_7590:                             ;   in Loop: Header=BB6_6112 Depth=3
	s_mov_b32 s13, -1
	s_mov_b32 s30, exec_lo
                                        ; implicit-def: $sgpr16
	v_cmpx_eq_u16_e32 0x80, v92
; %bb.7591:                             ;   in Loop: Header=BB6_6112 Depth=3
	s_mov_b32 s16, 0x7f800001
	s_xor_b32 s13, exec_lo, -1
; %bb.7592:                             ;   in Loop: Header=BB6_6112 Depth=3
	s_or_b32 exec_lo, exec_lo, s30
	s_delay_alu instid0(SALU_CYCLE_1)
	s_and_b32 s13, s13, exec_lo
	s_or_saveexec_b32 s17, s17
	v_mov_b32_e32 v91, s16
	s_xor_b32 exec_lo, exec_lo, s17
	s_cbranch_execz .LBB6_7026
.LBB6_7593:                             ;   in Loop: Header=BB6_6112 Depth=3
	v_cmp_ne_u16_e32 vcc_lo, 0, v92
	v_mov_b32_e32 v91, 0
	s_and_not1_b32 s13, s13, exec_lo
	s_and_b32 s16, vcc_lo, exec_lo
	s_delay_alu instid0(SALU_CYCLE_1)
	s_or_b32 s13, s13, s16
	s_or_b32 exec_lo, exec_lo, s17
	s_and_saveexec_b32 s16, s13
	s_cbranch_execnz .LBB6_7027
	s_branch .LBB6_7028
.LBB6_7594:                             ;   in Loop: Header=BB6_6112 Depth=3
	s_mov_b32 s13, -1
	s_mov_b32 s30, exec_lo
                                        ; implicit-def: $sgpr16
	v_cmpx_eq_u16_e32 0x80, v92
; %bb.7595:                             ;   in Loop: Header=BB6_6112 Depth=3
	s_mov_b32 s16, 0x7f800001
	s_xor_b32 s13, exec_lo, -1
; %bb.7596:                             ;   in Loop: Header=BB6_6112 Depth=3
	s_or_b32 exec_lo, exec_lo, s30
	s_delay_alu instid0(SALU_CYCLE_1)
	s_and_b32 s13, s13, exec_lo
	s_or_saveexec_b32 s17, s17
	v_mov_b32_e32 v93, s16
	s_xor_b32 exec_lo, exec_lo, s17
	s_cbranch_execz .LBB6_7030
.LBB6_7597:                             ;   in Loop: Header=BB6_6112 Depth=3
	v_cmp_ne_u16_e32 vcc_lo, 0, v92
	v_mov_b32_e32 v93, 0
	s_and_not1_b32 s13, s13, exec_lo
	s_and_b32 s16, vcc_lo, exec_lo
	s_delay_alu instid0(SALU_CYCLE_1)
	s_or_b32 s13, s13, s16
	s_or_b32 exec_lo, exec_lo, s17
	s_and_saveexec_b32 s16, s13
	s_cbranch_execnz .LBB6_7031
	s_branch .LBB6_7032
.LBB6_7598:                             ;   in Loop: Header=BB6_6112 Depth=3
	s_mov_b32 s13, -1
	s_mov_b32 s30, exec_lo
                                        ; implicit-def: $sgpr16
	v_cmpx_eq_u16_e32 0x80, v94
; %bb.7599:                             ;   in Loop: Header=BB6_6112 Depth=3
	s_mov_b32 s16, 0x7f800001
	s_xor_b32 s13, exec_lo, -1
; %bb.7600:                             ;   in Loop: Header=BB6_6112 Depth=3
	s_or_b32 exec_lo, exec_lo, s30
	s_delay_alu instid0(SALU_CYCLE_1)
	s_and_b32 s13, s13, exec_lo
                                        ; implicit-def: $vgpr94
	s_or_saveexec_b32 s17, s17
	v_mov_b32_e32 v92, s16
	s_xor_b32 exec_lo, exec_lo, s17
	s_cbranch_execz .LBB6_7042
.LBB6_7601:                             ;   in Loop: Header=BB6_6112 Depth=3
	v_cmp_ne_u16_e32 vcc_lo, 0, v94
	v_mov_b32_e32 v92, 0
	s_and_not1_b32 s13, s13, exec_lo
	s_and_b32 s16, vcc_lo, exec_lo
	s_delay_alu instid0(SALU_CYCLE_1)
	s_or_b32 s13, s13, s16
	s_or_b32 exec_lo, exec_lo, s17
	s_and_saveexec_b32 s16, s13
	s_cbranch_execnz .LBB6_7043
	s_branch .LBB6_7044
.LBB6_7602:                             ;   in Loop: Header=BB6_6112 Depth=3
	s_mov_b32 s13, -1
	s_mov_b32 s30, exec_lo
                                        ; implicit-def: $sgpr16
	v_cmpx_eq_u16_e32 0x80, v95
; %bb.7603:                             ;   in Loop: Header=BB6_6112 Depth=3
	s_mov_b32 s16, 0x7f800001
	s_xor_b32 s13, exec_lo, -1
; %bb.7604:                             ;   in Loop: Header=BB6_6112 Depth=3
	s_or_b32 exec_lo, exec_lo, s30
	s_delay_alu instid0(SALU_CYCLE_1)
	s_and_b32 s13, s13, exec_lo
                                        ; implicit-def: $vgpr95
	s_or_saveexec_b32 s17, s17
	v_mov_b32_e32 v94, s16
	s_xor_b32 exec_lo, exec_lo, s17
	s_cbranch_execz .LBB6_7046
.LBB6_7605:                             ;   in Loop: Header=BB6_6112 Depth=3
	v_cmp_ne_u16_e32 vcc_lo, 0, v95
	v_mov_b32_e32 v94, 0
	s_and_not1_b32 s13, s13, exec_lo
	s_and_b32 s16, vcc_lo, exec_lo
	s_delay_alu instid0(SALU_CYCLE_1)
	s_or_b32 s13, s13, s16
	s_or_b32 exec_lo, exec_lo, s17
	s_and_saveexec_b32 s16, s13
	s_cbranch_execnz .LBB6_7047
	s_branch .LBB6_7048
.LBB6_7606:                             ;   in Loop: Header=BB6_6112 Depth=3
	s_mov_b32 s13, -1
	s_mov_b32 s30, exec_lo
                                        ; implicit-def: $sgpr16
	v_cmpx_eq_u16_e32 0x80, v94
; %bb.7607:                             ;   in Loop: Header=BB6_6112 Depth=3
	s_mov_b32 s16, 0x7f800001
	s_xor_b32 s13, exec_lo, -1
; %bb.7608:                             ;   in Loop: Header=BB6_6112 Depth=3
	s_or_b32 exec_lo, exec_lo, s30
	s_delay_alu instid0(SALU_CYCLE_1)
	s_and_b32 s13, s13, exec_lo
	s_or_saveexec_b32 s17, s17
	v_mov_b32_e32 v93, s16
	s_xor_b32 exec_lo, exec_lo, s17
	s_cbranch_execz .LBB6_7058
.LBB6_7609:                             ;   in Loop: Header=BB6_6112 Depth=3
	v_cmp_ne_u16_e32 vcc_lo, 0, v94
	v_mov_b32_e32 v93, 0
	s_and_not1_b32 s13, s13, exec_lo
	s_and_b32 s16, vcc_lo, exec_lo
	s_delay_alu instid0(SALU_CYCLE_1)
	s_or_b32 s13, s13, s16
	s_or_b32 exec_lo, exec_lo, s17
	s_and_saveexec_b32 s16, s13
	s_cbranch_execnz .LBB6_7059
	s_branch .LBB6_7060
.LBB6_7610:                             ;   in Loop: Header=BB6_6112 Depth=3
	s_mov_b32 s13, -1
	s_mov_b32 s30, exec_lo
                                        ; implicit-def: $sgpr16
	v_cmpx_eq_u16_e32 0x80, v14
; %bb.7611:                             ;   in Loop: Header=BB6_6112 Depth=3
	s_mov_b32 s16, 0x7f800001
	s_xor_b32 s13, exec_lo, -1
; %bb.7612:                             ;   in Loop: Header=BB6_6112 Depth=3
	s_or_b32 exec_lo, exec_lo, s30
	s_delay_alu instid0(SALU_CYCLE_1)
	s_and_b32 s13, s13, exec_lo
	s_or_saveexec_b32 s17, s17
	v_mov_b32_e32 v94, s16
	s_xor_b32 exec_lo, exec_lo, s17
	s_cbranch_execz .LBB6_7062
.LBB6_7613:                             ;   in Loop: Header=BB6_6112 Depth=3
	v_cmp_ne_u16_e32 vcc_lo, 0, v14
	v_mov_b32_e32 v94, 0
	s_and_not1_b32 s13, s13, exec_lo
	s_and_b32 s16, vcc_lo, exec_lo
	s_delay_alu instid0(SALU_CYCLE_1)
	s_or_b32 s13, s13, s16
	s_or_b32 exec_lo, exec_lo, s17
	s_and_saveexec_b32 s16, s13
	s_cbranch_execnz .LBB6_7063
	s_branch .LBB6_7064
.LBB6_7614:                             ;   in Loop: Header=BB6_6112 Depth=3
	s_mov_b32 s13, -1
	s_mov_b32 s30, exec_lo
                                        ; implicit-def: $sgpr16
	v_cmpx_eq_u16_e32 0x80, v93
; %bb.7615:                             ;   in Loop: Header=BB6_6112 Depth=3
	s_mov_b32 s16, 0x7f800001
	s_xor_b32 s13, exec_lo, -1
; %bb.7616:                             ;   in Loop: Header=BB6_6112 Depth=3
	s_or_b32 exec_lo, exec_lo, s30
	s_delay_alu instid0(SALU_CYCLE_1)
	s_and_b32 s13, s13, exec_lo
                                        ; implicit-def: $vgpr93
	s_or_saveexec_b32 s17, s17
	v_mov_b32_e32 v14, s16
	s_xor_b32 exec_lo, exec_lo, s17
	s_cbranch_execz .LBB6_7074
.LBB6_7617:                             ;   in Loop: Header=BB6_6112 Depth=3
	v_cmp_ne_u16_e32 vcc_lo, 0, v93
	v_mov_b32_e32 v14, 0
	s_and_not1_b32 s13, s13, exec_lo
	s_and_b32 s16, vcc_lo, exec_lo
	s_delay_alu instid0(SALU_CYCLE_1)
	s_or_b32 s13, s13, s16
	s_or_b32 exec_lo, exec_lo, s17
	s_and_saveexec_b32 s16, s13
	s_cbranch_execnz .LBB6_7075
	s_branch .LBB6_7076
.LBB6_7618:                             ;   in Loop: Header=BB6_6112 Depth=3
	s_mov_b32 s13, -1
	s_mov_b32 s30, exec_lo
                                        ; implicit-def: $sgpr16
	v_cmpx_eq_u16_e32 0x80, v94
; %bb.7619:                             ;   in Loop: Header=BB6_6112 Depth=3
	s_mov_b32 s16, 0x7f800001
	s_xor_b32 s13, exec_lo, -1
; %bb.7620:                             ;   in Loop: Header=BB6_6112 Depth=3
	s_or_b32 exec_lo, exec_lo, s30
	s_delay_alu instid0(SALU_CYCLE_1)
	s_and_b32 s13, s13, exec_lo
                                        ; implicit-def: $vgpr94
	s_or_saveexec_b32 s17, s17
	v_mov_b32_e32 v93, s16
	s_xor_b32 exec_lo, exec_lo, s17
	s_cbranch_execz .LBB6_7078
.LBB6_7621:                             ;   in Loop: Header=BB6_6112 Depth=3
	v_cmp_ne_u16_e32 vcc_lo, 0, v94
	v_mov_b32_e32 v93, 0
	s_and_not1_b32 s13, s13, exec_lo
	s_and_b32 s16, vcc_lo, exec_lo
	s_delay_alu instid0(SALU_CYCLE_1)
	s_or_b32 s13, s13, s16
	s_or_b32 exec_lo, exec_lo, s17
	s_and_saveexec_b32 s16, s13
	s_cbranch_execnz .LBB6_7079
	s_branch .LBB6_7080
.LBB6_7622:                             ;   in Loop: Header=BB6_6112 Depth=3
	s_mov_b32 s13, -1
	s_mov_b32 s30, exec_lo
                                        ; implicit-def: $sgpr16
	v_cmpx_eq_u16_e32 0x80, v94
; %bb.7623:                             ;   in Loop: Header=BB6_6112 Depth=3
	s_mov_b32 s16, 0x7f800001
	s_xor_b32 s13, exec_lo, -1
; %bb.7624:                             ;   in Loop: Header=BB6_6112 Depth=3
	s_or_b32 exec_lo, exec_lo, s30
	s_delay_alu instid0(SALU_CYCLE_1)
	s_and_b32 s13, s13, exec_lo
	s_or_saveexec_b32 s17, s17
	v_mov_b32_e32 v93, s16
	s_xor_b32 exec_lo, exec_lo, s17
	s_cbranch_execz .LBB6_7090
.LBB6_7625:                             ;   in Loop: Header=BB6_6112 Depth=3
	v_cmp_ne_u16_e32 vcc_lo, 0, v94
	v_mov_b32_e32 v93, 0
	s_and_not1_b32 s13, s13, exec_lo
	s_and_b32 s16, vcc_lo, exec_lo
	s_delay_alu instid0(SALU_CYCLE_1)
	s_or_b32 s13, s13, s16
	s_or_b32 exec_lo, exec_lo, s17
	s_and_saveexec_b32 s16, s13
	s_cbranch_execnz .LBB6_7091
	s_branch .LBB6_7092
.LBB6_7626:                             ;   in Loop: Header=BB6_6112 Depth=3
	s_mov_b32 s13, -1
	s_mov_b32 s30, exec_lo
                                        ; implicit-def: $sgpr16
	v_cmpx_eq_u16_e32 0x80, v94
; %bb.7627:                             ;   in Loop: Header=BB6_6112 Depth=3
	s_mov_b32 s16, 0x7f800001
	s_xor_b32 s13, exec_lo, -1
; %bb.7628:                             ;   in Loop: Header=BB6_6112 Depth=3
	s_or_b32 exec_lo, exec_lo, s30
	s_delay_alu instid0(SALU_CYCLE_1)
	s_and_b32 s13, s13, exec_lo
	s_or_saveexec_b32 s17, s17
	v_mov_b32_e32 v95, s16
	s_xor_b32 exec_lo, exec_lo, s17
	s_cbranch_execz .LBB6_7094
.LBB6_7629:                             ;   in Loop: Header=BB6_6112 Depth=3
	v_cmp_ne_u16_e32 vcc_lo, 0, v94
	v_mov_b32_e32 v95, 0
	s_and_not1_b32 s13, s13, exec_lo
	s_and_b32 s16, vcc_lo, exec_lo
	s_delay_alu instid0(SALU_CYCLE_1)
	s_or_b32 s13, s13, s16
	s_or_b32 exec_lo, exec_lo, s17
	s_and_saveexec_b32 s16, s13
	s_cbranch_execnz .LBB6_7095
	s_branch .LBB6_7096
.LBB6_7630:                             ;   in Loop: Header=BB6_6112 Depth=3
	s_mov_b32 s13, -1
	s_mov_b32 s30, exec_lo
                                        ; implicit-def: $sgpr16
	v_cmpx_eq_u16_e32 0x80, v104
; %bb.7631:                             ;   in Loop: Header=BB6_6112 Depth=3
	s_mov_b32 s16, 0x7f800001
	s_xor_b32 s13, exec_lo, -1
; %bb.7632:                             ;   in Loop: Header=BB6_6112 Depth=3
	s_or_b32 exec_lo, exec_lo, s30
	s_delay_alu instid0(SALU_CYCLE_1)
	s_and_b32 s13, s13, exec_lo
                                        ; implicit-def: $vgpr104
	s_or_saveexec_b32 s17, s17
	v_mov_b32_e32 v94, s16
	s_xor_b32 exec_lo, exec_lo, s17
	s_cbranch_execz .LBB6_7106
.LBB6_7633:                             ;   in Loop: Header=BB6_6112 Depth=3
	v_cmp_ne_u16_e32 vcc_lo, 0, v104
	v_mov_b32_e32 v94, 0
	s_and_not1_b32 s13, s13, exec_lo
	s_and_b32 s16, vcc_lo, exec_lo
	s_delay_alu instid0(SALU_CYCLE_1)
	s_or_b32 s13, s13, s16
	s_or_b32 exec_lo, exec_lo, s17
	s_and_saveexec_b32 s16, s13
	s_cbranch_execnz .LBB6_7107
	s_branch .LBB6_7108
.LBB6_7634:                             ;   in Loop: Header=BB6_6112 Depth=3
	s_mov_b32 s13, -1
	s_mov_b32 s30, exec_lo
                                        ; implicit-def: $sgpr16
	v_cmpx_eq_u16_e32 0x80, v105
; %bb.7635:                             ;   in Loop: Header=BB6_6112 Depth=3
	s_mov_b32 s16, 0x7f800001
	s_xor_b32 s13, exec_lo, -1
; %bb.7636:                             ;   in Loop: Header=BB6_6112 Depth=3
	s_or_b32 exec_lo, exec_lo, s30
	s_delay_alu instid0(SALU_CYCLE_1)
	s_and_b32 s13, s13, exec_lo
                                        ; implicit-def: $vgpr105
	s_or_saveexec_b32 s17, s17
	v_mov_b32_e32 v104, s16
	s_xor_b32 exec_lo, exec_lo, s17
	s_cbranch_execz .LBB6_7110
.LBB6_7637:                             ;   in Loop: Header=BB6_6112 Depth=3
	v_cmp_ne_u16_e32 vcc_lo, 0, v105
	v_mov_b32_e32 v104, 0
	s_and_not1_b32 s13, s13, exec_lo
	s_and_b32 s16, vcc_lo, exec_lo
	s_delay_alu instid0(SALU_CYCLE_1)
	s_or_b32 s13, s13, s16
	s_or_b32 exec_lo, exec_lo, s17
	s_and_saveexec_b32 s16, s13
	s_cbranch_execnz .LBB6_7111
	s_branch .LBB6_7112
.LBB6_7638:                             ;   in Loop: Header=BB6_6112 Depth=3
	s_mov_b32 s13, -1
	s_mov_b32 s30, exec_lo
                                        ; implicit-def: $sgpr16
	v_cmpx_eq_u16_e32 0x80, v104
; %bb.7639:                             ;   in Loop: Header=BB6_6112 Depth=3
	s_mov_b32 s16, 0x7f800001
	s_xor_b32 s13, exec_lo, -1
; %bb.7640:                             ;   in Loop: Header=BB6_6112 Depth=3
	s_or_b32 exec_lo, exec_lo, s30
	s_delay_alu instid0(SALU_CYCLE_1)
	s_and_b32 s13, s13, exec_lo
	s_or_saveexec_b32 s17, s17
	v_mov_b32_e32 v95, s16
	s_xor_b32 exec_lo, exec_lo, s17
	s_cbranch_execz .LBB6_7122
.LBB6_7641:                             ;   in Loop: Header=BB6_6112 Depth=3
	v_cmp_ne_u16_e32 vcc_lo, 0, v104
	v_mov_b32_e32 v95, 0
	s_and_not1_b32 s13, s13, exec_lo
	s_and_b32 s16, vcc_lo, exec_lo
	s_delay_alu instid0(SALU_CYCLE_1)
	s_or_b32 s13, s13, s16
	s_or_b32 exec_lo, exec_lo, s17
	s_and_saveexec_b32 s16, s13
	s_cbranch_execnz .LBB6_7123
	s_branch .LBB6_7124
.LBB6_7642:                             ;   in Loop: Header=BB6_6112 Depth=3
	s_mov_b32 s13, -1
	s_mov_b32 s30, exec_lo
                                        ; implicit-def: $sgpr16
	v_cmpx_eq_u16_e32 0x80, v15
; %bb.7643:                             ;   in Loop: Header=BB6_6112 Depth=3
	s_mov_b32 s16, 0x7f800001
	s_xor_b32 s13, exec_lo, -1
; %bb.7644:                             ;   in Loop: Header=BB6_6112 Depth=3
	s_or_b32 exec_lo, exec_lo, s30
	s_delay_alu instid0(SALU_CYCLE_1)
	s_and_b32 s13, s13, exec_lo
	s_or_saveexec_b32 s17, s17
	v_mov_b32_e32 v104, s16
	s_xor_b32 exec_lo, exec_lo, s17
	s_cbranch_execz .LBB6_7126
.LBB6_7645:                             ;   in Loop: Header=BB6_6112 Depth=3
	v_cmp_ne_u16_e32 vcc_lo, 0, v15
	v_mov_b32_e32 v104, 0
	s_and_not1_b32 s13, s13, exec_lo
	s_and_b32 s16, vcc_lo, exec_lo
	s_delay_alu instid0(SALU_CYCLE_1)
	s_or_b32 s13, s13, s16
	s_or_b32 exec_lo, exec_lo, s17
	s_and_saveexec_b32 s16, s13
	s_cbranch_execnz .LBB6_7127
	s_branch .LBB6_7128
.LBB6_7646:                             ;   in Loop: Header=BB6_3271 Depth=2
	s_or_b32 exec_lo, exec_lo, s15
.LBB6_7647:                             ;   in Loop: Header=BB6_3271 Depth=2
	s_delay_alu instid0(SALU_CYCLE_1) | instskip(SKIP_4) | instid1(VALU_DEP_2)
	s_or_b32 exec_lo, exec_lo, s14
	v_lshlrev_b32_e32 v22, 11, v116
	v_mov_b32_e32 v14, 0
	s_mov_b32 s13, 0
	s_mov_b32 s15, exec_lo
                                        ; implicit-def: $vgpr15
                                        ; implicit-def: $vgpr16
                                        ; implicit-def: $vgpr8
	v_cmpx_ne_u32_e64 v182, v22
	s_cbranch_execz .LBB6_8040
; %bb.7648:                             ;   in Loop: Header=BB6_3271 Depth=2
	v_lshlrev_b32_e32 v2, 5, v2
	v_sub_nc_u32_e32 v9, v182, v22
	s_mov_b32 s16, exec_lo
	s_delay_alu instid0(VALU_DEP_2) | instskip(NEXT) | instid1(VALU_DEP_2)
	v_sub_nc_u32_e32 v2, v131, v2
	v_ashrrev_i32_e32 v10, 31, v9
	s_delay_alu instid0(VALU_DEP_2) | instskip(NEXT) | instid1(VALU_DEP_2)
	v_ashrrev_i32_e32 v8, 31, v2
	v_lshrrev_b32_e32 v10, 23, v10
	s_delay_alu instid0(VALU_DEP_2) | instskip(NEXT) | instid1(VALU_DEP_2)
	v_lshrrev_b32_e32 v8, 27, v8
	v_add_nc_u32_e32 v10, v9, v10
	s_delay_alu instid0(VALU_DEP_2) | instskip(NEXT) | instid1(VALU_DEP_1)
	v_add_nc_u32_e32 v8, v2, v8
	v_and_b32_e32 v11, 0xffffffe0, v8
	s_delay_alu instid0(VALU_DEP_1) | instskip(NEXT) | instid1(VALU_DEP_4)
	v_sub_nc_u32_e32 v23, v2, v11
	v_and_b32_e32 v2, 0xfffffe00, v10
	v_ashrrev_i32_e32 v11, 5, v8
	v_ashrrev_i32_e32 v10, 9, v10
	s_delay_alu instid0(VALU_DEP_4) | instskip(NEXT) | instid1(VALU_DEP_4)
	v_lshlrev_b32_e32 v8, 4, v23
	v_sub_nc_u32_e32 v24, v9, v2
	s_delay_alu instid0(VALU_DEP_2) | instskip(NEXT) | instid1(VALU_DEP_2)
	v_lshl_add_u32 v8, v11, 9, v8
	v_cmp_lt_i32_e32 vcc_lo, 15, v24
	s_delay_alu instid0(VALU_DEP_2) | instskip(SKIP_1) | instid1(VALU_DEP_1)
	v_sub_nc_u32_e32 v26, v9, v8
	v_add_co_ci_u32_e64 v10, s13, 0, v10, vcc_lo
	v_sub_nc_u32_e32 v25, v10, v11
	s_delay_alu instid0(VALU_DEP_3)
	v_cmpx_lt_i32_e32 15, v26
	s_cbranch_execz .LBB6_8037
; %bb.7649:                             ;   in Loop: Header=BB6_3271 Depth=2
	s_cbranch_execnz .LBB6_9975
; %bb.7650:                             ;   in Loop: Header=BB6_3271 Depth=2
	ds_load_b128 v[9:12], v0
	ds_load_b64 v[13:14], v0
	v_add_nc_u32_e32 v8, v8, v22
	s_mov_b32 s17, 0
	s_delay_alu instid0(VALU_DEP_1) | instskip(SKIP_2) | instid1(VALU_DEP_1)
	v_ashrrev_i32_e32 v15, 31, v8
	s_waitcnt lgkmcnt(1)
	v_add_co_u32 v16, s13, v9, v8
	v_add_co_ci_u32_e64 v17, s13, v10, v15, s13
	v_add_co_u32 v18, s13, v11, v8
	s_delay_alu instid0(VALU_DEP_1) | instskip(SKIP_2) | instid1(VALU_DEP_1)
	v_add_co_ci_u32_e64 v19, s13, v12, v15, s13
	s_waitcnt lgkmcnt(0)
	v_add_co_u32 v20, s13, v13, v8
	v_add_co_ci_u32_e64 v21, s13, v14, v15, s13
	s_branch .LBB6_7654
.LBB6_7651:                             ;   in Loop: Header=BB6_7654 Depth=3
	s_or_b32 exec_lo, exec_lo, s13
	s_delay_alu instid0(VALU_DEP_1) | instskip(NEXT) | instid1(VALU_DEP_2)
	v_lshrrev_b32_e32 v48, 20, v48
	v_min_i32_e32 v49, 15, v15
	v_cmp_gt_i32_e64 s13, 16, v15
	v_lshrrev_b32_e32 v11, 24, v11
	s_delay_alu instid0(VALU_DEP_3) | instskip(NEXT) | instid1(VALU_DEP_3)
	v_lshlrev_b32_e32 v49, 3, v49
	v_cndmask_b32_e64 v48, 7, v48, s13
	s_delay_alu instid0(VALU_DEP_3) | instskip(NEXT) | instid1(VALU_DEP_3)
	v_and_b32_e32 v11, 0x80, v11
	v_and_b32_e32 v49, 0xf8, v49
	s_delay_alu instid0(VALU_DEP_3) | instskip(SKIP_1) | instid1(VALU_DEP_2)
	v_and_b32_e32 v50, 7, v48
	v_or_b32_e32 v15, v15, v48
	v_or3_b32 v11, v11, v49, v50
	s_delay_alu instid0(VALU_DEP_2) | instskip(NEXT) | instid1(VALU_DEP_2)
	v_cmp_ne_u32_e64 s13, 0, v15
	v_lshlrev_b32_e32 v11, 8, v11
	s_delay_alu instid0(VALU_DEP_1)
	v_cndmask_b32_e64 v15, 0, v11, s13
.LBB6_7652:                             ;   in Loop: Header=BB6_7654 Depth=3
	s_or_b32 exec_lo, exec_lo, s31
.LBB6_7653:                             ;   in Loop: Header=BB6_7654 Depth=3
	s_delay_alu instid0(SALU_CYCLE_1)
	s_or_b32 exec_lo, exec_lo, s30
	v_or_b32_e32 v9, v9, v35
	v_and_b32_e32 v11, 0xff, v33
	v_lshlrev_b32_e32 v32, 8, v32
	v_and_b32_e32 v33, 0xff, v37
	v_lshlrev_b32_e32 v35, 8, v36
	v_or_b32_e32 v15, v15, v39
	v_and_b32_e32 v12, 0xff, v12
	v_lshlrev_b32_e32 v8, 24, v8
	v_lshlrev_b32_e32 v9, 16, v9
	;; [unrolled: 1-line block ×3, first 2 shown]
	v_perm_b32 v27, v32, v27, 0xc0c0500
	v_lshlrev_b32_e32 v10, 24, v10
	v_lshlrev_b32_e32 v32, 16, v33
	v_perm_b32 v13, v35, v13, 0xc0c0500
	v_and_b32_e32 v14, 0xff, v14
	v_lshlrev_b32_e32 v15, 16, v15
	v_add_co_u32 v16, s13, v16, v148
	v_or3_b32 v9, v34, v12, v9
	v_or3_b32 v8, v8, v11, v27
	;; [unrolled: 1-line block ×4, first 2 shown]
	v_sub_nc_u32_e32 v26, v26, v132
	v_add_co_ci_u32_e64 v17, s13, v17, v149, s13
	v_add_co_u32 v18, s13, v18, v148
	s_delay_alu instid0(VALU_DEP_1) | instskip(SKIP_3) | instid1(VALU_DEP_1)
	v_add_co_ci_u32_e64 v19, s13, v19, v149, s13
	global_store_b128 v[20:21], v[8:11], off glc slc dlc
	v_cmp_gt_i32_e64 s13, 16, v26
	v_add_co_u32 v20, s14, v20, v148
	v_add_co_ci_u32_e64 v21, s14, v21, v149, s14
	v_sub_nc_u32_e32 v25, v25, v129
	s_delay_alu instid0(VALU_DEP_4) | instskip(NEXT) | instid1(SALU_CYCLE_1)
	s_or_b32 s17, s13, s17
	s_and_not1_b32 exec_lo, exec_lo, s17
	s_cbranch_execz .LBB6_8036
.LBB6_7654:                             ;   Parent Loop BB6_51 Depth=1
                                        ;     Parent Loop BB6_3271 Depth=2
                                        ; =>    This Inner Loop Header: Depth=3
	global_load_b128 v[12:15], v[16:17], off slc dlc
	global_load_b128 v[8:11], v[18:19], off slc dlc
	s_mov_b32 s14, 0
	s_mov_b32 s31, exec_lo
                                        ; implicit-def: $sgpr30
	s_waitcnt vmcnt(1)
	v_and_b32_e32 v32, 0xff, v12
	s_delay_alu instid0(VALU_DEP_1)
	v_cmpx_lt_i16_e32 0x7f, v32
	s_xor_b32 s31, exec_lo, s31
	s_cbranch_execnz .LBB6_7908
; %bb.7655:                             ;   in Loop: Header=BB6_7654 Depth=3
	s_or_saveexec_b32 s31, s31
	v_mov_b32_e32 v27, s30
	s_xor_b32 exec_lo, exec_lo, s31
	s_cbranch_execnz .LBB6_7911
.LBB6_7656:                             ;   in Loop: Header=BB6_7654 Depth=3
	s_or_b32 exec_lo, exec_lo, s31
	s_and_saveexec_b32 s30, s14
	s_cbranch_execz .LBB6_7658
.LBB6_7657:                             ;   in Loop: Header=BB6_7654 Depth=3
	v_and_b32_e32 v27, 7, v12
	v_bfe_u32 v34, v12, 3, 4
	v_lshlrev_b32_e32 v35, 24, v12
	s_delay_alu instid0(VALU_DEP_3) | instskip(NEXT) | instid1(VALU_DEP_3)
	v_clz_i32_u32_e32 v32, v27
	v_cmp_eq_u32_e64 s13, 0, v34
	s_delay_alu instid0(VALU_DEP_2) | instskip(NEXT) | instid1(VALU_DEP_1)
	v_min_u32_e32 v32, 32, v32
	v_subrev_nc_u32_e32 v33, 28, v32
	v_sub_nc_u32_e32 v32, 29, v32
	s_delay_alu instid0(VALU_DEP_2) | instskip(NEXT) | instid1(VALU_DEP_2)
	v_lshlrev_b32_e32 v33, v33, v12
	v_cndmask_b32_e64 v32, v34, v32, s13
	s_delay_alu instid0(VALU_DEP_2) | instskip(NEXT) | instid1(VALU_DEP_2)
	v_and_b32_e32 v33, 7, v33
	v_lshl_add_u32 v32, v32, 23, 0x3b800000
	s_delay_alu instid0(VALU_DEP_2) | instskip(SKIP_1) | instid1(VALU_DEP_2)
	v_cndmask_b32_e64 v27, v27, v33, s13
	v_and_b32_e32 v33, 0x80000000, v35
	v_lshlrev_b32_e32 v27, 20, v27
	s_delay_alu instid0(VALU_DEP_1)
	v_or3_b32 v27, v33, v32, v27
.LBB6_7658:                             ;   in Loop: Header=BB6_7654 Depth=3
	s_or_b32 exec_lo, exec_lo, s30
	s_waitcnt vmcnt(0)
	v_and_b32_e32 v33, 0xff, v8
	s_mov_b32 s14, 0
	s_mov_b32 s31, exec_lo
                                        ; implicit-def: $sgpr30
	s_delay_alu instid0(VALU_DEP_1)
	v_cmpx_lt_i16_e32 0x7f, v33
	s_xor_b32 s31, exec_lo, s31
	s_cbranch_execnz .LBB6_7912
; %bb.7659:                             ;   in Loop: Header=BB6_7654 Depth=3
	s_or_saveexec_b32 s31, s31
	v_mov_b32_e32 v32, s30
	s_xor_b32 exec_lo, exec_lo, s31
	s_cbranch_execnz .LBB6_7915
.LBB6_7660:                             ;   in Loop: Header=BB6_7654 Depth=3
	s_or_b32 exec_lo, exec_lo, s31
	s_and_saveexec_b32 s30, s14
	s_cbranch_execz .LBB6_7662
.LBB6_7661:                             ;   in Loop: Header=BB6_7654 Depth=3
	v_and_b32_e32 v32, 7, v8
	v_bfe_u32 v35, v8, 3, 4
	v_lshlrev_b32_e32 v36, 24, v8
	s_delay_alu instid0(VALU_DEP_3) | instskip(NEXT) | instid1(VALU_DEP_3)
	v_clz_i32_u32_e32 v33, v32
	v_cmp_eq_u32_e64 s13, 0, v35
	s_delay_alu instid0(VALU_DEP_2) | instskip(NEXT) | instid1(VALU_DEP_1)
	v_min_u32_e32 v33, 32, v33
	v_subrev_nc_u32_e32 v34, 28, v33
	v_sub_nc_u32_e32 v33, 29, v33
	s_delay_alu instid0(VALU_DEP_2) | instskip(NEXT) | instid1(VALU_DEP_2)
	v_lshlrev_b32_e32 v34, v34, v8
	v_cndmask_b32_e64 v33, v35, v33, s13
	s_delay_alu instid0(VALU_DEP_2) | instskip(NEXT) | instid1(VALU_DEP_2)
	v_and_b32_e32 v34, 7, v34
	v_lshl_add_u32 v33, v33, 23, 0x3b800000
	s_delay_alu instid0(VALU_DEP_2) | instskip(SKIP_1) | instid1(VALU_DEP_2)
	v_cndmask_b32_e64 v32, v32, v34, s13
	v_and_b32_e32 v34, 0x80000000, v36
	v_lshlrev_b32_e32 v32, 20, v32
	s_delay_alu instid0(VALU_DEP_1)
	v_or3_b32 v32, v34, v33, v32
.LBB6_7662:                             ;   in Loop: Header=BB6_7654 Depth=3
	s_or_b32 exec_lo, exec_lo, s30
	s_delay_alu instid0(VALU_DEP_1) | instskip(NEXT) | instid1(VALU_DEP_1)
	v_add_f32_e32 v32, v27, v32
	v_and_b32_e32 v27, 0x7f800000, v32
	s_delay_alu instid0(VALU_DEP_1) | instskip(SKIP_1) | instid1(VALU_DEP_2)
	v_cmp_ne_u32_e64 s13, 0x7f800000, v27
	v_mov_b32_e32 v27, 0x80
	s_and_saveexec_b32 s30, s13
	s_cbranch_execz .LBB6_7670
; %bb.7663:                             ;   in Loop: Header=BB6_7654 Depth=3
	v_mov_b32_e32 v27, 0
	s_mov_b32 s31, exec_lo
	v_cmpx_ne_u32_e32 0, v32
	s_cbranch_execz .LBB6_7669
; %bb.7664:                             ;   in Loop: Header=BB6_7654 Depth=3
	v_bfe_u32 v27, v32, 23, 8
	v_and_b32_e32 v33, 0x7fffff, v32
	s_delay_alu instid0(VALU_DEP_2) | instskip(SKIP_1) | instid1(VALU_DEP_3)
	v_sub_nc_u32_e32 v34, 0x78, v27
	v_cmp_gt_u32_e64 s13, 0x79, v27
	v_or_b32_e32 v35, 0x800000, v33
	s_delay_alu instid0(VALU_DEP_2) | instskip(SKIP_2) | instid1(VALU_DEP_2)
	v_cndmask_b32_e64 v34, 0, v34, s13
	v_cmp_eq_u32_e64 s13, 0, v27
	v_add_nc_u32_e32 v27, 0xffffff89, v27
	v_cndmask_b32_e64 v34, v34, 0x77, s13
	v_cndmask_b32_e64 v33, v35, v33, s13
	s_delay_alu instid0(VALU_DEP_3) | instskip(NEXT) | instid1(VALU_DEP_3)
	v_cndmask_b32_e64 v27, v27, 0xffffff8a, s13
	v_lshl_add_u32 v35, 0x100000, v34, -1
	s_delay_alu instid0(VALU_DEP_3) | instskip(SKIP_1) | instid1(VALU_DEP_4)
	v_lshrrev_b32_e32 v36, v34, v33
	v_lshlrev_b32_e64 v38, v34, 0x80000
	v_add_nc_u32_e32 v34, v34, v27
	s_delay_alu instid0(VALU_DEP_4) | instskip(NEXT) | instid1(VALU_DEP_4)
	v_and_b32_e32 v33, v35, v33
	v_bfe_u32 v37, v36, 20, 1
	s_delay_alu instid0(VALU_DEP_2) | instskip(NEXT) | instid1(VALU_DEP_2)
	v_cmp_eq_u32_e64 s14, v33, v38
	v_add_nc_u32_e32 v35, -1, v37
	s_delay_alu instid0(VALU_DEP_1) | instskip(SKIP_2) | instid1(VALU_DEP_2)
	v_cndmask_b32_e64 v33, 0, v35, s14
	v_lshrrev_b32_e32 v35, 23, v36
	s_mov_b32 s14, exec_lo
	v_add_nc_u32_e32 v33, v33, v36
	s_delay_alu instid0(VALU_DEP_2) | instskip(NEXT) | instid1(VALU_DEP_2)
	v_xor_b32_e32 v35, 1, v35
	v_and_b32_e32 v27, 0xfffff, v33
	s_delay_alu instid0(VALU_DEP_1) | instskip(NEXT) | instid1(VALU_DEP_3)
	v_add_nc_u32_e32 v33, v27, v36
                                        ; implicit-def: $vgpr27
	v_cmpx_ne_u32_e64 v34, v35
	s_xor_b32 s14, exec_lo, s14
; %bb.7665:                             ;   in Loop: Header=BB6_7654 Depth=3
	s_delay_alu instid0(VALU_DEP_2) | instskip(SKIP_1) | instid1(VALU_DEP_2)
	v_cmp_lt_u32_e64 s13, 0xffffff, v33
	v_sub_nc_u32_e32 v27, v34, v35
	v_cndmask_b32_e64 v34, 0, 1, s13
	s_delay_alu instid0(VALU_DEP_2) | instskip(NEXT) | instid1(VALU_DEP_2)
	v_add_co_ci_u32_e64 v27, s13, 0, v27, s13
	v_lshrrev_b32_e32 v33, v34, v33
; %bb.7666:                             ;   in Loop: Header=BB6_7654 Depth=3
	s_and_not1_saveexec_b32 s13, s14
; %bb.7667:                             ;   in Loop: Header=BB6_7654 Depth=3
	s_delay_alu instid0(VALU_DEP_1)
	v_bfe_u32 v27, v33, 23, 1
; %bb.7668:                             ;   in Loop: Header=BB6_7654 Depth=3
	s_or_b32 exec_lo, exec_lo, s13
	v_lshrrev_b32_e32 v33, 20, v33
	s_delay_alu instid0(VALU_DEP_2) | instskip(SKIP_2) | instid1(VALU_DEP_3)
	v_cmp_gt_i32_e64 s13, 16, v27
	v_lshrrev_b32_e32 v32, 24, v32
	v_min_i32_e32 v34, 15, v27
	v_cndmask_b32_e64 v33, 7, v33, s13
	s_delay_alu instid0(VALU_DEP_3) | instskip(NEXT) | instid1(VALU_DEP_3)
	v_and_b32_e32 v32, 0x80, v32
	v_lshlrev_b32_e32 v34, 3, v34
	s_delay_alu instid0(VALU_DEP_3) | instskip(SKIP_1) | instid1(VALU_DEP_2)
	v_and_b32_e32 v35, 7, v33
	v_or_b32_e32 v27, v27, v33
	v_or3_b32 v32, v34, v32, v35
	s_delay_alu instid0(VALU_DEP_2) | instskip(NEXT) | instid1(VALU_DEP_1)
	v_cmp_ne_u32_e64 s13, 0, v27
	v_cndmask_b32_e64 v27, 0, v32, s13
.LBB6_7669:                             ;   in Loop: Header=BB6_7654 Depth=3
	s_or_b32 exec_lo, exec_lo, s31
.LBB6_7670:                             ;   in Loop: Header=BB6_7654 Depth=3
	s_delay_alu instid0(SALU_CYCLE_1) | instskip(SKIP_3) | instid1(VALU_DEP_1)
	s_or_b32 exec_lo, exec_lo, s30
	v_lshrrev_b16 v33, 8, v12
	s_mov_b32 s14, 0
	s_mov_b32 s31, exec_lo
                                        ; implicit-def: $sgpr30
	v_cmpx_lt_i16_e32 0x7f, v33
	s_xor_b32 s31, exec_lo, s31
	s_cbranch_execnz .LBB6_7916
; %bb.7671:                             ;   in Loop: Header=BB6_7654 Depth=3
	s_or_saveexec_b32 s31, s31
	v_mov_b32_e32 v32, s30
	s_xor_b32 exec_lo, exec_lo, s31
	s_cbranch_execnz .LBB6_7919
.LBB6_7672:                             ;   in Loop: Header=BB6_7654 Depth=3
	s_or_b32 exec_lo, exec_lo, s31
	s_and_saveexec_b32 s30, s14
	s_cbranch_execz .LBB6_7674
.LBB6_7673:                             ;   in Loop: Header=BB6_7654 Depth=3
	v_and_b32_e32 v32, 0xffff, v33
	v_lshlrev_b32_e32 v33, 24, v33
	s_delay_alu instid0(VALU_DEP_2) | instskip(NEXT) | instid1(VALU_DEP_2)
	v_and_b32_e32 v34, 7, v32
	v_and_b32_e32 v33, 0x80000000, v33
	s_delay_alu instid0(VALU_DEP_2) | instskip(NEXT) | instid1(VALU_DEP_1)
	v_clz_i32_u32_e32 v35, v34
	v_min_u32_e32 v35, 32, v35
	s_delay_alu instid0(VALU_DEP_1) | instskip(SKIP_1) | instid1(VALU_DEP_2)
	v_subrev_nc_u32_e32 v36, 28, v35
	v_sub_nc_u32_e32 v35, 29, v35
	v_lshlrev_b32_e32 v36, v36, v32
	v_bfe_u32 v32, v32, 3, 4
	s_delay_alu instid0(VALU_DEP_2) | instskip(NEXT) | instid1(VALU_DEP_2)
	v_and_b32_e32 v36, 7, v36
	v_cmp_eq_u32_e64 s13, 0, v32
	s_delay_alu instid0(VALU_DEP_1) | instskip(NEXT) | instid1(VALU_DEP_3)
	v_cndmask_b32_e64 v32, v32, v35, s13
	v_cndmask_b32_e64 v34, v34, v36, s13
	s_delay_alu instid0(VALU_DEP_2) | instskip(NEXT) | instid1(VALU_DEP_2)
	v_lshl_add_u32 v32, v32, 23, 0x3b800000
	v_lshlrev_b32_e32 v34, 20, v34
	s_delay_alu instid0(VALU_DEP_1)
	v_or3_b32 v32, v33, v32, v34
.LBB6_7674:                             ;   in Loop: Header=BB6_7654 Depth=3
	s_or_b32 exec_lo, exec_lo, s30
	v_lshrrev_b16 v33, 8, v8
	s_mov_b32 s14, 0
	s_mov_b32 s31, exec_lo
                                        ; implicit-def: $sgpr30
	s_delay_alu instid0(VALU_DEP_1)
	v_cmpx_lt_i16_e32 0x7f, v33
	s_xor_b32 s31, exec_lo, s31
	s_cbranch_execnz .LBB6_7920
; %bb.7675:                             ;   in Loop: Header=BB6_7654 Depth=3
	s_or_saveexec_b32 s31, s31
	v_mov_b32_e32 v34, s30
	s_xor_b32 exec_lo, exec_lo, s31
	s_cbranch_execnz .LBB6_7923
.LBB6_7676:                             ;   in Loop: Header=BB6_7654 Depth=3
	s_or_b32 exec_lo, exec_lo, s31
	s_and_saveexec_b32 s30, s14
	s_cbranch_execz .LBB6_7678
.LBB6_7677:                             ;   in Loop: Header=BB6_7654 Depth=3
	v_and_b32_e32 v34, 0xffff, v33
	v_lshlrev_b32_e32 v33, 24, v33
	s_delay_alu instid0(VALU_DEP_2) | instskip(NEXT) | instid1(VALU_DEP_2)
	v_and_b32_e32 v35, 7, v34
	v_and_b32_e32 v33, 0x80000000, v33
	s_delay_alu instid0(VALU_DEP_2) | instskip(NEXT) | instid1(VALU_DEP_1)
	v_clz_i32_u32_e32 v36, v35
	v_min_u32_e32 v36, 32, v36
	s_delay_alu instid0(VALU_DEP_1) | instskip(SKIP_1) | instid1(VALU_DEP_2)
	v_subrev_nc_u32_e32 v37, 28, v36
	v_sub_nc_u32_e32 v36, 29, v36
	v_lshlrev_b32_e32 v37, v37, v34
	v_bfe_u32 v34, v34, 3, 4
	s_delay_alu instid0(VALU_DEP_2) | instskip(NEXT) | instid1(VALU_DEP_2)
	v_and_b32_e32 v37, 7, v37
	v_cmp_eq_u32_e64 s13, 0, v34
	s_delay_alu instid0(VALU_DEP_1) | instskip(NEXT) | instid1(VALU_DEP_3)
	v_cndmask_b32_e64 v34, v34, v36, s13
	v_cndmask_b32_e64 v35, v35, v37, s13
	s_delay_alu instid0(VALU_DEP_2) | instskip(NEXT) | instid1(VALU_DEP_2)
	v_lshl_add_u32 v34, v34, 23, 0x3b800000
	v_lshlrev_b32_e32 v35, 20, v35
	s_delay_alu instid0(VALU_DEP_1)
	v_or3_b32 v34, v33, v34, v35
.LBB6_7678:                             ;   in Loop: Header=BB6_7654 Depth=3
	s_or_b32 exec_lo, exec_lo, s30
	s_delay_alu instid0(VALU_DEP_1) | instskip(NEXT) | instid1(VALU_DEP_1)
	v_add_f32_e32 v33, v32, v34
	v_and_b32_e32 v32, 0x7f800000, v33
	s_delay_alu instid0(VALU_DEP_1) | instskip(SKIP_1) | instid1(VALU_DEP_2)
	v_cmp_ne_u32_e64 s13, 0x7f800000, v32
	v_mov_b32_e32 v32, 0x80
	s_and_saveexec_b32 s30, s13
	s_cbranch_execz .LBB6_7686
; %bb.7679:                             ;   in Loop: Header=BB6_7654 Depth=3
	v_mov_b32_e32 v32, 0
	s_mov_b32 s31, exec_lo
	v_cmpx_ne_u32_e32 0, v33
	s_cbranch_execz .LBB6_7685
; %bb.7680:                             ;   in Loop: Header=BB6_7654 Depth=3
	v_bfe_u32 v32, v33, 23, 8
	v_and_b32_e32 v34, 0x7fffff, v33
	s_delay_alu instid0(VALU_DEP_2) | instskip(SKIP_1) | instid1(VALU_DEP_3)
	v_sub_nc_u32_e32 v35, 0x78, v32
	v_cmp_gt_u32_e64 s13, 0x79, v32
	v_or_b32_e32 v36, 0x800000, v34
	s_delay_alu instid0(VALU_DEP_2) | instskip(SKIP_2) | instid1(VALU_DEP_2)
	v_cndmask_b32_e64 v35, 0, v35, s13
	v_cmp_eq_u32_e64 s13, 0, v32
	v_add_nc_u32_e32 v32, 0xffffff89, v32
	v_cndmask_b32_e64 v35, v35, 0x77, s13
	v_cndmask_b32_e64 v34, v36, v34, s13
	s_delay_alu instid0(VALU_DEP_3) | instskip(NEXT) | instid1(VALU_DEP_3)
	v_cndmask_b32_e64 v32, v32, 0xffffff8a, s13
	v_lshl_add_u32 v36, 0x100000, v35, -1
	s_delay_alu instid0(VALU_DEP_3) | instskip(SKIP_1) | instid1(VALU_DEP_4)
	v_lshrrev_b32_e32 v37, v35, v34
	v_lshlrev_b32_e64 v39, v35, 0x80000
	v_add_nc_u32_e32 v35, v35, v32
	s_delay_alu instid0(VALU_DEP_4) | instskip(NEXT) | instid1(VALU_DEP_4)
	v_and_b32_e32 v34, v36, v34
	v_bfe_u32 v38, v37, 20, 1
	s_delay_alu instid0(VALU_DEP_2) | instskip(NEXT) | instid1(VALU_DEP_2)
	v_cmp_eq_u32_e64 s14, v34, v39
	v_add_nc_u32_e32 v36, -1, v38
	s_delay_alu instid0(VALU_DEP_1) | instskip(SKIP_2) | instid1(VALU_DEP_2)
	v_cndmask_b32_e64 v34, 0, v36, s14
	v_lshrrev_b32_e32 v36, 23, v37
	s_mov_b32 s14, exec_lo
	v_add_nc_u32_e32 v34, v34, v37
	s_delay_alu instid0(VALU_DEP_2) | instskip(NEXT) | instid1(VALU_DEP_2)
	v_xor_b32_e32 v36, 1, v36
	v_and_b32_e32 v32, 0xfffff, v34
	s_delay_alu instid0(VALU_DEP_1) | instskip(NEXT) | instid1(VALU_DEP_3)
	v_add_nc_u32_e32 v34, v32, v37
                                        ; implicit-def: $vgpr32
	v_cmpx_ne_u32_e64 v35, v36
	s_xor_b32 s14, exec_lo, s14
; %bb.7681:                             ;   in Loop: Header=BB6_7654 Depth=3
	s_delay_alu instid0(VALU_DEP_2) | instskip(SKIP_1) | instid1(VALU_DEP_2)
	v_cmp_lt_u32_e64 s13, 0xffffff, v34
	v_sub_nc_u32_e32 v32, v35, v36
	v_cndmask_b32_e64 v35, 0, 1, s13
	s_delay_alu instid0(VALU_DEP_2) | instskip(NEXT) | instid1(VALU_DEP_2)
	v_add_co_ci_u32_e64 v32, s13, 0, v32, s13
	v_lshrrev_b32_e32 v34, v35, v34
; %bb.7682:                             ;   in Loop: Header=BB6_7654 Depth=3
	s_and_not1_saveexec_b32 s13, s14
; %bb.7683:                             ;   in Loop: Header=BB6_7654 Depth=3
	s_delay_alu instid0(VALU_DEP_1)
	v_bfe_u32 v32, v34, 23, 1
; %bb.7684:                             ;   in Loop: Header=BB6_7654 Depth=3
	s_or_b32 exec_lo, exec_lo, s13
	v_lshrrev_b32_e32 v34, 20, v34
	s_delay_alu instid0(VALU_DEP_2) | instskip(SKIP_2) | instid1(VALU_DEP_3)
	v_cmp_gt_i32_e64 s13, 16, v32
	v_lshrrev_b32_e32 v33, 24, v33
	v_min_i32_e32 v35, 15, v32
	v_cndmask_b32_e64 v34, 7, v34, s13
	s_delay_alu instid0(VALU_DEP_3) | instskip(NEXT) | instid1(VALU_DEP_3)
	v_and_b32_e32 v33, 0x80, v33
	v_lshlrev_b32_e32 v35, 3, v35
	s_delay_alu instid0(VALU_DEP_3) | instskip(SKIP_1) | instid1(VALU_DEP_2)
	v_and_b32_e32 v36, 7, v34
	v_or_b32_e32 v32, v32, v34
	v_or3_b32 v33, v35, v33, v36
	s_delay_alu instid0(VALU_DEP_2) | instskip(NEXT) | instid1(VALU_DEP_1)
	v_cmp_ne_u32_e64 s13, 0, v32
	v_cndmask_b32_e64 v32, 0, v33, s13
.LBB6_7685:                             ;   in Loop: Header=BB6_7654 Depth=3
	s_or_b32 exec_lo, exec_lo, s31
.LBB6_7686:                             ;   in Loop: Header=BB6_7654 Depth=3
	s_delay_alu instid0(SALU_CYCLE_1) | instskip(SKIP_3) | instid1(VALU_DEP_1)
	s_or_b32 exec_lo, exec_lo, s30
	v_lshrrev_b32_e32 v34, 16, v12
	s_mov_b32 s14, 0
	s_mov_b32 s31, exec_lo
                                        ; implicit-def: $sgpr30
	v_and_b32_e32 v35, 0xff, v34
	s_delay_alu instid0(VALU_DEP_1)
	v_cmpx_lt_i16_e32 0x7f, v35
	s_xor_b32 s31, exec_lo, s31
	s_cbranch_execnz .LBB6_7924
; %bb.7687:                             ;   in Loop: Header=BB6_7654 Depth=3
	s_or_saveexec_b32 s31, s31
	v_mov_b32_e32 v33, s30
	s_xor_b32 exec_lo, exec_lo, s31
	s_cbranch_execnz .LBB6_7927
.LBB6_7688:                             ;   in Loop: Header=BB6_7654 Depth=3
	s_or_b32 exec_lo, exec_lo, s31
	s_and_saveexec_b32 s30, s14
	s_cbranch_execz .LBB6_7690
.LBB6_7689:                             ;   in Loop: Header=BB6_7654 Depth=3
	v_bfe_u32 v33, v12, 16, 3
	v_lshlrev_b32_e32 v37, 8, v12
	s_delay_alu instid0(VALU_DEP_2) | instskip(NEXT) | instid1(VALU_DEP_1)
	v_clz_i32_u32_e32 v35, v33
	v_min_u32_e32 v35, 32, v35
	s_delay_alu instid0(VALU_DEP_1) | instskip(SKIP_1) | instid1(VALU_DEP_2)
	v_subrev_nc_u32_e32 v36, 28, v35
	v_sub_nc_u32_e32 v35, 29, v35
	v_lshlrev_b32_e32 v34, v36, v34
	v_bfe_u32 v36, v12, 19, 4
	s_delay_alu instid0(VALU_DEP_2) | instskip(NEXT) | instid1(VALU_DEP_2)
	v_and_b32_e32 v34, 7, v34
	v_cmp_eq_u32_e64 s13, 0, v36
	s_delay_alu instid0(VALU_DEP_1) | instskip(NEXT) | instid1(VALU_DEP_3)
	v_cndmask_b32_e64 v35, v36, v35, s13
	v_cndmask_b32_e64 v33, v33, v34, s13
	v_and_b32_e32 v34, 0x80000000, v37
	s_delay_alu instid0(VALU_DEP_3) | instskip(NEXT) | instid1(VALU_DEP_3)
	v_lshl_add_u32 v35, v35, 23, 0x3b800000
	v_lshlrev_b32_e32 v33, 20, v33
	s_delay_alu instid0(VALU_DEP_1)
	v_or3_b32 v33, v34, v35, v33
.LBB6_7690:                             ;   in Loop: Header=BB6_7654 Depth=3
	s_or_b32 exec_lo, exec_lo, s30
	v_lshrrev_b32_e32 v34, 16, v8
	s_mov_b32 s14, 0
	s_mov_b32 s31, exec_lo
                                        ; implicit-def: $sgpr30
	s_delay_alu instid0(VALU_DEP_1) | instskip(NEXT) | instid1(VALU_DEP_1)
	v_and_b32_e32 v36, 0xff, v34
	v_cmpx_lt_i16_e32 0x7f, v36
	s_xor_b32 s31, exec_lo, s31
	s_cbranch_execnz .LBB6_7928
; %bb.7691:                             ;   in Loop: Header=BB6_7654 Depth=3
	s_or_saveexec_b32 s31, s31
	v_mov_b32_e32 v35, s30
	s_xor_b32 exec_lo, exec_lo, s31
	s_cbranch_execnz .LBB6_7931
.LBB6_7692:                             ;   in Loop: Header=BB6_7654 Depth=3
	s_or_b32 exec_lo, exec_lo, s31
	s_and_saveexec_b32 s30, s14
	s_cbranch_execz .LBB6_7694
.LBB6_7693:                             ;   in Loop: Header=BB6_7654 Depth=3
	v_bfe_u32 v35, v8, 16, 3
	v_lshlrev_b32_e32 v38, 8, v8
	s_delay_alu instid0(VALU_DEP_2) | instskip(NEXT) | instid1(VALU_DEP_1)
	v_clz_i32_u32_e32 v36, v35
	v_min_u32_e32 v36, 32, v36
	s_delay_alu instid0(VALU_DEP_1) | instskip(SKIP_1) | instid1(VALU_DEP_2)
	v_subrev_nc_u32_e32 v37, 28, v36
	v_sub_nc_u32_e32 v36, 29, v36
	v_lshlrev_b32_e32 v34, v37, v34
	v_bfe_u32 v37, v8, 19, 4
	s_delay_alu instid0(VALU_DEP_2) | instskip(NEXT) | instid1(VALU_DEP_2)
	v_and_b32_e32 v34, 7, v34
	v_cmp_eq_u32_e64 s13, 0, v37
	s_delay_alu instid0(VALU_DEP_1) | instskip(NEXT) | instid1(VALU_DEP_3)
	v_cndmask_b32_e64 v36, v37, v36, s13
	v_cndmask_b32_e64 v34, v35, v34, s13
	v_and_b32_e32 v35, 0x80000000, v38
	s_delay_alu instid0(VALU_DEP_3) | instskip(NEXT) | instid1(VALU_DEP_3)
	v_lshl_add_u32 v36, v36, 23, 0x3b800000
	v_lshlrev_b32_e32 v34, 20, v34
	s_delay_alu instid0(VALU_DEP_1)
	v_or3_b32 v35, v35, v36, v34
.LBB6_7694:                             ;   in Loop: Header=BB6_7654 Depth=3
	s_or_b32 exec_lo, exec_lo, s30
	s_delay_alu instid0(VALU_DEP_1) | instskip(NEXT) | instid1(VALU_DEP_1)
	v_add_f32_e32 v34, v33, v35
	v_and_b32_e32 v33, 0x7f800000, v34
	s_delay_alu instid0(VALU_DEP_1) | instskip(SKIP_1) | instid1(VALU_DEP_2)
	v_cmp_ne_u32_e64 s13, 0x7f800000, v33
	v_mov_b32_e32 v33, 0x80
	s_and_saveexec_b32 s30, s13
	s_cbranch_execz .LBB6_7702
; %bb.7695:                             ;   in Loop: Header=BB6_7654 Depth=3
	v_mov_b32_e32 v33, 0
	s_mov_b32 s31, exec_lo
	v_cmpx_ne_u32_e32 0, v34
	s_cbranch_execz .LBB6_7701
; %bb.7696:                             ;   in Loop: Header=BB6_7654 Depth=3
	v_bfe_u32 v33, v34, 23, 8
	v_and_b32_e32 v35, 0x7fffff, v34
	s_delay_alu instid0(VALU_DEP_2) | instskip(SKIP_1) | instid1(VALU_DEP_3)
	v_sub_nc_u32_e32 v36, 0x78, v33
	v_cmp_gt_u32_e64 s13, 0x79, v33
	v_or_b32_e32 v37, 0x800000, v35
	s_delay_alu instid0(VALU_DEP_2) | instskip(SKIP_2) | instid1(VALU_DEP_2)
	v_cndmask_b32_e64 v36, 0, v36, s13
	v_cmp_eq_u32_e64 s13, 0, v33
	v_add_nc_u32_e32 v33, 0xffffff89, v33
	v_cndmask_b32_e64 v36, v36, 0x77, s13
	v_cndmask_b32_e64 v35, v37, v35, s13
	s_delay_alu instid0(VALU_DEP_3) | instskip(NEXT) | instid1(VALU_DEP_3)
	v_cndmask_b32_e64 v33, v33, 0xffffff8a, s13
	v_lshl_add_u32 v37, 0x100000, v36, -1
	s_delay_alu instid0(VALU_DEP_3) | instskip(SKIP_1) | instid1(VALU_DEP_4)
	v_lshrrev_b32_e32 v38, v36, v35
	v_lshlrev_b32_e64 v48, v36, 0x80000
	v_add_nc_u32_e32 v36, v36, v33
	s_delay_alu instid0(VALU_DEP_4) | instskip(NEXT) | instid1(VALU_DEP_4)
	v_and_b32_e32 v35, v37, v35
	v_bfe_u32 v39, v38, 20, 1
	s_delay_alu instid0(VALU_DEP_2) | instskip(NEXT) | instid1(VALU_DEP_2)
	v_cmp_eq_u32_e64 s14, v35, v48
	v_add_nc_u32_e32 v37, -1, v39
	s_delay_alu instid0(VALU_DEP_1) | instskip(SKIP_2) | instid1(VALU_DEP_2)
	v_cndmask_b32_e64 v35, 0, v37, s14
	v_lshrrev_b32_e32 v37, 23, v38
	s_mov_b32 s14, exec_lo
	v_add_nc_u32_e32 v35, v35, v38
	s_delay_alu instid0(VALU_DEP_2) | instskip(NEXT) | instid1(VALU_DEP_2)
	v_xor_b32_e32 v37, 1, v37
	v_and_b32_e32 v33, 0xfffff, v35
	s_delay_alu instid0(VALU_DEP_1) | instskip(NEXT) | instid1(VALU_DEP_3)
	v_add_nc_u32_e32 v35, v33, v38
                                        ; implicit-def: $vgpr33
	v_cmpx_ne_u32_e64 v36, v37
	s_xor_b32 s14, exec_lo, s14
; %bb.7697:                             ;   in Loop: Header=BB6_7654 Depth=3
	s_delay_alu instid0(VALU_DEP_2) | instskip(SKIP_1) | instid1(VALU_DEP_2)
	v_cmp_lt_u32_e64 s13, 0xffffff, v35
	v_sub_nc_u32_e32 v33, v36, v37
	v_cndmask_b32_e64 v36, 0, 1, s13
	s_delay_alu instid0(VALU_DEP_2) | instskip(NEXT) | instid1(VALU_DEP_2)
	v_add_co_ci_u32_e64 v33, s13, 0, v33, s13
	v_lshrrev_b32_e32 v35, v36, v35
; %bb.7698:                             ;   in Loop: Header=BB6_7654 Depth=3
	s_and_not1_saveexec_b32 s13, s14
; %bb.7699:                             ;   in Loop: Header=BB6_7654 Depth=3
	s_delay_alu instid0(VALU_DEP_1)
	v_bfe_u32 v33, v35, 23, 1
; %bb.7700:                             ;   in Loop: Header=BB6_7654 Depth=3
	s_or_b32 exec_lo, exec_lo, s13
	v_lshrrev_b32_e32 v35, 20, v35
	s_delay_alu instid0(VALU_DEP_2) | instskip(SKIP_2) | instid1(VALU_DEP_3)
	v_cmp_gt_i32_e64 s13, 16, v33
	v_lshrrev_b32_e32 v34, 24, v34
	v_min_i32_e32 v36, 15, v33
	v_cndmask_b32_e64 v35, 7, v35, s13
	s_delay_alu instid0(VALU_DEP_3) | instskip(NEXT) | instid1(VALU_DEP_3)
	v_and_b32_e32 v34, 0x80, v34
	v_lshlrev_b32_e32 v36, 3, v36
	s_delay_alu instid0(VALU_DEP_3) | instskip(SKIP_1) | instid1(VALU_DEP_2)
	v_and_b32_e32 v37, 7, v35
	v_or_b32_e32 v33, v33, v35
	v_or3_b32 v34, v36, v34, v37
	s_delay_alu instid0(VALU_DEP_2) | instskip(NEXT) | instid1(VALU_DEP_1)
	v_cmp_ne_u32_e64 s13, 0, v33
	v_cndmask_b32_e64 v33, 0, v34, s13
.LBB6_7701:                             ;   in Loop: Header=BB6_7654 Depth=3
	s_or_b32 exec_lo, exec_lo, s31
.LBB6_7702:                             ;   in Loop: Header=BB6_7654 Depth=3
	s_delay_alu instid0(SALU_CYCLE_1) | instskip(SKIP_3) | instid1(VALU_DEP_1)
	s_or_b32 exec_lo, exec_lo, s30
	v_lshrrev_b32_e32 v35, 24, v12
	s_mov_b32 s14, 0
	s_mov_b32 s31, exec_lo
                                        ; implicit-def: $sgpr30
	v_cmpx_lt_i16_e32 0x7f, v35
	s_xor_b32 s31, exec_lo, s31
	s_cbranch_execnz .LBB6_7932
; %bb.7703:                             ;   in Loop: Header=BB6_7654 Depth=3
	s_or_saveexec_b32 s31, s31
	v_mov_b32_e32 v34, s30
	s_xor_b32 exec_lo, exec_lo, s31
	s_cbranch_execnz .LBB6_7935
.LBB6_7704:                             ;   in Loop: Header=BB6_7654 Depth=3
	s_or_b32 exec_lo, exec_lo, s31
	s_and_saveexec_b32 s30, s14
	s_cbranch_execz .LBB6_7706
.LBB6_7705:                             ;   in Loop: Header=BB6_7654 Depth=3
	v_bfe_u32 v34, v12, 24, 3
	s_delay_alu instid0(VALU_DEP_1) | instskip(NEXT) | instid1(VALU_DEP_1)
	v_clz_i32_u32_e32 v36, v34
	v_min_u32_e32 v36, 32, v36
	s_delay_alu instid0(VALU_DEP_1) | instskip(SKIP_1) | instid1(VALU_DEP_2)
	v_subrev_nc_u32_e32 v37, 28, v36
	v_sub_nc_u32_e32 v36, 29, v36
	v_lshlrev_b32_e32 v35, v37, v35
	v_bfe_u32 v37, v12, 27, 4
	v_and_b32_e32 v12, 0x80000000, v12
	s_delay_alu instid0(VALU_DEP_3) | instskip(NEXT) | instid1(VALU_DEP_3)
	v_and_b32_e32 v35, 7, v35
	v_cmp_eq_u32_e64 s13, 0, v37
	s_delay_alu instid0(VALU_DEP_1) | instskip(NEXT) | instid1(VALU_DEP_3)
	v_cndmask_b32_e64 v36, v37, v36, s13
	v_cndmask_b32_e64 v34, v34, v35, s13
	s_delay_alu instid0(VALU_DEP_2) | instskip(NEXT) | instid1(VALU_DEP_2)
	v_lshl_add_u32 v35, v36, 23, 0x3b800000
	v_lshlrev_b32_e32 v34, 20, v34
	s_delay_alu instid0(VALU_DEP_1)
	v_or3_b32 v34, v12, v35, v34
.LBB6_7706:                             ;   in Loop: Header=BB6_7654 Depth=3
	s_or_b32 exec_lo, exec_lo, s30
	v_lshrrev_b32_e32 v12, 24, v8
	s_mov_b32 s14, 0
	s_mov_b32 s31, exec_lo
                                        ; implicit-def: $sgpr30
	s_delay_alu instid0(VALU_DEP_1)
	v_cmpx_lt_i16_e32 0x7f, v12
	s_xor_b32 s31, exec_lo, s31
	s_cbranch_execnz .LBB6_7936
; %bb.7707:                             ;   in Loop: Header=BB6_7654 Depth=3
	s_or_saveexec_b32 s31, s31
	v_mov_b32_e32 v35, s30
	s_xor_b32 exec_lo, exec_lo, s31
	s_cbranch_execnz .LBB6_7939
.LBB6_7708:                             ;   in Loop: Header=BB6_7654 Depth=3
	s_or_b32 exec_lo, exec_lo, s31
	s_and_saveexec_b32 s30, s14
	s_cbranch_execz .LBB6_7710
.LBB6_7709:                             ;   in Loop: Header=BB6_7654 Depth=3
	v_bfe_u32 v35, v8, 24, 3
	s_delay_alu instid0(VALU_DEP_1) | instskip(NEXT) | instid1(VALU_DEP_1)
	v_clz_i32_u32_e32 v36, v35
	v_min_u32_e32 v36, 32, v36
	s_delay_alu instid0(VALU_DEP_1) | instskip(SKIP_1) | instid1(VALU_DEP_2)
	v_subrev_nc_u32_e32 v37, 28, v36
	v_sub_nc_u32_e32 v36, 29, v36
	v_lshlrev_b32_e32 v12, v37, v12
	v_bfe_u32 v37, v8, 27, 4
	v_and_b32_e32 v8, 0x80000000, v8
	s_delay_alu instid0(VALU_DEP_3) | instskip(NEXT) | instid1(VALU_DEP_3)
	v_and_b32_e32 v12, 7, v12
	v_cmp_eq_u32_e64 s13, 0, v37
	s_delay_alu instid0(VALU_DEP_1) | instskip(NEXT) | instid1(VALU_DEP_3)
	v_cndmask_b32_e64 v36, v37, v36, s13
	v_cndmask_b32_e64 v12, v35, v12, s13
	s_delay_alu instid0(VALU_DEP_2) | instskip(NEXT) | instid1(VALU_DEP_2)
	v_lshl_add_u32 v35, v36, 23, 0x3b800000
	v_lshlrev_b32_e32 v12, 20, v12
	s_delay_alu instid0(VALU_DEP_1)
	v_or3_b32 v35, v8, v35, v12
.LBB6_7710:                             ;   in Loop: Header=BB6_7654 Depth=3
	s_or_b32 exec_lo, exec_lo, s30
	s_delay_alu instid0(VALU_DEP_1) | instskip(NEXT) | instid1(VALU_DEP_1)
	v_add_f32_e32 v12, v34, v35
	v_and_b32_e32 v8, 0x7f800000, v12
	s_delay_alu instid0(VALU_DEP_1) | instskip(SKIP_1) | instid1(VALU_DEP_2)
	v_cmp_ne_u32_e64 s13, 0x7f800000, v8
	v_mov_b32_e32 v8, 0x80
	s_and_saveexec_b32 s30, s13
	s_cbranch_execz .LBB6_7718
; %bb.7711:                             ;   in Loop: Header=BB6_7654 Depth=3
	v_mov_b32_e32 v8, 0
	s_mov_b32 s31, exec_lo
	v_cmpx_ne_u32_e32 0, v12
	s_cbranch_execz .LBB6_7717
; %bb.7712:                             ;   in Loop: Header=BB6_7654 Depth=3
	v_bfe_u32 v8, v12, 23, 8
	v_and_b32_e32 v34, 0x7fffff, v12
	s_delay_alu instid0(VALU_DEP_2) | instskip(SKIP_1) | instid1(VALU_DEP_3)
	v_sub_nc_u32_e32 v35, 0x78, v8
	v_cmp_gt_u32_e64 s13, 0x79, v8
	v_or_b32_e32 v36, 0x800000, v34
	s_delay_alu instid0(VALU_DEP_2) | instskip(SKIP_2) | instid1(VALU_DEP_2)
	v_cndmask_b32_e64 v35, 0, v35, s13
	v_cmp_eq_u32_e64 s13, 0, v8
	v_add_nc_u32_e32 v8, 0xffffff89, v8
	v_cndmask_b32_e64 v35, v35, 0x77, s13
	v_cndmask_b32_e64 v34, v36, v34, s13
	s_delay_alu instid0(VALU_DEP_3) | instskip(NEXT) | instid1(VALU_DEP_3)
	v_cndmask_b32_e64 v8, v8, 0xffffff8a, s13
	v_lshl_add_u32 v36, 0x100000, v35, -1
	s_delay_alu instid0(VALU_DEP_3) | instskip(SKIP_1) | instid1(VALU_DEP_4)
	v_lshrrev_b32_e32 v37, v35, v34
	v_lshlrev_b32_e64 v39, v35, 0x80000
	v_add_nc_u32_e32 v35, v35, v8
	s_delay_alu instid0(VALU_DEP_4) | instskip(NEXT) | instid1(VALU_DEP_4)
	v_and_b32_e32 v34, v36, v34
	v_bfe_u32 v38, v37, 20, 1
	s_delay_alu instid0(VALU_DEP_2) | instskip(NEXT) | instid1(VALU_DEP_2)
	v_cmp_eq_u32_e64 s14, v34, v39
	v_add_nc_u32_e32 v36, -1, v38
	s_delay_alu instid0(VALU_DEP_1) | instskip(SKIP_2) | instid1(VALU_DEP_2)
	v_cndmask_b32_e64 v34, 0, v36, s14
	v_lshrrev_b32_e32 v36, 23, v37
	s_mov_b32 s14, exec_lo
	v_add_nc_u32_e32 v34, v34, v37
	s_delay_alu instid0(VALU_DEP_2) | instskip(NEXT) | instid1(VALU_DEP_2)
	v_xor_b32_e32 v36, 1, v36
	v_and_b32_e32 v8, 0xfffff, v34
	s_delay_alu instid0(VALU_DEP_1) | instskip(NEXT) | instid1(VALU_DEP_3)
	v_add_nc_u32_e32 v34, v8, v37
                                        ; implicit-def: $vgpr8
	v_cmpx_ne_u32_e64 v35, v36
	s_xor_b32 s14, exec_lo, s14
; %bb.7713:                             ;   in Loop: Header=BB6_7654 Depth=3
	s_delay_alu instid0(VALU_DEP_2) | instskip(SKIP_1) | instid1(VALU_DEP_2)
	v_cmp_lt_u32_e64 s13, 0xffffff, v34
	v_sub_nc_u32_e32 v8, v35, v36
	v_cndmask_b32_e64 v35, 0, 1, s13
	s_delay_alu instid0(VALU_DEP_2) | instskip(NEXT) | instid1(VALU_DEP_2)
	v_add_co_ci_u32_e64 v8, s13, 0, v8, s13
	v_lshrrev_b32_e32 v34, v35, v34
; %bb.7714:                             ;   in Loop: Header=BB6_7654 Depth=3
	s_and_not1_saveexec_b32 s13, s14
; %bb.7715:                             ;   in Loop: Header=BB6_7654 Depth=3
	s_delay_alu instid0(VALU_DEP_1)
	v_bfe_u32 v8, v34, 23, 1
; %bb.7716:                             ;   in Loop: Header=BB6_7654 Depth=3
	s_or_b32 exec_lo, exec_lo, s13
	v_lshrrev_b32_e32 v34, 20, v34
	s_delay_alu instid0(VALU_DEP_2) | instskip(SKIP_2) | instid1(VALU_DEP_3)
	v_cmp_gt_i32_e64 s13, 16, v8
	v_lshrrev_b32_e32 v12, 24, v12
	v_min_i32_e32 v35, 15, v8
	v_cndmask_b32_e64 v34, 7, v34, s13
	s_delay_alu instid0(VALU_DEP_3) | instskip(NEXT) | instid1(VALU_DEP_3)
	v_and_b32_e32 v12, 0x80, v12
	v_lshlrev_b32_e32 v35, 3, v35
	s_delay_alu instid0(VALU_DEP_3) | instskip(SKIP_1) | instid1(VALU_DEP_2)
	v_and_b32_e32 v36, 7, v34
	v_or_b32_e32 v8, v8, v34
	v_or3_b32 v12, v35, v12, v36
	s_delay_alu instid0(VALU_DEP_2) | instskip(NEXT) | instid1(VALU_DEP_1)
	v_cmp_ne_u32_e64 s13, 0, v8
	v_cndmask_b32_e64 v8, 0, v12, s13
.LBB6_7717:                             ;   in Loop: Header=BB6_7654 Depth=3
	s_or_b32 exec_lo, exec_lo, s31
.LBB6_7718:                             ;   in Loop: Header=BB6_7654 Depth=3
	s_delay_alu instid0(SALU_CYCLE_1) | instskip(SKIP_3) | instid1(VALU_DEP_1)
	s_or_b32 exec_lo, exec_lo, s30
	v_and_b32_e32 v34, 0xff, v13
	s_mov_b32 s14, 0
	s_mov_b32 s31, exec_lo
                                        ; implicit-def: $sgpr30
	v_cmpx_lt_i16_e32 0x7f, v34
	s_xor_b32 s31, exec_lo, s31
	s_cbranch_execnz .LBB6_7940
; %bb.7719:                             ;   in Loop: Header=BB6_7654 Depth=3
	s_or_saveexec_b32 s31, s31
	v_mov_b32_e32 v12, s30
	s_xor_b32 exec_lo, exec_lo, s31
	s_cbranch_execnz .LBB6_7943
.LBB6_7720:                             ;   in Loop: Header=BB6_7654 Depth=3
	s_or_b32 exec_lo, exec_lo, s31
	s_and_saveexec_b32 s30, s14
	s_cbranch_execz .LBB6_7722
.LBB6_7721:                             ;   in Loop: Header=BB6_7654 Depth=3
	v_and_b32_e32 v12, 7, v13
	v_bfe_u32 v36, v13, 3, 4
	v_lshlrev_b32_e32 v37, 24, v13
	s_delay_alu instid0(VALU_DEP_3) | instskip(NEXT) | instid1(VALU_DEP_3)
	v_clz_i32_u32_e32 v34, v12
	v_cmp_eq_u32_e64 s13, 0, v36
	s_delay_alu instid0(VALU_DEP_2) | instskip(NEXT) | instid1(VALU_DEP_1)
	v_min_u32_e32 v34, 32, v34
	v_subrev_nc_u32_e32 v35, 28, v34
	v_sub_nc_u32_e32 v34, 29, v34
	s_delay_alu instid0(VALU_DEP_2) | instskip(NEXT) | instid1(VALU_DEP_2)
	v_lshlrev_b32_e32 v35, v35, v13
	v_cndmask_b32_e64 v34, v36, v34, s13
	s_delay_alu instid0(VALU_DEP_2) | instskip(NEXT) | instid1(VALU_DEP_2)
	v_and_b32_e32 v35, 7, v35
	v_lshl_add_u32 v34, v34, 23, 0x3b800000
	s_delay_alu instid0(VALU_DEP_2) | instskip(SKIP_1) | instid1(VALU_DEP_2)
	v_cndmask_b32_e64 v12, v12, v35, s13
	v_and_b32_e32 v35, 0x80000000, v37
	v_lshlrev_b32_e32 v12, 20, v12
	s_delay_alu instid0(VALU_DEP_1)
	v_or3_b32 v12, v35, v34, v12
.LBB6_7722:                             ;   in Loop: Header=BB6_7654 Depth=3
	s_or_b32 exec_lo, exec_lo, s30
	v_and_b32_e32 v35, 0xff, v9
	s_mov_b32 s14, 0
	s_mov_b32 s31, exec_lo
                                        ; implicit-def: $sgpr30
	s_delay_alu instid0(VALU_DEP_1)
	v_cmpx_lt_i16_e32 0x7f, v35
	s_xor_b32 s31, exec_lo, s31
	s_cbranch_execnz .LBB6_7944
; %bb.7723:                             ;   in Loop: Header=BB6_7654 Depth=3
	s_or_saveexec_b32 s31, s31
	v_mov_b32_e32 v34, s30
	s_xor_b32 exec_lo, exec_lo, s31
	s_cbranch_execnz .LBB6_7947
.LBB6_7724:                             ;   in Loop: Header=BB6_7654 Depth=3
	s_or_b32 exec_lo, exec_lo, s31
	s_and_saveexec_b32 s30, s14
	s_cbranch_execz .LBB6_7726
.LBB6_7725:                             ;   in Loop: Header=BB6_7654 Depth=3
	v_and_b32_e32 v34, 7, v9
	v_bfe_u32 v37, v9, 3, 4
	v_lshlrev_b32_e32 v38, 24, v9
	s_delay_alu instid0(VALU_DEP_3) | instskip(NEXT) | instid1(VALU_DEP_3)
	v_clz_i32_u32_e32 v35, v34
	v_cmp_eq_u32_e64 s13, 0, v37
	s_delay_alu instid0(VALU_DEP_2) | instskip(NEXT) | instid1(VALU_DEP_1)
	v_min_u32_e32 v35, 32, v35
	v_subrev_nc_u32_e32 v36, 28, v35
	v_sub_nc_u32_e32 v35, 29, v35
	s_delay_alu instid0(VALU_DEP_2) | instskip(NEXT) | instid1(VALU_DEP_2)
	v_lshlrev_b32_e32 v36, v36, v9
	v_cndmask_b32_e64 v35, v37, v35, s13
	s_delay_alu instid0(VALU_DEP_2) | instskip(NEXT) | instid1(VALU_DEP_2)
	v_and_b32_e32 v36, 7, v36
	v_lshl_add_u32 v35, v35, 23, 0x3b800000
	s_delay_alu instid0(VALU_DEP_2) | instskip(SKIP_1) | instid1(VALU_DEP_2)
	v_cndmask_b32_e64 v34, v34, v36, s13
	v_and_b32_e32 v36, 0x80000000, v38
	v_lshlrev_b32_e32 v34, 20, v34
	s_delay_alu instid0(VALU_DEP_1)
	v_or3_b32 v34, v36, v35, v34
.LBB6_7726:                             ;   in Loop: Header=BB6_7654 Depth=3
	s_or_b32 exec_lo, exec_lo, s30
	s_delay_alu instid0(VALU_DEP_1) | instskip(NEXT) | instid1(VALU_DEP_1)
	v_add_f32_e32 v34, v12, v34
	v_and_b32_e32 v12, 0x7f800000, v34
	s_delay_alu instid0(VALU_DEP_1) | instskip(SKIP_1) | instid1(VALU_DEP_2)
	v_cmp_ne_u32_e64 s13, 0x7f800000, v12
	v_mov_b32_e32 v12, 0x80
	s_and_saveexec_b32 s30, s13
	s_cbranch_execz .LBB6_7734
; %bb.7727:                             ;   in Loop: Header=BB6_7654 Depth=3
	v_mov_b32_e32 v12, 0
	s_mov_b32 s31, exec_lo
	v_cmpx_ne_u32_e32 0, v34
	s_cbranch_execz .LBB6_7733
; %bb.7728:                             ;   in Loop: Header=BB6_7654 Depth=3
	v_bfe_u32 v12, v34, 23, 8
	v_and_b32_e32 v35, 0x7fffff, v34
	s_delay_alu instid0(VALU_DEP_2) | instskip(SKIP_1) | instid1(VALU_DEP_3)
	v_sub_nc_u32_e32 v36, 0x78, v12
	v_cmp_gt_u32_e64 s13, 0x79, v12
	v_or_b32_e32 v37, 0x800000, v35
	s_delay_alu instid0(VALU_DEP_2) | instskip(SKIP_2) | instid1(VALU_DEP_2)
	v_cndmask_b32_e64 v36, 0, v36, s13
	v_cmp_eq_u32_e64 s13, 0, v12
	v_add_nc_u32_e32 v12, 0xffffff89, v12
	v_cndmask_b32_e64 v36, v36, 0x77, s13
	v_cndmask_b32_e64 v35, v37, v35, s13
	s_delay_alu instid0(VALU_DEP_3) | instskip(NEXT) | instid1(VALU_DEP_3)
	v_cndmask_b32_e64 v12, v12, 0xffffff8a, s13
	v_lshl_add_u32 v37, 0x100000, v36, -1
	s_delay_alu instid0(VALU_DEP_3) | instskip(SKIP_1) | instid1(VALU_DEP_4)
	v_lshrrev_b32_e32 v38, v36, v35
	v_lshlrev_b32_e64 v48, v36, 0x80000
	v_add_nc_u32_e32 v36, v36, v12
	s_delay_alu instid0(VALU_DEP_4) | instskip(NEXT) | instid1(VALU_DEP_4)
	v_and_b32_e32 v35, v37, v35
	v_bfe_u32 v39, v38, 20, 1
	s_delay_alu instid0(VALU_DEP_2) | instskip(NEXT) | instid1(VALU_DEP_2)
	v_cmp_eq_u32_e64 s14, v35, v48
	v_add_nc_u32_e32 v37, -1, v39
	s_delay_alu instid0(VALU_DEP_1) | instskip(SKIP_2) | instid1(VALU_DEP_2)
	v_cndmask_b32_e64 v35, 0, v37, s14
	v_lshrrev_b32_e32 v37, 23, v38
	s_mov_b32 s14, exec_lo
	v_add_nc_u32_e32 v35, v35, v38
	s_delay_alu instid0(VALU_DEP_2) | instskip(NEXT) | instid1(VALU_DEP_2)
	v_xor_b32_e32 v37, 1, v37
	v_and_b32_e32 v12, 0xfffff, v35
	s_delay_alu instid0(VALU_DEP_1) | instskip(NEXT) | instid1(VALU_DEP_3)
	v_add_nc_u32_e32 v35, v12, v38
                                        ; implicit-def: $vgpr12
	v_cmpx_ne_u32_e64 v36, v37
	s_xor_b32 s14, exec_lo, s14
; %bb.7729:                             ;   in Loop: Header=BB6_7654 Depth=3
	s_delay_alu instid0(VALU_DEP_2) | instskip(SKIP_1) | instid1(VALU_DEP_2)
	v_cmp_lt_u32_e64 s13, 0xffffff, v35
	v_sub_nc_u32_e32 v12, v36, v37
	v_cndmask_b32_e64 v36, 0, 1, s13
	s_delay_alu instid0(VALU_DEP_2) | instskip(NEXT) | instid1(VALU_DEP_2)
	v_add_co_ci_u32_e64 v12, s13, 0, v12, s13
	v_lshrrev_b32_e32 v35, v36, v35
; %bb.7730:                             ;   in Loop: Header=BB6_7654 Depth=3
	s_and_not1_saveexec_b32 s13, s14
; %bb.7731:                             ;   in Loop: Header=BB6_7654 Depth=3
	s_delay_alu instid0(VALU_DEP_1)
	v_bfe_u32 v12, v35, 23, 1
; %bb.7732:                             ;   in Loop: Header=BB6_7654 Depth=3
	s_or_b32 exec_lo, exec_lo, s13
	v_lshrrev_b32_e32 v35, 20, v35
	s_delay_alu instid0(VALU_DEP_2) | instskip(SKIP_2) | instid1(VALU_DEP_3)
	v_cmp_gt_i32_e64 s13, 16, v12
	v_lshrrev_b32_e32 v34, 24, v34
	v_min_i32_e32 v36, 15, v12
	v_cndmask_b32_e64 v35, 7, v35, s13
	s_delay_alu instid0(VALU_DEP_3) | instskip(NEXT) | instid1(VALU_DEP_3)
	v_and_b32_e32 v34, 0x80, v34
	v_lshlrev_b32_e32 v36, 3, v36
	s_delay_alu instid0(VALU_DEP_3) | instskip(SKIP_1) | instid1(VALU_DEP_2)
	v_and_b32_e32 v37, 7, v35
	v_or_b32_e32 v12, v12, v35
	v_or3_b32 v34, v36, v34, v37
	s_delay_alu instid0(VALU_DEP_2) | instskip(NEXT) | instid1(VALU_DEP_1)
	v_cmp_ne_u32_e64 s13, 0, v12
	v_cndmask_b32_e64 v12, 0, v34, s13
.LBB6_7733:                             ;   in Loop: Header=BB6_7654 Depth=3
	s_or_b32 exec_lo, exec_lo, s31
.LBB6_7734:                             ;   in Loop: Header=BB6_7654 Depth=3
	s_delay_alu instid0(SALU_CYCLE_1) | instskip(SKIP_3) | instid1(VALU_DEP_1)
	s_or_b32 exec_lo, exec_lo, s30
	v_lshrrev_b16 v35, 8, v13
	s_mov_b32 s14, 0
	s_mov_b32 s31, exec_lo
                                        ; implicit-def: $sgpr30
	v_cmpx_lt_i16_e32 0x7f, v35
	s_xor_b32 s31, exec_lo, s31
	s_cbranch_execnz .LBB6_7948
; %bb.7735:                             ;   in Loop: Header=BB6_7654 Depth=3
	s_or_saveexec_b32 s31, s31
	v_mov_b32_e32 v34, s30
	s_xor_b32 exec_lo, exec_lo, s31
	s_cbranch_execnz .LBB6_7951
.LBB6_7736:                             ;   in Loop: Header=BB6_7654 Depth=3
	s_or_b32 exec_lo, exec_lo, s31
	s_and_saveexec_b32 s30, s14
	s_cbranch_execz .LBB6_7738
.LBB6_7737:                             ;   in Loop: Header=BB6_7654 Depth=3
	v_and_b32_e32 v34, 0xffff, v35
	v_lshlrev_b32_e32 v35, 24, v35
	s_delay_alu instid0(VALU_DEP_2) | instskip(NEXT) | instid1(VALU_DEP_2)
	v_and_b32_e32 v36, 7, v34
	v_and_b32_e32 v35, 0x80000000, v35
	s_delay_alu instid0(VALU_DEP_2) | instskip(NEXT) | instid1(VALU_DEP_1)
	v_clz_i32_u32_e32 v37, v36
	v_min_u32_e32 v37, 32, v37
	s_delay_alu instid0(VALU_DEP_1) | instskip(SKIP_1) | instid1(VALU_DEP_2)
	v_subrev_nc_u32_e32 v38, 28, v37
	v_sub_nc_u32_e32 v37, 29, v37
	v_lshlrev_b32_e32 v38, v38, v34
	v_bfe_u32 v34, v34, 3, 4
	s_delay_alu instid0(VALU_DEP_2) | instskip(NEXT) | instid1(VALU_DEP_2)
	v_and_b32_e32 v38, 7, v38
	v_cmp_eq_u32_e64 s13, 0, v34
	s_delay_alu instid0(VALU_DEP_1) | instskip(NEXT) | instid1(VALU_DEP_3)
	v_cndmask_b32_e64 v34, v34, v37, s13
	v_cndmask_b32_e64 v36, v36, v38, s13
	s_delay_alu instid0(VALU_DEP_2) | instskip(NEXT) | instid1(VALU_DEP_2)
	v_lshl_add_u32 v34, v34, 23, 0x3b800000
	v_lshlrev_b32_e32 v36, 20, v36
	s_delay_alu instid0(VALU_DEP_1)
	v_or3_b32 v34, v35, v34, v36
.LBB6_7738:                             ;   in Loop: Header=BB6_7654 Depth=3
	s_or_b32 exec_lo, exec_lo, s30
	v_lshrrev_b16 v35, 8, v9
	s_mov_b32 s14, 0
	s_mov_b32 s31, exec_lo
                                        ; implicit-def: $sgpr30
	s_delay_alu instid0(VALU_DEP_1)
	v_cmpx_lt_i16_e32 0x7f, v35
	s_xor_b32 s31, exec_lo, s31
	s_cbranch_execnz .LBB6_7952
; %bb.7739:                             ;   in Loop: Header=BB6_7654 Depth=3
	s_or_saveexec_b32 s31, s31
	v_mov_b32_e32 v36, s30
	s_xor_b32 exec_lo, exec_lo, s31
	s_cbranch_execnz .LBB6_7955
.LBB6_7740:                             ;   in Loop: Header=BB6_7654 Depth=3
	s_or_b32 exec_lo, exec_lo, s31
	s_and_saveexec_b32 s30, s14
	s_cbranch_execz .LBB6_7742
.LBB6_7741:                             ;   in Loop: Header=BB6_7654 Depth=3
	v_and_b32_e32 v36, 0xffff, v35
	v_lshlrev_b32_e32 v35, 24, v35
	s_delay_alu instid0(VALU_DEP_2) | instskip(NEXT) | instid1(VALU_DEP_2)
	v_and_b32_e32 v37, 7, v36
	v_and_b32_e32 v35, 0x80000000, v35
	s_delay_alu instid0(VALU_DEP_2) | instskip(NEXT) | instid1(VALU_DEP_1)
	v_clz_i32_u32_e32 v38, v37
	v_min_u32_e32 v38, 32, v38
	s_delay_alu instid0(VALU_DEP_1) | instskip(SKIP_1) | instid1(VALU_DEP_2)
	v_subrev_nc_u32_e32 v39, 28, v38
	v_sub_nc_u32_e32 v38, 29, v38
	v_lshlrev_b32_e32 v39, v39, v36
	v_bfe_u32 v36, v36, 3, 4
	s_delay_alu instid0(VALU_DEP_2) | instskip(NEXT) | instid1(VALU_DEP_2)
	v_and_b32_e32 v39, 7, v39
	v_cmp_eq_u32_e64 s13, 0, v36
	s_delay_alu instid0(VALU_DEP_1) | instskip(NEXT) | instid1(VALU_DEP_3)
	v_cndmask_b32_e64 v36, v36, v38, s13
	v_cndmask_b32_e64 v37, v37, v39, s13
	s_delay_alu instid0(VALU_DEP_2) | instskip(NEXT) | instid1(VALU_DEP_2)
	v_lshl_add_u32 v36, v36, 23, 0x3b800000
	v_lshlrev_b32_e32 v37, 20, v37
	s_delay_alu instid0(VALU_DEP_1)
	v_or3_b32 v36, v35, v36, v37
.LBB6_7742:                             ;   in Loop: Header=BB6_7654 Depth=3
	s_or_b32 exec_lo, exec_lo, s30
	s_delay_alu instid0(VALU_DEP_1) | instskip(NEXT) | instid1(VALU_DEP_1)
	v_add_f32_e32 v35, v34, v36
	v_and_b32_e32 v34, 0x7f800000, v35
	s_delay_alu instid0(VALU_DEP_1) | instskip(SKIP_1) | instid1(VALU_DEP_2)
	v_cmp_ne_u32_e64 s13, 0x7f800000, v34
	v_mov_b32_e32 v34, 0x8000
	s_and_saveexec_b32 s30, s13
	s_cbranch_execz .LBB6_7750
; %bb.7743:                             ;   in Loop: Header=BB6_7654 Depth=3
	v_mov_b32_e32 v34, 0
	s_mov_b32 s31, exec_lo
	v_cmpx_ne_u32_e32 0, v35
	s_cbranch_execz .LBB6_7749
; %bb.7744:                             ;   in Loop: Header=BB6_7654 Depth=3
	v_bfe_u32 v34, v35, 23, 8
	v_and_b32_e32 v36, 0x7fffff, v35
	s_delay_alu instid0(VALU_DEP_2) | instskip(SKIP_1) | instid1(VALU_DEP_3)
	v_sub_nc_u32_e32 v37, 0x78, v34
	v_cmp_gt_u32_e64 s13, 0x79, v34
	v_or_b32_e32 v38, 0x800000, v36
	s_delay_alu instid0(VALU_DEP_2) | instskip(SKIP_2) | instid1(VALU_DEP_2)
	v_cndmask_b32_e64 v37, 0, v37, s13
	v_cmp_eq_u32_e64 s13, 0, v34
	v_add_nc_u32_e32 v34, 0xffffff89, v34
	v_cndmask_b32_e64 v37, v37, 0x77, s13
	v_cndmask_b32_e64 v36, v38, v36, s13
	s_delay_alu instid0(VALU_DEP_3) | instskip(NEXT) | instid1(VALU_DEP_3)
	v_cndmask_b32_e64 v34, v34, 0xffffff8a, s13
	v_lshl_add_u32 v38, 0x100000, v37, -1
	s_delay_alu instid0(VALU_DEP_3) | instskip(SKIP_1) | instid1(VALU_DEP_4)
	v_lshrrev_b32_e32 v39, v37, v36
	v_lshlrev_b32_e64 v49, v37, 0x80000
	v_add_nc_u32_e32 v37, v37, v34
	s_delay_alu instid0(VALU_DEP_4) | instskip(NEXT) | instid1(VALU_DEP_4)
	v_and_b32_e32 v36, v38, v36
	v_bfe_u32 v48, v39, 20, 1
	s_delay_alu instid0(VALU_DEP_2) | instskip(NEXT) | instid1(VALU_DEP_2)
	v_cmp_eq_u32_e64 s14, v36, v49
	v_add_nc_u32_e32 v38, -1, v48
	s_delay_alu instid0(VALU_DEP_1) | instskip(SKIP_2) | instid1(VALU_DEP_2)
	v_cndmask_b32_e64 v36, 0, v38, s14
	v_lshrrev_b32_e32 v38, 23, v39
	s_mov_b32 s14, exec_lo
	v_add_nc_u32_e32 v36, v36, v39
	s_delay_alu instid0(VALU_DEP_2) | instskip(NEXT) | instid1(VALU_DEP_2)
	v_xor_b32_e32 v38, 1, v38
	v_and_b32_e32 v34, 0xfffff, v36
	s_delay_alu instid0(VALU_DEP_1) | instskip(NEXT) | instid1(VALU_DEP_3)
	v_add_nc_u32_e32 v36, v34, v39
                                        ; implicit-def: $vgpr34
	v_cmpx_ne_u32_e64 v37, v38
	s_xor_b32 s14, exec_lo, s14
; %bb.7745:                             ;   in Loop: Header=BB6_7654 Depth=3
	s_delay_alu instid0(VALU_DEP_2) | instskip(SKIP_1) | instid1(VALU_DEP_2)
	v_cmp_lt_u32_e64 s13, 0xffffff, v36
	v_sub_nc_u32_e32 v34, v37, v38
	v_cndmask_b32_e64 v37, 0, 1, s13
	s_delay_alu instid0(VALU_DEP_2) | instskip(NEXT) | instid1(VALU_DEP_2)
	v_add_co_ci_u32_e64 v34, s13, 0, v34, s13
	v_lshrrev_b32_e32 v36, v37, v36
; %bb.7746:                             ;   in Loop: Header=BB6_7654 Depth=3
	s_and_not1_saveexec_b32 s13, s14
; %bb.7747:                             ;   in Loop: Header=BB6_7654 Depth=3
	s_delay_alu instid0(VALU_DEP_1)
	v_bfe_u32 v34, v36, 23, 1
; %bb.7748:                             ;   in Loop: Header=BB6_7654 Depth=3
	s_or_b32 exec_lo, exec_lo, s13
	v_lshrrev_b32_e32 v36, 20, v36
	s_delay_alu instid0(VALU_DEP_2) | instskip(SKIP_2) | instid1(VALU_DEP_3)
	v_min_i32_e32 v37, 15, v34
	v_cmp_gt_i32_e64 s13, 16, v34
	v_lshrrev_b32_e32 v35, 24, v35
	v_lshlrev_b32_e32 v37, 3, v37
	s_delay_alu instid0(VALU_DEP_3) | instskip(NEXT) | instid1(VALU_DEP_3)
	v_cndmask_b32_e64 v36, 7, v36, s13
	v_and_b32_e32 v35, 0x80, v35
	s_delay_alu instid0(VALU_DEP_3) | instskip(NEXT) | instid1(VALU_DEP_3)
	v_and_b32_e32 v37, 0xf8, v37
	v_and_b32_e32 v38, 7, v36
	v_or_b32_e32 v34, v34, v36
	s_delay_alu instid0(VALU_DEP_2) | instskip(NEXT) | instid1(VALU_DEP_2)
	v_or3_b32 v35, v35, v37, v38
	v_cmp_ne_u32_e64 s13, 0, v34
	s_delay_alu instid0(VALU_DEP_2) | instskip(NEXT) | instid1(VALU_DEP_1)
	v_lshlrev_b32_e32 v35, 8, v35
	v_cndmask_b32_e64 v34, 0, v35, s13
.LBB6_7749:                             ;   in Loop: Header=BB6_7654 Depth=3
	s_or_b32 exec_lo, exec_lo, s31
.LBB6_7750:                             ;   in Loop: Header=BB6_7654 Depth=3
	s_delay_alu instid0(SALU_CYCLE_1) | instskip(SKIP_3) | instid1(VALU_DEP_1)
	s_or_b32 exec_lo, exec_lo, s30
	v_lshrrev_b32_e32 v36, 16, v13
	s_mov_b32 s14, 0
	s_mov_b32 s31, exec_lo
                                        ; implicit-def: $sgpr30
	v_and_b32_e32 v37, 0xff, v36
	s_delay_alu instid0(VALU_DEP_1)
	v_cmpx_lt_i16_e32 0x7f, v37
	s_xor_b32 s31, exec_lo, s31
	s_cbranch_execnz .LBB6_7956
; %bb.7751:                             ;   in Loop: Header=BB6_7654 Depth=3
	s_or_saveexec_b32 s31, s31
	v_mov_b32_e32 v35, s30
	s_xor_b32 exec_lo, exec_lo, s31
	s_cbranch_execnz .LBB6_7959
.LBB6_7752:                             ;   in Loop: Header=BB6_7654 Depth=3
	s_or_b32 exec_lo, exec_lo, s31
	s_and_saveexec_b32 s30, s14
	s_cbranch_execz .LBB6_7754
.LBB6_7753:                             ;   in Loop: Header=BB6_7654 Depth=3
	v_bfe_u32 v35, v13, 16, 3
	v_lshlrev_b32_e32 v39, 8, v13
	s_delay_alu instid0(VALU_DEP_2) | instskip(NEXT) | instid1(VALU_DEP_1)
	v_clz_i32_u32_e32 v37, v35
	v_min_u32_e32 v37, 32, v37
	s_delay_alu instid0(VALU_DEP_1) | instskip(SKIP_1) | instid1(VALU_DEP_2)
	v_subrev_nc_u32_e32 v38, 28, v37
	v_sub_nc_u32_e32 v37, 29, v37
	v_lshlrev_b32_e32 v36, v38, v36
	v_bfe_u32 v38, v13, 19, 4
	s_delay_alu instid0(VALU_DEP_2) | instskip(NEXT) | instid1(VALU_DEP_2)
	v_and_b32_e32 v36, 7, v36
	v_cmp_eq_u32_e64 s13, 0, v38
	s_delay_alu instid0(VALU_DEP_1) | instskip(NEXT) | instid1(VALU_DEP_3)
	v_cndmask_b32_e64 v37, v38, v37, s13
	v_cndmask_b32_e64 v35, v35, v36, s13
	v_and_b32_e32 v36, 0x80000000, v39
	s_delay_alu instid0(VALU_DEP_3) | instskip(NEXT) | instid1(VALU_DEP_3)
	v_lshl_add_u32 v37, v37, 23, 0x3b800000
	v_lshlrev_b32_e32 v35, 20, v35
	s_delay_alu instid0(VALU_DEP_1)
	v_or3_b32 v35, v36, v37, v35
.LBB6_7754:                             ;   in Loop: Header=BB6_7654 Depth=3
	s_or_b32 exec_lo, exec_lo, s30
	v_lshrrev_b32_e32 v36, 16, v9
	s_mov_b32 s14, 0
	s_mov_b32 s31, exec_lo
                                        ; implicit-def: $sgpr30
	s_delay_alu instid0(VALU_DEP_1) | instskip(NEXT) | instid1(VALU_DEP_1)
	v_and_b32_e32 v38, 0xff, v36
	v_cmpx_lt_i16_e32 0x7f, v38
	s_xor_b32 s31, exec_lo, s31
	s_cbranch_execnz .LBB6_7960
; %bb.7755:                             ;   in Loop: Header=BB6_7654 Depth=3
	s_or_saveexec_b32 s31, s31
	v_mov_b32_e32 v37, s30
	s_xor_b32 exec_lo, exec_lo, s31
	s_cbranch_execnz .LBB6_7963
.LBB6_7756:                             ;   in Loop: Header=BB6_7654 Depth=3
	s_or_b32 exec_lo, exec_lo, s31
	s_and_saveexec_b32 s30, s14
	s_cbranch_execz .LBB6_7758
.LBB6_7757:                             ;   in Loop: Header=BB6_7654 Depth=3
	v_bfe_u32 v37, v9, 16, 3
	v_lshlrev_b32_e32 v48, 8, v9
	s_delay_alu instid0(VALU_DEP_2) | instskip(NEXT) | instid1(VALU_DEP_1)
	v_clz_i32_u32_e32 v38, v37
	v_min_u32_e32 v38, 32, v38
	s_delay_alu instid0(VALU_DEP_1) | instskip(SKIP_1) | instid1(VALU_DEP_2)
	v_subrev_nc_u32_e32 v39, 28, v38
	v_sub_nc_u32_e32 v38, 29, v38
	v_lshlrev_b32_e32 v36, v39, v36
	v_bfe_u32 v39, v9, 19, 4
	s_delay_alu instid0(VALU_DEP_2) | instskip(NEXT) | instid1(VALU_DEP_2)
	v_and_b32_e32 v36, 7, v36
	v_cmp_eq_u32_e64 s13, 0, v39
	s_delay_alu instid0(VALU_DEP_1) | instskip(NEXT) | instid1(VALU_DEP_3)
	v_cndmask_b32_e64 v38, v39, v38, s13
	v_cndmask_b32_e64 v36, v37, v36, s13
	v_and_b32_e32 v37, 0x80000000, v48
	s_delay_alu instid0(VALU_DEP_3) | instskip(NEXT) | instid1(VALU_DEP_3)
	v_lshl_add_u32 v38, v38, 23, 0x3b800000
	v_lshlrev_b32_e32 v36, 20, v36
	s_delay_alu instid0(VALU_DEP_1)
	v_or3_b32 v37, v37, v38, v36
.LBB6_7758:                             ;   in Loop: Header=BB6_7654 Depth=3
	s_or_b32 exec_lo, exec_lo, s30
	s_delay_alu instid0(VALU_DEP_1) | instskip(NEXT) | instid1(VALU_DEP_1)
	v_add_f32_e32 v36, v35, v37
	v_and_b32_e32 v35, 0x7f800000, v36
	s_delay_alu instid0(VALU_DEP_1) | instskip(SKIP_1) | instid1(VALU_DEP_2)
	v_cmp_ne_u32_e64 s13, 0x7f800000, v35
	v_mov_b32_e32 v35, 0x80
	s_and_saveexec_b32 s30, s13
	s_cbranch_execz .LBB6_7766
; %bb.7759:                             ;   in Loop: Header=BB6_7654 Depth=3
	v_mov_b32_e32 v35, 0
	s_mov_b32 s31, exec_lo
	v_cmpx_ne_u32_e32 0, v36
	s_cbranch_execz .LBB6_7765
; %bb.7760:                             ;   in Loop: Header=BB6_7654 Depth=3
	v_bfe_u32 v35, v36, 23, 8
	v_and_b32_e32 v37, 0x7fffff, v36
	s_delay_alu instid0(VALU_DEP_2) | instskip(SKIP_1) | instid1(VALU_DEP_3)
	v_sub_nc_u32_e32 v38, 0x78, v35
	v_cmp_gt_u32_e64 s13, 0x79, v35
	v_or_b32_e32 v39, 0x800000, v37
	s_delay_alu instid0(VALU_DEP_2) | instskip(SKIP_2) | instid1(VALU_DEP_2)
	v_cndmask_b32_e64 v38, 0, v38, s13
	v_cmp_eq_u32_e64 s13, 0, v35
	v_add_nc_u32_e32 v35, 0xffffff89, v35
	v_cndmask_b32_e64 v38, v38, 0x77, s13
	v_cndmask_b32_e64 v37, v39, v37, s13
	s_delay_alu instid0(VALU_DEP_3) | instskip(NEXT) | instid1(VALU_DEP_3)
	v_cndmask_b32_e64 v35, v35, 0xffffff8a, s13
	v_lshl_add_u32 v39, 0x100000, v38, -1
	s_delay_alu instid0(VALU_DEP_3) | instskip(SKIP_1) | instid1(VALU_DEP_4)
	v_lshrrev_b32_e32 v48, v38, v37
	v_lshlrev_b32_e64 v50, v38, 0x80000
	v_add_nc_u32_e32 v38, v38, v35
	s_delay_alu instid0(VALU_DEP_4) | instskip(NEXT) | instid1(VALU_DEP_4)
	v_and_b32_e32 v37, v39, v37
	v_bfe_u32 v49, v48, 20, 1
	s_delay_alu instid0(VALU_DEP_2) | instskip(NEXT) | instid1(VALU_DEP_2)
	v_cmp_eq_u32_e64 s14, v37, v50
	v_add_nc_u32_e32 v39, -1, v49
	s_delay_alu instid0(VALU_DEP_1) | instskip(SKIP_2) | instid1(VALU_DEP_2)
	v_cndmask_b32_e64 v37, 0, v39, s14
	v_lshrrev_b32_e32 v39, 23, v48
	s_mov_b32 s14, exec_lo
	v_add_nc_u32_e32 v37, v37, v48
	s_delay_alu instid0(VALU_DEP_2) | instskip(NEXT) | instid1(VALU_DEP_2)
	v_xor_b32_e32 v39, 1, v39
	v_and_b32_e32 v35, 0xfffff, v37
	s_delay_alu instid0(VALU_DEP_1) | instskip(NEXT) | instid1(VALU_DEP_3)
	v_add_nc_u32_e32 v37, v35, v48
                                        ; implicit-def: $vgpr35
	v_cmpx_ne_u32_e64 v38, v39
	s_xor_b32 s14, exec_lo, s14
; %bb.7761:                             ;   in Loop: Header=BB6_7654 Depth=3
	s_delay_alu instid0(VALU_DEP_2) | instskip(SKIP_1) | instid1(VALU_DEP_2)
	v_cmp_lt_u32_e64 s13, 0xffffff, v37
	v_sub_nc_u32_e32 v35, v38, v39
	v_cndmask_b32_e64 v38, 0, 1, s13
	s_delay_alu instid0(VALU_DEP_2) | instskip(NEXT) | instid1(VALU_DEP_2)
	v_add_co_ci_u32_e64 v35, s13, 0, v35, s13
	v_lshrrev_b32_e32 v37, v38, v37
; %bb.7762:                             ;   in Loop: Header=BB6_7654 Depth=3
	s_and_not1_saveexec_b32 s13, s14
; %bb.7763:                             ;   in Loop: Header=BB6_7654 Depth=3
	s_delay_alu instid0(VALU_DEP_1)
	v_bfe_u32 v35, v37, 23, 1
; %bb.7764:                             ;   in Loop: Header=BB6_7654 Depth=3
	s_or_b32 exec_lo, exec_lo, s13
	v_lshrrev_b32_e32 v37, 20, v37
	s_delay_alu instid0(VALU_DEP_2) | instskip(SKIP_2) | instid1(VALU_DEP_3)
	v_min_i32_e32 v38, 15, v35
	v_cmp_gt_i32_e64 s13, 16, v35
	v_lshrrev_b32_e32 v36, 24, v36
	v_lshlrev_b32_e32 v38, 3, v38
	s_delay_alu instid0(VALU_DEP_3) | instskip(NEXT) | instid1(VALU_DEP_3)
	v_cndmask_b32_e64 v37, 7, v37, s13
	v_and_b32_e32 v36, 0x80, v36
	s_delay_alu instid0(VALU_DEP_3) | instskip(NEXT) | instid1(VALU_DEP_3)
	v_and_b32_e32 v38, 0xf8, v38
	v_and_b32_e32 v39, 7, v37
	v_or_b32_e32 v35, v35, v37
	s_delay_alu instid0(VALU_DEP_2) | instskip(NEXT) | instid1(VALU_DEP_2)
	v_or3_b32 v36, v38, v36, v39
	v_cmp_ne_u32_e64 s13, 0, v35
	s_delay_alu instid0(VALU_DEP_1)
	v_cndmask_b32_e64 v35, 0, v36, s13
.LBB6_7765:                             ;   in Loop: Header=BB6_7654 Depth=3
	s_or_b32 exec_lo, exec_lo, s31
.LBB6_7766:                             ;   in Loop: Header=BB6_7654 Depth=3
	s_delay_alu instid0(SALU_CYCLE_1) | instskip(SKIP_3) | instid1(VALU_DEP_1)
	s_or_b32 exec_lo, exec_lo, s30
	v_lshrrev_b32_e32 v37, 24, v13
	s_mov_b32 s14, 0
	s_mov_b32 s31, exec_lo
                                        ; implicit-def: $sgpr30
	v_cmpx_lt_i16_e32 0x7f, v37
	s_xor_b32 s31, exec_lo, s31
	s_cbranch_execnz .LBB6_7964
; %bb.7767:                             ;   in Loop: Header=BB6_7654 Depth=3
	s_or_saveexec_b32 s31, s31
	v_mov_b32_e32 v36, s30
	s_xor_b32 exec_lo, exec_lo, s31
	s_cbranch_execnz .LBB6_7967
.LBB6_7768:                             ;   in Loop: Header=BB6_7654 Depth=3
	s_or_b32 exec_lo, exec_lo, s31
	s_and_saveexec_b32 s30, s14
	s_cbranch_execz .LBB6_7770
.LBB6_7769:                             ;   in Loop: Header=BB6_7654 Depth=3
	v_bfe_u32 v36, v13, 24, 3
	s_delay_alu instid0(VALU_DEP_1) | instskip(NEXT) | instid1(VALU_DEP_1)
	v_clz_i32_u32_e32 v38, v36
	v_min_u32_e32 v38, 32, v38
	s_delay_alu instid0(VALU_DEP_1) | instskip(SKIP_1) | instid1(VALU_DEP_2)
	v_subrev_nc_u32_e32 v39, 28, v38
	v_sub_nc_u32_e32 v38, 29, v38
	v_lshlrev_b32_e32 v37, v39, v37
	v_bfe_u32 v39, v13, 27, 4
	v_and_b32_e32 v13, 0x80000000, v13
	s_delay_alu instid0(VALU_DEP_3) | instskip(NEXT) | instid1(VALU_DEP_3)
	v_and_b32_e32 v37, 7, v37
	v_cmp_eq_u32_e64 s13, 0, v39
	s_delay_alu instid0(VALU_DEP_1) | instskip(NEXT) | instid1(VALU_DEP_3)
	v_cndmask_b32_e64 v38, v39, v38, s13
	v_cndmask_b32_e64 v36, v36, v37, s13
	s_delay_alu instid0(VALU_DEP_2) | instskip(NEXT) | instid1(VALU_DEP_2)
	v_lshl_add_u32 v37, v38, 23, 0x3b800000
	v_lshlrev_b32_e32 v36, 20, v36
	s_delay_alu instid0(VALU_DEP_1)
	v_or3_b32 v36, v13, v37, v36
.LBB6_7770:                             ;   in Loop: Header=BB6_7654 Depth=3
	s_or_b32 exec_lo, exec_lo, s30
	v_lshrrev_b32_e32 v13, 24, v9
	s_mov_b32 s14, 0
	s_mov_b32 s31, exec_lo
                                        ; implicit-def: $sgpr30
	s_delay_alu instid0(VALU_DEP_1)
	v_cmpx_lt_i16_e32 0x7f, v13
	s_xor_b32 s31, exec_lo, s31
	s_cbranch_execnz .LBB6_7968
; %bb.7771:                             ;   in Loop: Header=BB6_7654 Depth=3
	s_or_saveexec_b32 s31, s31
	v_mov_b32_e32 v37, s30
	s_xor_b32 exec_lo, exec_lo, s31
	s_cbranch_execnz .LBB6_7971
.LBB6_7772:                             ;   in Loop: Header=BB6_7654 Depth=3
	s_or_b32 exec_lo, exec_lo, s31
	s_and_saveexec_b32 s30, s14
	s_cbranch_execz .LBB6_7774
.LBB6_7773:                             ;   in Loop: Header=BB6_7654 Depth=3
	v_bfe_u32 v37, v9, 24, 3
	s_delay_alu instid0(VALU_DEP_1) | instskip(NEXT) | instid1(VALU_DEP_1)
	v_clz_i32_u32_e32 v38, v37
	v_min_u32_e32 v38, 32, v38
	s_delay_alu instid0(VALU_DEP_1) | instskip(SKIP_1) | instid1(VALU_DEP_2)
	v_subrev_nc_u32_e32 v39, 28, v38
	v_sub_nc_u32_e32 v38, 29, v38
	v_lshlrev_b32_e32 v13, v39, v13
	v_bfe_u32 v39, v9, 27, 4
	v_and_b32_e32 v9, 0x80000000, v9
	s_delay_alu instid0(VALU_DEP_3) | instskip(NEXT) | instid1(VALU_DEP_3)
	v_and_b32_e32 v13, 7, v13
	v_cmp_eq_u32_e64 s13, 0, v39
	s_delay_alu instid0(VALU_DEP_1) | instskip(NEXT) | instid1(VALU_DEP_3)
	v_cndmask_b32_e64 v38, v39, v38, s13
	v_cndmask_b32_e64 v13, v37, v13, s13
	s_delay_alu instid0(VALU_DEP_2) | instskip(NEXT) | instid1(VALU_DEP_2)
	v_lshl_add_u32 v37, v38, 23, 0x3b800000
	v_lshlrev_b32_e32 v13, 20, v13
	s_delay_alu instid0(VALU_DEP_1)
	v_or3_b32 v37, v9, v37, v13
.LBB6_7774:                             ;   in Loop: Header=BB6_7654 Depth=3
	s_or_b32 exec_lo, exec_lo, s30
	s_delay_alu instid0(VALU_DEP_1) | instskip(NEXT) | instid1(VALU_DEP_1)
	v_add_f32_e32 v13, v36, v37
	v_and_b32_e32 v9, 0x7f800000, v13
	s_delay_alu instid0(VALU_DEP_1) | instskip(SKIP_1) | instid1(VALU_DEP_2)
	v_cmp_ne_u32_e64 s13, 0x7f800000, v9
	v_mov_b32_e32 v9, 0x8000
	s_and_saveexec_b32 s30, s13
	s_cbranch_execz .LBB6_7782
; %bb.7775:                             ;   in Loop: Header=BB6_7654 Depth=3
	v_mov_b32_e32 v9, 0
	s_mov_b32 s31, exec_lo
	v_cmpx_ne_u32_e32 0, v13
	s_cbranch_execz .LBB6_7781
; %bb.7776:                             ;   in Loop: Header=BB6_7654 Depth=3
	v_bfe_u32 v9, v13, 23, 8
	v_and_b32_e32 v36, 0x7fffff, v13
	s_delay_alu instid0(VALU_DEP_2) | instskip(SKIP_1) | instid1(VALU_DEP_3)
	v_sub_nc_u32_e32 v37, 0x78, v9
	v_cmp_gt_u32_e64 s13, 0x79, v9
	v_or_b32_e32 v38, 0x800000, v36
	s_delay_alu instid0(VALU_DEP_2) | instskip(SKIP_2) | instid1(VALU_DEP_2)
	v_cndmask_b32_e64 v37, 0, v37, s13
	v_cmp_eq_u32_e64 s13, 0, v9
	v_add_nc_u32_e32 v9, 0xffffff89, v9
	v_cndmask_b32_e64 v37, v37, 0x77, s13
	v_cndmask_b32_e64 v36, v38, v36, s13
	s_delay_alu instid0(VALU_DEP_3) | instskip(NEXT) | instid1(VALU_DEP_3)
	v_cndmask_b32_e64 v9, v9, 0xffffff8a, s13
	v_lshl_add_u32 v38, 0x100000, v37, -1
	s_delay_alu instid0(VALU_DEP_3) | instskip(SKIP_1) | instid1(VALU_DEP_4)
	v_lshrrev_b32_e32 v39, v37, v36
	v_lshlrev_b32_e64 v49, v37, 0x80000
	v_add_nc_u32_e32 v37, v37, v9
	s_delay_alu instid0(VALU_DEP_4) | instskip(NEXT) | instid1(VALU_DEP_4)
	v_and_b32_e32 v36, v38, v36
	v_bfe_u32 v48, v39, 20, 1
	s_delay_alu instid0(VALU_DEP_2) | instskip(NEXT) | instid1(VALU_DEP_2)
	v_cmp_eq_u32_e64 s14, v36, v49
	v_add_nc_u32_e32 v38, -1, v48
	s_delay_alu instid0(VALU_DEP_1) | instskip(SKIP_2) | instid1(VALU_DEP_2)
	v_cndmask_b32_e64 v36, 0, v38, s14
	v_lshrrev_b32_e32 v38, 23, v39
	s_mov_b32 s14, exec_lo
	v_add_nc_u32_e32 v36, v36, v39
	s_delay_alu instid0(VALU_DEP_2) | instskip(NEXT) | instid1(VALU_DEP_2)
	v_xor_b32_e32 v38, 1, v38
	v_and_b32_e32 v9, 0xfffff, v36
	s_delay_alu instid0(VALU_DEP_1) | instskip(NEXT) | instid1(VALU_DEP_3)
	v_add_nc_u32_e32 v36, v9, v39
                                        ; implicit-def: $vgpr9
	v_cmpx_ne_u32_e64 v37, v38
	s_xor_b32 s14, exec_lo, s14
; %bb.7777:                             ;   in Loop: Header=BB6_7654 Depth=3
	s_delay_alu instid0(VALU_DEP_2) | instskip(SKIP_1) | instid1(VALU_DEP_2)
	v_cmp_lt_u32_e64 s13, 0xffffff, v36
	v_sub_nc_u32_e32 v9, v37, v38
	v_cndmask_b32_e64 v37, 0, 1, s13
	s_delay_alu instid0(VALU_DEP_2) | instskip(NEXT) | instid1(VALU_DEP_2)
	v_add_co_ci_u32_e64 v9, s13, 0, v9, s13
	v_lshrrev_b32_e32 v36, v37, v36
; %bb.7778:                             ;   in Loop: Header=BB6_7654 Depth=3
	s_and_not1_saveexec_b32 s13, s14
; %bb.7779:                             ;   in Loop: Header=BB6_7654 Depth=3
	s_delay_alu instid0(VALU_DEP_1)
	v_bfe_u32 v9, v36, 23, 1
; %bb.7780:                             ;   in Loop: Header=BB6_7654 Depth=3
	s_or_b32 exec_lo, exec_lo, s13
	v_lshrrev_b32_e32 v36, 20, v36
	s_delay_alu instid0(VALU_DEP_2) | instskip(SKIP_2) | instid1(VALU_DEP_3)
	v_min_i32_e32 v37, 15, v9
	v_cmp_gt_i32_e64 s13, 16, v9
	v_lshrrev_b32_e32 v13, 24, v13
	v_lshlrev_b32_e32 v37, 3, v37
	s_delay_alu instid0(VALU_DEP_3) | instskip(NEXT) | instid1(VALU_DEP_3)
	v_cndmask_b32_e64 v36, 7, v36, s13
	v_and_b32_e32 v13, 0x80, v13
	s_delay_alu instid0(VALU_DEP_3) | instskip(NEXT) | instid1(VALU_DEP_3)
	v_and_b32_e32 v37, 0xf8, v37
	v_and_b32_e32 v38, 7, v36
	v_or_b32_e32 v9, v9, v36
	s_delay_alu instid0(VALU_DEP_2) | instskip(NEXT) | instid1(VALU_DEP_2)
	v_or3_b32 v13, v13, v37, v38
	v_cmp_ne_u32_e64 s13, 0, v9
	s_delay_alu instid0(VALU_DEP_2) | instskip(NEXT) | instid1(VALU_DEP_1)
	v_lshlrev_b32_e32 v13, 8, v13
	v_cndmask_b32_e64 v9, 0, v13, s13
.LBB6_7781:                             ;   in Loop: Header=BB6_7654 Depth=3
	s_or_b32 exec_lo, exec_lo, s31
.LBB6_7782:                             ;   in Loop: Header=BB6_7654 Depth=3
	s_delay_alu instid0(SALU_CYCLE_1) | instskip(SKIP_3) | instid1(VALU_DEP_1)
	s_or_b32 exec_lo, exec_lo, s30
	v_and_b32_e32 v36, 0xff, v14
	s_mov_b32 s14, 0
	s_mov_b32 s31, exec_lo
                                        ; implicit-def: $sgpr30
	v_cmpx_lt_i16_e32 0x7f, v36
	s_xor_b32 s31, exec_lo, s31
	s_cbranch_execnz .LBB6_7972
; %bb.7783:                             ;   in Loop: Header=BB6_7654 Depth=3
	s_or_saveexec_b32 s31, s31
	v_mov_b32_e32 v13, s30
	s_xor_b32 exec_lo, exec_lo, s31
	s_cbranch_execnz .LBB6_7975
.LBB6_7784:                             ;   in Loop: Header=BB6_7654 Depth=3
	s_or_b32 exec_lo, exec_lo, s31
	s_and_saveexec_b32 s30, s14
	s_cbranch_execz .LBB6_7786
.LBB6_7785:                             ;   in Loop: Header=BB6_7654 Depth=3
	v_and_b32_e32 v13, 7, v14
	v_bfe_u32 v38, v14, 3, 4
	v_lshlrev_b32_e32 v39, 24, v14
	s_delay_alu instid0(VALU_DEP_3) | instskip(NEXT) | instid1(VALU_DEP_3)
	v_clz_i32_u32_e32 v36, v13
	v_cmp_eq_u32_e64 s13, 0, v38
	s_delay_alu instid0(VALU_DEP_2) | instskip(NEXT) | instid1(VALU_DEP_1)
	v_min_u32_e32 v36, 32, v36
	v_subrev_nc_u32_e32 v37, 28, v36
	v_sub_nc_u32_e32 v36, 29, v36
	s_delay_alu instid0(VALU_DEP_2) | instskip(NEXT) | instid1(VALU_DEP_2)
	v_lshlrev_b32_e32 v37, v37, v14
	v_cndmask_b32_e64 v36, v38, v36, s13
	s_delay_alu instid0(VALU_DEP_2) | instskip(NEXT) | instid1(VALU_DEP_2)
	v_and_b32_e32 v37, 7, v37
	v_lshl_add_u32 v36, v36, 23, 0x3b800000
	s_delay_alu instid0(VALU_DEP_2) | instskip(SKIP_1) | instid1(VALU_DEP_2)
	v_cndmask_b32_e64 v13, v13, v37, s13
	v_and_b32_e32 v37, 0x80000000, v39
	v_lshlrev_b32_e32 v13, 20, v13
	s_delay_alu instid0(VALU_DEP_1)
	v_or3_b32 v13, v37, v36, v13
.LBB6_7786:                             ;   in Loop: Header=BB6_7654 Depth=3
	s_or_b32 exec_lo, exec_lo, s30
	v_and_b32_e32 v37, 0xff, v10
	s_mov_b32 s14, 0
	s_mov_b32 s31, exec_lo
                                        ; implicit-def: $sgpr30
	s_delay_alu instid0(VALU_DEP_1)
	v_cmpx_lt_i16_e32 0x7f, v37
	s_xor_b32 s31, exec_lo, s31
	s_cbranch_execnz .LBB6_7976
; %bb.7787:                             ;   in Loop: Header=BB6_7654 Depth=3
	s_or_saveexec_b32 s31, s31
	v_mov_b32_e32 v36, s30
	s_xor_b32 exec_lo, exec_lo, s31
	s_cbranch_execnz .LBB6_7979
.LBB6_7788:                             ;   in Loop: Header=BB6_7654 Depth=3
	s_or_b32 exec_lo, exec_lo, s31
	s_and_saveexec_b32 s30, s14
	s_cbranch_execz .LBB6_7790
.LBB6_7789:                             ;   in Loop: Header=BB6_7654 Depth=3
	v_and_b32_e32 v36, 7, v10
	v_bfe_u32 v39, v10, 3, 4
	v_lshlrev_b32_e32 v48, 24, v10
	s_delay_alu instid0(VALU_DEP_3) | instskip(NEXT) | instid1(VALU_DEP_3)
	v_clz_i32_u32_e32 v37, v36
	v_cmp_eq_u32_e64 s13, 0, v39
	s_delay_alu instid0(VALU_DEP_2) | instskip(NEXT) | instid1(VALU_DEP_1)
	v_min_u32_e32 v37, 32, v37
	v_subrev_nc_u32_e32 v38, 28, v37
	v_sub_nc_u32_e32 v37, 29, v37
	s_delay_alu instid0(VALU_DEP_2) | instskip(NEXT) | instid1(VALU_DEP_2)
	v_lshlrev_b32_e32 v38, v38, v10
	v_cndmask_b32_e64 v37, v39, v37, s13
	s_delay_alu instid0(VALU_DEP_2) | instskip(NEXT) | instid1(VALU_DEP_2)
	v_and_b32_e32 v38, 7, v38
	v_lshl_add_u32 v37, v37, 23, 0x3b800000
	s_delay_alu instid0(VALU_DEP_2) | instskip(SKIP_1) | instid1(VALU_DEP_2)
	v_cndmask_b32_e64 v36, v36, v38, s13
	v_and_b32_e32 v38, 0x80000000, v48
	v_lshlrev_b32_e32 v36, 20, v36
	s_delay_alu instid0(VALU_DEP_1)
	v_or3_b32 v36, v38, v37, v36
.LBB6_7790:                             ;   in Loop: Header=BB6_7654 Depth=3
	s_or_b32 exec_lo, exec_lo, s30
	s_delay_alu instid0(VALU_DEP_1) | instskip(NEXT) | instid1(VALU_DEP_1)
	v_add_f32_e32 v36, v13, v36
	v_and_b32_e32 v13, 0x7f800000, v36
	s_delay_alu instid0(VALU_DEP_1) | instskip(SKIP_1) | instid1(VALU_DEP_2)
	v_cmp_ne_u32_e64 s13, 0x7f800000, v13
	v_mov_b32_e32 v13, 0x80
	s_and_saveexec_b32 s30, s13
	s_cbranch_execz .LBB6_7798
; %bb.7791:                             ;   in Loop: Header=BB6_7654 Depth=3
	v_mov_b32_e32 v13, 0
	s_mov_b32 s31, exec_lo
	v_cmpx_ne_u32_e32 0, v36
	s_cbranch_execz .LBB6_7797
; %bb.7792:                             ;   in Loop: Header=BB6_7654 Depth=3
	v_bfe_u32 v13, v36, 23, 8
	v_and_b32_e32 v37, 0x7fffff, v36
	s_delay_alu instid0(VALU_DEP_2) | instskip(SKIP_1) | instid1(VALU_DEP_3)
	v_sub_nc_u32_e32 v38, 0x78, v13
	v_cmp_gt_u32_e64 s13, 0x79, v13
	v_or_b32_e32 v39, 0x800000, v37
	s_delay_alu instid0(VALU_DEP_2) | instskip(SKIP_2) | instid1(VALU_DEP_2)
	v_cndmask_b32_e64 v38, 0, v38, s13
	v_cmp_eq_u32_e64 s13, 0, v13
	v_add_nc_u32_e32 v13, 0xffffff89, v13
	v_cndmask_b32_e64 v38, v38, 0x77, s13
	v_cndmask_b32_e64 v37, v39, v37, s13
	s_delay_alu instid0(VALU_DEP_3) | instskip(NEXT) | instid1(VALU_DEP_3)
	v_cndmask_b32_e64 v13, v13, 0xffffff8a, s13
	v_lshl_add_u32 v39, 0x100000, v38, -1
	s_delay_alu instid0(VALU_DEP_3) | instskip(SKIP_1) | instid1(VALU_DEP_4)
	v_lshrrev_b32_e32 v48, v38, v37
	v_lshlrev_b32_e64 v50, v38, 0x80000
	v_add_nc_u32_e32 v38, v38, v13
	s_delay_alu instid0(VALU_DEP_4) | instskip(NEXT) | instid1(VALU_DEP_4)
	v_and_b32_e32 v37, v39, v37
	v_bfe_u32 v49, v48, 20, 1
	s_delay_alu instid0(VALU_DEP_2) | instskip(NEXT) | instid1(VALU_DEP_2)
	v_cmp_eq_u32_e64 s14, v37, v50
	v_add_nc_u32_e32 v39, -1, v49
	s_delay_alu instid0(VALU_DEP_1) | instskip(SKIP_2) | instid1(VALU_DEP_2)
	v_cndmask_b32_e64 v37, 0, v39, s14
	v_lshrrev_b32_e32 v39, 23, v48
	s_mov_b32 s14, exec_lo
	v_add_nc_u32_e32 v37, v37, v48
	s_delay_alu instid0(VALU_DEP_2) | instskip(NEXT) | instid1(VALU_DEP_2)
	v_xor_b32_e32 v39, 1, v39
	v_and_b32_e32 v13, 0xfffff, v37
	s_delay_alu instid0(VALU_DEP_1) | instskip(NEXT) | instid1(VALU_DEP_3)
	v_add_nc_u32_e32 v37, v13, v48
                                        ; implicit-def: $vgpr13
	v_cmpx_ne_u32_e64 v38, v39
	s_xor_b32 s14, exec_lo, s14
; %bb.7793:                             ;   in Loop: Header=BB6_7654 Depth=3
	s_delay_alu instid0(VALU_DEP_2) | instskip(SKIP_1) | instid1(VALU_DEP_2)
	v_cmp_lt_u32_e64 s13, 0xffffff, v37
	v_sub_nc_u32_e32 v13, v38, v39
	v_cndmask_b32_e64 v38, 0, 1, s13
	s_delay_alu instid0(VALU_DEP_2) | instskip(NEXT) | instid1(VALU_DEP_2)
	v_add_co_ci_u32_e64 v13, s13, 0, v13, s13
	v_lshrrev_b32_e32 v37, v38, v37
; %bb.7794:                             ;   in Loop: Header=BB6_7654 Depth=3
	s_and_not1_saveexec_b32 s13, s14
; %bb.7795:                             ;   in Loop: Header=BB6_7654 Depth=3
	s_delay_alu instid0(VALU_DEP_1)
	v_bfe_u32 v13, v37, 23, 1
; %bb.7796:                             ;   in Loop: Header=BB6_7654 Depth=3
	s_or_b32 exec_lo, exec_lo, s13
	v_lshrrev_b32_e32 v37, 20, v37
	s_delay_alu instid0(VALU_DEP_2) | instskip(SKIP_2) | instid1(VALU_DEP_3)
	v_cmp_gt_i32_e64 s13, 16, v13
	v_lshrrev_b32_e32 v36, 24, v36
	v_min_i32_e32 v38, 15, v13
	v_cndmask_b32_e64 v37, 7, v37, s13
	s_delay_alu instid0(VALU_DEP_3) | instskip(NEXT) | instid1(VALU_DEP_3)
	v_and_b32_e32 v36, 0x80, v36
	v_lshlrev_b32_e32 v38, 3, v38
	s_delay_alu instid0(VALU_DEP_3) | instskip(SKIP_1) | instid1(VALU_DEP_2)
	v_and_b32_e32 v39, 7, v37
	v_or_b32_e32 v13, v13, v37
	v_or3_b32 v36, v38, v36, v39
	s_delay_alu instid0(VALU_DEP_2) | instskip(NEXT) | instid1(VALU_DEP_1)
	v_cmp_ne_u32_e64 s13, 0, v13
	v_cndmask_b32_e64 v13, 0, v36, s13
.LBB6_7797:                             ;   in Loop: Header=BB6_7654 Depth=3
	s_or_b32 exec_lo, exec_lo, s31
.LBB6_7798:                             ;   in Loop: Header=BB6_7654 Depth=3
	s_delay_alu instid0(SALU_CYCLE_1) | instskip(SKIP_3) | instid1(VALU_DEP_1)
	s_or_b32 exec_lo, exec_lo, s30
	v_lshrrev_b16 v37, 8, v14
	s_mov_b32 s14, 0
	s_mov_b32 s31, exec_lo
                                        ; implicit-def: $sgpr30
	v_cmpx_lt_i16_e32 0x7f, v37
	s_xor_b32 s31, exec_lo, s31
	s_cbranch_execnz .LBB6_7980
; %bb.7799:                             ;   in Loop: Header=BB6_7654 Depth=3
	s_or_saveexec_b32 s31, s31
	v_mov_b32_e32 v36, s30
	s_xor_b32 exec_lo, exec_lo, s31
	s_cbranch_execnz .LBB6_7983
.LBB6_7800:                             ;   in Loop: Header=BB6_7654 Depth=3
	s_or_b32 exec_lo, exec_lo, s31
	s_and_saveexec_b32 s30, s14
	s_cbranch_execz .LBB6_7802
.LBB6_7801:                             ;   in Loop: Header=BB6_7654 Depth=3
	v_and_b32_e32 v36, 0xffff, v37
	v_lshlrev_b32_e32 v37, 24, v37
	s_delay_alu instid0(VALU_DEP_2) | instskip(NEXT) | instid1(VALU_DEP_2)
	v_and_b32_e32 v38, 7, v36
	v_and_b32_e32 v37, 0x80000000, v37
	s_delay_alu instid0(VALU_DEP_2) | instskip(NEXT) | instid1(VALU_DEP_1)
	v_clz_i32_u32_e32 v39, v38
	v_min_u32_e32 v39, 32, v39
	s_delay_alu instid0(VALU_DEP_1) | instskip(SKIP_1) | instid1(VALU_DEP_2)
	v_subrev_nc_u32_e32 v48, 28, v39
	v_sub_nc_u32_e32 v39, 29, v39
	v_lshlrev_b32_e32 v48, v48, v36
	v_bfe_u32 v36, v36, 3, 4
	s_delay_alu instid0(VALU_DEP_2) | instskip(NEXT) | instid1(VALU_DEP_2)
	v_and_b32_e32 v48, 7, v48
	v_cmp_eq_u32_e64 s13, 0, v36
	s_delay_alu instid0(VALU_DEP_1) | instskip(NEXT) | instid1(VALU_DEP_3)
	v_cndmask_b32_e64 v36, v36, v39, s13
	v_cndmask_b32_e64 v38, v38, v48, s13
	s_delay_alu instid0(VALU_DEP_2) | instskip(NEXT) | instid1(VALU_DEP_2)
	v_lshl_add_u32 v36, v36, 23, 0x3b800000
	v_lshlrev_b32_e32 v38, 20, v38
	s_delay_alu instid0(VALU_DEP_1)
	v_or3_b32 v36, v37, v36, v38
.LBB6_7802:                             ;   in Loop: Header=BB6_7654 Depth=3
	s_or_b32 exec_lo, exec_lo, s30
	v_lshrrev_b16 v37, 8, v10
	s_mov_b32 s14, 0
	s_mov_b32 s31, exec_lo
                                        ; implicit-def: $sgpr30
	s_delay_alu instid0(VALU_DEP_1)
	v_cmpx_lt_i16_e32 0x7f, v37
	s_xor_b32 s31, exec_lo, s31
	s_cbranch_execnz .LBB6_7984
; %bb.7803:                             ;   in Loop: Header=BB6_7654 Depth=3
	s_or_saveexec_b32 s31, s31
	v_mov_b32_e32 v38, s30
	s_xor_b32 exec_lo, exec_lo, s31
	s_cbranch_execnz .LBB6_7987
.LBB6_7804:                             ;   in Loop: Header=BB6_7654 Depth=3
	s_or_b32 exec_lo, exec_lo, s31
	s_and_saveexec_b32 s30, s14
	s_cbranch_execz .LBB6_7806
.LBB6_7805:                             ;   in Loop: Header=BB6_7654 Depth=3
	v_and_b32_e32 v38, 0xffff, v37
	v_lshlrev_b32_e32 v37, 24, v37
	s_delay_alu instid0(VALU_DEP_2) | instskip(NEXT) | instid1(VALU_DEP_2)
	v_and_b32_e32 v39, 7, v38
	v_and_b32_e32 v37, 0x80000000, v37
	s_delay_alu instid0(VALU_DEP_2) | instskip(NEXT) | instid1(VALU_DEP_1)
	v_clz_i32_u32_e32 v48, v39
	v_min_u32_e32 v48, 32, v48
	s_delay_alu instid0(VALU_DEP_1) | instskip(SKIP_1) | instid1(VALU_DEP_2)
	v_subrev_nc_u32_e32 v49, 28, v48
	v_sub_nc_u32_e32 v48, 29, v48
	v_lshlrev_b32_e32 v49, v49, v38
	v_bfe_u32 v38, v38, 3, 4
	s_delay_alu instid0(VALU_DEP_2) | instskip(NEXT) | instid1(VALU_DEP_2)
	v_and_b32_e32 v49, 7, v49
	v_cmp_eq_u32_e64 s13, 0, v38
	s_delay_alu instid0(VALU_DEP_1) | instskip(NEXT) | instid1(VALU_DEP_3)
	v_cndmask_b32_e64 v38, v38, v48, s13
	v_cndmask_b32_e64 v39, v39, v49, s13
	s_delay_alu instid0(VALU_DEP_2) | instskip(NEXT) | instid1(VALU_DEP_2)
	v_lshl_add_u32 v38, v38, 23, 0x3b800000
	v_lshlrev_b32_e32 v39, 20, v39
	s_delay_alu instid0(VALU_DEP_1)
	v_or3_b32 v38, v37, v38, v39
.LBB6_7806:                             ;   in Loop: Header=BB6_7654 Depth=3
	s_or_b32 exec_lo, exec_lo, s30
	s_delay_alu instid0(VALU_DEP_1) | instskip(NEXT) | instid1(VALU_DEP_1)
	v_add_f32_e32 v37, v36, v38
	v_and_b32_e32 v36, 0x7f800000, v37
	s_delay_alu instid0(VALU_DEP_1) | instskip(SKIP_1) | instid1(VALU_DEP_2)
	v_cmp_ne_u32_e64 s13, 0x7f800000, v36
	v_mov_b32_e32 v36, 0x80
	s_and_saveexec_b32 s30, s13
	s_cbranch_execz .LBB6_7814
; %bb.7807:                             ;   in Loop: Header=BB6_7654 Depth=3
	v_mov_b32_e32 v36, 0
	s_mov_b32 s31, exec_lo
	v_cmpx_ne_u32_e32 0, v37
	s_cbranch_execz .LBB6_7813
; %bb.7808:                             ;   in Loop: Header=BB6_7654 Depth=3
	v_bfe_u32 v36, v37, 23, 8
	v_and_b32_e32 v38, 0x7fffff, v37
	s_delay_alu instid0(VALU_DEP_2) | instskip(SKIP_1) | instid1(VALU_DEP_3)
	v_sub_nc_u32_e32 v39, 0x78, v36
	v_cmp_gt_u32_e64 s13, 0x79, v36
	v_or_b32_e32 v48, 0x800000, v38
	s_delay_alu instid0(VALU_DEP_2) | instskip(SKIP_2) | instid1(VALU_DEP_2)
	v_cndmask_b32_e64 v39, 0, v39, s13
	v_cmp_eq_u32_e64 s13, 0, v36
	v_add_nc_u32_e32 v36, 0xffffff89, v36
	v_cndmask_b32_e64 v39, v39, 0x77, s13
	v_cndmask_b32_e64 v38, v48, v38, s13
	s_delay_alu instid0(VALU_DEP_3) | instskip(NEXT) | instid1(VALU_DEP_3)
	v_cndmask_b32_e64 v36, v36, 0xffffff8a, s13
	v_lshl_add_u32 v48, 0x100000, v39, -1
	s_delay_alu instid0(VALU_DEP_3) | instskip(SKIP_1) | instid1(VALU_DEP_4)
	v_lshrrev_b32_e32 v49, v39, v38
	v_lshlrev_b32_e64 v51, v39, 0x80000
	v_add_nc_u32_e32 v39, v39, v36
	s_delay_alu instid0(VALU_DEP_4) | instskip(NEXT) | instid1(VALU_DEP_4)
	v_and_b32_e32 v38, v48, v38
	v_bfe_u32 v50, v49, 20, 1
	s_delay_alu instid0(VALU_DEP_2) | instskip(NEXT) | instid1(VALU_DEP_2)
	v_cmp_eq_u32_e64 s14, v38, v51
	v_add_nc_u32_e32 v48, -1, v50
	s_delay_alu instid0(VALU_DEP_1) | instskip(SKIP_2) | instid1(VALU_DEP_2)
	v_cndmask_b32_e64 v38, 0, v48, s14
	v_lshrrev_b32_e32 v48, 23, v49
	s_mov_b32 s14, exec_lo
	v_add_nc_u32_e32 v38, v38, v49
	s_delay_alu instid0(VALU_DEP_2) | instskip(NEXT) | instid1(VALU_DEP_2)
	v_xor_b32_e32 v48, 1, v48
	v_and_b32_e32 v36, 0xfffff, v38
	s_delay_alu instid0(VALU_DEP_1) | instskip(NEXT) | instid1(VALU_DEP_3)
	v_add_nc_u32_e32 v38, v36, v49
                                        ; implicit-def: $vgpr36
	v_cmpx_ne_u32_e64 v39, v48
	s_xor_b32 s14, exec_lo, s14
; %bb.7809:                             ;   in Loop: Header=BB6_7654 Depth=3
	s_delay_alu instid0(VALU_DEP_2) | instskip(SKIP_1) | instid1(VALU_DEP_2)
	v_cmp_lt_u32_e64 s13, 0xffffff, v38
	v_sub_nc_u32_e32 v36, v39, v48
	v_cndmask_b32_e64 v39, 0, 1, s13
	s_delay_alu instid0(VALU_DEP_2) | instskip(NEXT) | instid1(VALU_DEP_2)
	v_add_co_ci_u32_e64 v36, s13, 0, v36, s13
	v_lshrrev_b32_e32 v38, v39, v38
; %bb.7810:                             ;   in Loop: Header=BB6_7654 Depth=3
	s_and_not1_saveexec_b32 s13, s14
; %bb.7811:                             ;   in Loop: Header=BB6_7654 Depth=3
	s_delay_alu instid0(VALU_DEP_1)
	v_bfe_u32 v36, v38, 23, 1
; %bb.7812:                             ;   in Loop: Header=BB6_7654 Depth=3
	s_or_b32 exec_lo, exec_lo, s13
	v_lshrrev_b32_e32 v38, 20, v38
	s_delay_alu instid0(VALU_DEP_2) | instskip(SKIP_2) | instid1(VALU_DEP_3)
	v_cmp_gt_i32_e64 s13, 16, v36
	v_lshrrev_b32_e32 v37, 24, v37
	v_min_i32_e32 v39, 15, v36
	v_cndmask_b32_e64 v38, 7, v38, s13
	s_delay_alu instid0(VALU_DEP_3) | instskip(NEXT) | instid1(VALU_DEP_3)
	v_and_b32_e32 v37, 0x80, v37
	v_lshlrev_b32_e32 v39, 3, v39
	s_delay_alu instid0(VALU_DEP_3) | instskip(SKIP_1) | instid1(VALU_DEP_2)
	v_and_b32_e32 v48, 7, v38
	v_or_b32_e32 v36, v36, v38
	v_or3_b32 v37, v39, v37, v48
	s_delay_alu instid0(VALU_DEP_2) | instskip(NEXT) | instid1(VALU_DEP_1)
	v_cmp_ne_u32_e64 s13, 0, v36
	v_cndmask_b32_e64 v36, 0, v37, s13
.LBB6_7813:                             ;   in Loop: Header=BB6_7654 Depth=3
	s_or_b32 exec_lo, exec_lo, s31
.LBB6_7814:                             ;   in Loop: Header=BB6_7654 Depth=3
	s_delay_alu instid0(SALU_CYCLE_1) | instskip(SKIP_3) | instid1(VALU_DEP_1)
	s_or_b32 exec_lo, exec_lo, s30
	v_lshrrev_b32_e32 v38, 16, v14
	s_mov_b32 s14, 0
	s_mov_b32 s31, exec_lo
                                        ; implicit-def: $sgpr30
	v_and_b32_e32 v39, 0xff, v38
	s_delay_alu instid0(VALU_DEP_1)
	v_cmpx_lt_i16_e32 0x7f, v39
	s_xor_b32 s31, exec_lo, s31
	s_cbranch_execnz .LBB6_7988
; %bb.7815:                             ;   in Loop: Header=BB6_7654 Depth=3
	s_or_saveexec_b32 s31, s31
	v_mov_b32_e32 v37, s30
	s_xor_b32 exec_lo, exec_lo, s31
	s_cbranch_execnz .LBB6_7991
.LBB6_7816:                             ;   in Loop: Header=BB6_7654 Depth=3
	s_or_b32 exec_lo, exec_lo, s31
	s_and_saveexec_b32 s30, s14
	s_cbranch_execz .LBB6_7818
.LBB6_7817:                             ;   in Loop: Header=BB6_7654 Depth=3
	v_bfe_u32 v37, v14, 16, 3
	v_lshlrev_b32_e32 v49, 8, v14
	s_delay_alu instid0(VALU_DEP_2) | instskip(NEXT) | instid1(VALU_DEP_1)
	v_clz_i32_u32_e32 v39, v37
	v_min_u32_e32 v39, 32, v39
	s_delay_alu instid0(VALU_DEP_1) | instskip(SKIP_1) | instid1(VALU_DEP_2)
	v_subrev_nc_u32_e32 v48, 28, v39
	v_sub_nc_u32_e32 v39, 29, v39
	v_lshlrev_b32_e32 v38, v48, v38
	v_bfe_u32 v48, v14, 19, 4
	s_delay_alu instid0(VALU_DEP_2) | instskip(NEXT) | instid1(VALU_DEP_2)
	v_and_b32_e32 v38, 7, v38
	v_cmp_eq_u32_e64 s13, 0, v48
	s_delay_alu instid0(VALU_DEP_1) | instskip(NEXT) | instid1(VALU_DEP_3)
	v_cndmask_b32_e64 v39, v48, v39, s13
	v_cndmask_b32_e64 v37, v37, v38, s13
	v_and_b32_e32 v38, 0x80000000, v49
	s_delay_alu instid0(VALU_DEP_3) | instskip(NEXT) | instid1(VALU_DEP_3)
	v_lshl_add_u32 v39, v39, 23, 0x3b800000
	v_lshlrev_b32_e32 v37, 20, v37
	s_delay_alu instid0(VALU_DEP_1)
	v_or3_b32 v37, v38, v39, v37
.LBB6_7818:                             ;   in Loop: Header=BB6_7654 Depth=3
	s_or_b32 exec_lo, exec_lo, s30
	v_lshrrev_b32_e32 v38, 16, v10
	s_mov_b32 s14, 0
	s_mov_b32 s31, exec_lo
                                        ; implicit-def: $sgpr30
	s_delay_alu instid0(VALU_DEP_1) | instskip(NEXT) | instid1(VALU_DEP_1)
	v_and_b32_e32 v48, 0xff, v38
	v_cmpx_lt_i16_e32 0x7f, v48
	s_xor_b32 s31, exec_lo, s31
	s_cbranch_execnz .LBB6_7992
; %bb.7819:                             ;   in Loop: Header=BB6_7654 Depth=3
	s_or_saveexec_b32 s31, s31
	v_mov_b32_e32 v39, s30
	s_xor_b32 exec_lo, exec_lo, s31
	s_cbranch_execnz .LBB6_7995
.LBB6_7820:                             ;   in Loop: Header=BB6_7654 Depth=3
	s_or_b32 exec_lo, exec_lo, s31
	s_and_saveexec_b32 s30, s14
	s_cbranch_execz .LBB6_7822
.LBB6_7821:                             ;   in Loop: Header=BB6_7654 Depth=3
	v_bfe_u32 v39, v10, 16, 3
	v_lshlrev_b32_e32 v50, 8, v10
	s_delay_alu instid0(VALU_DEP_2) | instskip(NEXT) | instid1(VALU_DEP_1)
	v_clz_i32_u32_e32 v48, v39
	v_min_u32_e32 v48, 32, v48
	s_delay_alu instid0(VALU_DEP_1) | instskip(SKIP_1) | instid1(VALU_DEP_2)
	v_subrev_nc_u32_e32 v49, 28, v48
	v_sub_nc_u32_e32 v48, 29, v48
	v_lshlrev_b32_e32 v38, v49, v38
	v_bfe_u32 v49, v10, 19, 4
	s_delay_alu instid0(VALU_DEP_2) | instskip(NEXT) | instid1(VALU_DEP_2)
	v_and_b32_e32 v38, 7, v38
	v_cmp_eq_u32_e64 s13, 0, v49
	s_delay_alu instid0(VALU_DEP_1) | instskip(NEXT) | instid1(VALU_DEP_3)
	v_cndmask_b32_e64 v48, v49, v48, s13
	v_cndmask_b32_e64 v38, v39, v38, s13
	v_and_b32_e32 v39, 0x80000000, v50
	s_delay_alu instid0(VALU_DEP_3) | instskip(NEXT) | instid1(VALU_DEP_3)
	v_lshl_add_u32 v48, v48, 23, 0x3b800000
	v_lshlrev_b32_e32 v38, 20, v38
	s_delay_alu instid0(VALU_DEP_1)
	v_or3_b32 v39, v39, v48, v38
.LBB6_7822:                             ;   in Loop: Header=BB6_7654 Depth=3
	s_or_b32 exec_lo, exec_lo, s30
	s_delay_alu instid0(VALU_DEP_1) | instskip(NEXT) | instid1(VALU_DEP_1)
	v_add_f32_e32 v38, v37, v39
	v_and_b32_e32 v37, 0x7f800000, v38
	s_delay_alu instid0(VALU_DEP_1) | instskip(SKIP_1) | instid1(VALU_DEP_2)
	v_cmp_ne_u32_e64 s13, 0x7f800000, v37
	v_mov_b32_e32 v37, 0x80
	s_and_saveexec_b32 s30, s13
	s_cbranch_execz .LBB6_7830
; %bb.7823:                             ;   in Loop: Header=BB6_7654 Depth=3
	v_mov_b32_e32 v37, 0
	s_mov_b32 s31, exec_lo
	v_cmpx_ne_u32_e32 0, v38
	s_cbranch_execz .LBB6_7829
; %bb.7824:                             ;   in Loop: Header=BB6_7654 Depth=3
	v_bfe_u32 v37, v38, 23, 8
	v_and_b32_e32 v39, 0x7fffff, v38
	s_delay_alu instid0(VALU_DEP_2) | instskip(SKIP_1) | instid1(VALU_DEP_3)
	v_sub_nc_u32_e32 v48, 0x78, v37
	v_cmp_gt_u32_e64 s13, 0x79, v37
	v_or_b32_e32 v49, 0x800000, v39
	s_delay_alu instid0(VALU_DEP_2) | instskip(SKIP_2) | instid1(VALU_DEP_2)
	v_cndmask_b32_e64 v48, 0, v48, s13
	v_cmp_eq_u32_e64 s13, 0, v37
	v_add_nc_u32_e32 v37, 0xffffff89, v37
	v_cndmask_b32_e64 v48, v48, 0x77, s13
	v_cndmask_b32_e64 v39, v49, v39, s13
	s_delay_alu instid0(VALU_DEP_3) | instskip(NEXT) | instid1(VALU_DEP_3)
	v_cndmask_b32_e64 v37, v37, 0xffffff8a, s13
	v_lshl_add_u32 v49, 0x100000, v48, -1
	s_delay_alu instid0(VALU_DEP_3) | instskip(SKIP_1) | instid1(VALU_DEP_4)
	v_lshrrev_b32_e32 v50, v48, v39
	v_lshlrev_b32_e64 v101, v48, 0x80000
	v_add_nc_u32_e32 v48, v48, v37
	s_delay_alu instid0(VALU_DEP_4) | instskip(NEXT) | instid1(VALU_DEP_4)
	v_and_b32_e32 v39, v49, v39
	v_bfe_u32 v51, v50, 20, 1
	s_delay_alu instid0(VALU_DEP_2) | instskip(NEXT) | instid1(VALU_DEP_2)
	v_cmp_eq_u32_e64 s14, v39, v101
	v_add_nc_u32_e32 v49, -1, v51
	s_delay_alu instid0(VALU_DEP_1) | instskip(SKIP_2) | instid1(VALU_DEP_2)
	v_cndmask_b32_e64 v39, 0, v49, s14
	v_lshrrev_b32_e32 v49, 23, v50
	s_mov_b32 s14, exec_lo
	v_add_nc_u32_e32 v39, v39, v50
	s_delay_alu instid0(VALU_DEP_2) | instskip(NEXT) | instid1(VALU_DEP_2)
	v_xor_b32_e32 v49, 1, v49
	v_and_b32_e32 v37, 0xfffff, v39
	s_delay_alu instid0(VALU_DEP_1) | instskip(NEXT) | instid1(VALU_DEP_3)
	v_add_nc_u32_e32 v39, v37, v50
                                        ; implicit-def: $vgpr37
	v_cmpx_ne_u32_e64 v48, v49
	s_xor_b32 s14, exec_lo, s14
; %bb.7825:                             ;   in Loop: Header=BB6_7654 Depth=3
	s_delay_alu instid0(VALU_DEP_2) | instskip(SKIP_1) | instid1(VALU_DEP_2)
	v_cmp_lt_u32_e64 s13, 0xffffff, v39
	v_sub_nc_u32_e32 v37, v48, v49
	v_cndmask_b32_e64 v48, 0, 1, s13
	s_delay_alu instid0(VALU_DEP_2) | instskip(NEXT) | instid1(VALU_DEP_2)
	v_add_co_ci_u32_e64 v37, s13, 0, v37, s13
	v_lshrrev_b32_e32 v39, v48, v39
; %bb.7826:                             ;   in Loop: Header=BB6_7654 Depth=3
	s_and_not1_saveexec_b32 s13, s14
; %bb.7827:                             ;   in Loop: Header=BB6_7654 Depth=3
	s_delay_alu instid0(VALU_DEP_1)
	v_bfe_u32 v37, v39, 23, 1
; %bb.7828:                             ;   in Loop: Header=BB6_7654 Depth=3
	s_or_b32 exec_lo, exec_lo, s13
	v_lshrrev_b32_e32 v39, 20, v39
	s_delay_alu instid0(VALU_DEP_2) | instskip(SKIP_2) | instid1(VALU_DEP_3)
	v_cmp_gt_i32_e64 s13, 16, v37
	v_lshrrev_b32_e32 v38, 24, v38
	v_min_i32_e32 v48, 15, v37
	v_cndmask_b32_e64 v39, 7, v39, s13
	s_delay_alu instid0(VALU_DEP_3) | instskip(NEXT) | instid1(VALU_DEP_3)
	v_and_b32_e32 v38, 0x80, v38
	v_lshlrev_b32_e32 v48, 3, v48
	s_delay_alu instid0(VALU_DEP_3) | instskip(SKIP_1) | instid1(VALU_DEP_2)
	v_and_b32_e32 v49, 7, v39
	v_or_b32_e32 v37, v37, v39
	v_or3_b32 v38, v48, v38, v49
	s_delay_alu instid0(VALU_DEP_2) | instskip(NEXT) | instid1(VALU_DEP_1)
	v_cmp_ne_u32_e64 s13, 0, v37
	v_cndmask_b32_e64 v37, 0, v38, s13
.LBB6_7829:                             ;   in Loop: Header=BB6_7654 Depth=3
	s_or_b32 exec_lo, exec_lo, s31
.LBB6_7830:                             ;   in Loop: Header=BB6_7654 Depth=3
	s_delay_alu instid0(SALU_CYCLE_1) | instskip(SKIP_3) | instid1(VALU_DEP_1)
	s_or_b32 exec_lo, exec_lo, s30
	v_lshrrev_b32_e32 v39, 24, v14
	s_mov_b32 s14, 0
	s_mov_b32 s31, exec_lo
                                        ; implicit-def: $sgpr30
	v_cmpx_lt_i16_e32 0x7f, v39
	s_xor_b32 s31, exec_lo, s31
	s_cbranch_execnz .LBB6_7996
; %bb.7831:                             ;   in Loop: Header=BB6_7654 Depth=3
	s_or_saveexec_b32 s31, s31
	v_mov_b32_e32 v38, s30
	s_xor_b32 exec_lo, exec_lo, s31
	s_cbranch_execnz .LBB6_7999
.LBB6_7832:                             ;   in Loop: Header=BB6_7654 Depth=3
	s_or_b32 exec_lo, exec_lo, s31
	s_and_saveexec_b32 s30, s14
	s_cbranch_execz .LBB6_7834
.LBB6_7833:                             ;   in Loop: Header=BB6_7654 Depth=3
	v_bfe_u32 v38, v14, 24, 3
	s_delay_alu instid0(VALU_DEP_1) | instskip(NEXT) | instid1(VALU_DEP_1)
	v_clz_i32_u32_e32 v48, v38
	v_min_u32_e32 v48, 32, v48
	s_delay_alu instid0(VALU_DEP_1) | instskip(SKIP_1) | instid1(VALU_DEP_2)
	v_subrev_nc_u32_e32 v49, 28, v48
	v_sub_nc_u32_e32 v48, 29, v48
	v_lshlrev_b32_e32 v39, v49, v39
	v_bfe_u32 v49, v14, 27, 4
	v_and_b32_e32 v14, 0x80000000, v14
	s_delay_alu instid0(VALU_DEP_3) | instskip(NEXT) | instid1(VALU_DEP_3)
	v_and_b32_e32 v39, 7, v39
	v_cmp_eq_u32_e64 s13, 0, v49
	s_delay_alu instid0(VALU_DEP_1) | instskip(NEXT) | instid1(VALU_DEP_3)
	v_cndmask_b32_e64 v48, v49, v48, s13
	v_cndmask_b32_e64 v38, v38, v39, s13
	s_delay_alu instid0(VALU_DEP_2) | instskip(NEXT) | instid1(VALU_DEP_2)
	v_lshl_add_u32 v39, v48, 23, 0x3b800000
	v_lshlrev_b32_e32 v38, 20, v38
	s_delay_alu instid0(VALU_DEP_1)
	v_or3_b32 v38, v14, v39, v38
.LBB6_7834:                             ;   in Loop: Header=BB6_7654 Depth=3
	s_or_b32 exec_lo, exec_lo, s30
	v_lshrrev_b32_e32 v14, 24, v10
	s_mov_b32 s14, 0
	s_mov_b32 s31, exec_lo
                                        ; implicit-def: $sgpr30
	s_delay_alu instid0(VALU_DEP_1)
	v_cmpx_lt_i16_e32 0x7f, v14
	s_xor_b32 s31, exec_lo, s31
	s_cbranch_execnz .LBB6_8000
; %bb.7835:                             ;   in Loop: Header=BB6_7654 Depth=3
	s_or_saveexec_b32 s31, s31
	v_mov_b32_e32 v39, s30
	s_xor_b32 exec_lo, exec_lo, s31
	s_cbranch_execnz .LBB6_8003
.LBB6_7836:                             ;   in Loop: Header=BB6_7654 Depth=3
	s_or_b32 exec_lo, exec_lo, s31
	s_and_saveexec_b32 s30, s14
	s_cbranch_execz .LBB6_7838
.LBB6_7837:                             ;   in Loop: Header=BB6_7654 Depth=3
	v_bfe_u32 v39, v10, 24, 3
	s_delay_alu instid0(VALU_DEP_1) | instskip(NEXT) | instid1(VALU_DEP_1)
	v_clz_i32_u32_e32 v48, v39
	v_min_u32_e32 v48, 32, v48
	s_delay_alu instid0(VALU_DEP_1) | instskip(SKIP_1) | instid1(VALU_DEP_2)
	v_subrev_nc_u32_e32 v49, 28, v48
	v_sub_nc_u32_e32 v48, 29, v48
	v_lshlrev_b32_e32 v14, v49, v14
	v_bfe_u32 v49, v10, 27, 4
	v_and_b32_e32 v10, 0x80000000, v10
	s_delay_alu instid0(VALU_DEP_3) | instskip(NEXT) | instid1(VALU_DEP_3)
	v_and_b32_e32 v14, 7, v14
	v_cmp_eq_u32_e64 s13, 0, v49
	s_delay_alu instid0(VALU_DEP_1) | instskip(NEXT) | instid1(VALU_DEP_3)
	v_cndmask_b32_e64 v48, v49, v48, s13
	v_cndmask_b32_e64 v14, v39, v14, s13
	s_delay_alu instid0(VALU_DEP_2) | instskip(NEXT) | instid1(VALU_DEP_2)
	v_lshl_add_u32 v39, v48, 23, 0x3b800000
	v_lshlrev_b32_e32 v14, 20, v14
	s_delay_alu instid0(VALU_DEP_1)
	v_or3_b32 v39, v10, v39, v14
.LBB6_7838:                             ;   in Loop: Header=BB6_7654 Depth=3
	s_or_b32 exec_lo, exec_lo, s30
	s_delay_alu instid0(VALU_DEP_1) | instskip(NEXT) | instid1(VALU_DEP_1)
	v_add_f32_e32 v14, v38, v39
	v_and_b32_e32 v10, 0x7f800000, v14
	s_delay_alu instid0(VALU_DEP_1) | instskip(SKIP_1) | instid1(VALU_DEP_2)
	v_cmp_ne_u32_e64 s13, 0x7f800000, v10
	v_mov_b32_e32 v10, 0x80
	s_and_saveexec_b32 s30, s13
	s_cbranch_execz .LBB6_7846
; %bb.7839:                             ;   in Loop: Header=BB6_7654 Depth=3
	v_mov_b32_e32 v10, 0
	s_mov_b32 s31, exec_lo
	v_cmpx_ne_u32_e32 0, v14
	s_cbranch_execz .LBB6_7845
; %bb.7840:                             ;   in Loop: Header=BB6_7654 Depth=3
	v_bfe_u32 v10, v14, 23, 8
	v_and_b32_e32 v38, 0x7fffff, v14
	s_delay_alu instid0(VALU_DEP_2) | instskip(SKIP_1) | instid1(VALU_DEP_3)
	v_sub_nc_u32_e32 v39, 0x78, v10
	v_cmp_gt_u32_e64 s13, 0x79, v10
	v_or_b32_e32 v48, 0x800000, v38
	s_delay_alu instid0(VALU_DEP_2) | instskip(SKIP_2) | instid1(VALU_DEP_2)
	v_cndmask_b32_e64 v39, 0, v39, s13
	v_cmp_eq_u32_e64 s13, 0, v10
	v_add_nc_u32_e32 v10, 0xffffff89, v10
	v_cndmask_b32_e64 v39, v39, 0x77, s13
	v_cndmask_b32_e64 v38, v48, v38, s13
	s_delay_alu instid0(VALU_DEP_3) | instskip(NEXT) | instid1(VALU_DEP_3)
	v_cndmask_b32_e64 v10, v10, 0xffffff8a, s13
	v_lshl_add_u32 v48, 0x100000, v39, -1
	s_delay_alu instid0(VALU_DEP_3) | instskip(SKIP_1) | instid1(VALU_DEP_4)
	v_lshrrev_b32_e32 v49, v39, v38
	v_lshlrev_b32_e64 v51, v39, 0x80000
	v_add_nc_u32_e32 v39, v39, v10
	s_delay_alu instid0(VALU_DEP_4) | instskip(NEXT) | instid1(VALU_DEP_4)
	v_and_b32_e32 v38, v48, v38
	v_bfe_u32 v50, v49, 20, 1
	s_delay_alu instid0(VALU_DEP_2) | instskip(NEXT) | instid1(VALU_DEP_2)
	v_cmp_eq_u32_e64 s14, v38, v51
	v_add_nc_u32_e32 v48, -1, v50
	s_delay_alu instid0(VALU_DEP_1) | instskip(SKIP_2) | instid1(VALU_DEP_2)
	v_cndmask_b32_e64 v38, 0, v48, s14
	v_lshrrev_b32_e32 v48, 23, v49
	s_mov_b32 s14, exec_lo
	v_add_nc_u32_e32 v38, v38, v49
	s_delay_alu instid0(VALU_DEP_2) | instskip(NEXT) | instid1(VALU_DEP_2)
	v_xor_b32_e32 v48, 1, v48
	v_and_b32_e32 v10, 0xfffff, v38
	s_delay_alu instid0(VALU_DEP_1) | instskip(NEXT) | instid1(VALU_DEP_3)
	v_add_nc_u32_e32 v38, v10, v49
                                        ; implicit-def: $vgpr10
	v_cmpx_ne_u32_e64 v39, v48
	s_xor_b32 s14, exec_lo, s14
; %bb.7841:                             ;   in Loop: Header=BB6_7654 Depth=3
	s_delay_alu instid0(VALU_DEP_2) | instskip(SKIP_1) | instid1(VALU_DEP_2)
	v_cmp_lt_u32_e64 s13, 0xffffff, v38
	v_sub_nc_u32_e32 v10, v39, v48
	v_cndmask_b32_e64 v39, 0, 1, s13
	s_delay_alu instid0(VALU_DEP_2) | instskip(NEXT) | instid1(VALU_DEP_2)
	v_add_co_ci_u32_e64 v10, s13, 0, v10, s13
	v_lshrrev_b32_e32 v38, v39, v38
; %bb.7842:                             ;   in Loop: Header=BB6_7654 Depth=3
	s_and_not1_saveexec_b32 s13, s14
; %bb.7843:                             ;   in Loop: Header=BB6_7654 Depth=3
	s_delay_alu instid0(VALU_DEP_1)
	v_bfe_u32 v10, v38, 23, 1
; %bb.7844:                             ;   in Loop: Header=BB6_7654 Depth=3
	s_or_b32 exec_lo, exec_lo, s13
	v_lshrrev_b32_e32 v38, 20, v38
	s_delay_alu instid0(VALU_DEP_2) | instskip(SKIP_2) | instid1(VALU_DEP_3)
	v_cmp_gt_i32_e64 s13, 16, v10
	v_lshrrev_b32_e32 v14, 24, v14
	v_min_i32_e32 v39, 15, v10
	v_cndmask_b32_e64 v38, 7, v38, s13
	s_delay_alu instid0(VALU_DEP_3) | instskip(NEXT) | instid1(VALU_DEP_3)
	v_and_b32_e32 v14, 0x80, v14
	v_lshlrev_b32_e32 v39, 3, v39
	s_delay_alu instid0(VALU_DEP_3) | instskip(SKIP_1) | instid1(VALU_DEP_2)
	v_and_b32_e32 v48, 7, v38
	v_or_b32_e32 v10, v10, v38
	v_or3_b32 v14, v39, v14, v48
	s_delay_alu instid0(VALU_DEP_2) | instskip(NEXT) | instid1(VALU_DEP_1)
	v_cmp_ne_u32_e64 s13, 0, v10
	v_cndmask_b32_e64 v10, 0, v14, s13
.LBB6_7845:                             ;   in Loop: Header=BB6_7654 Depth=3
	s_or_b32 exec_lo, exec_lo, s31
.LBB6_7846:                             ;   in Loop: Header=BB6_7654 Depth=3
	s_delay_alu instid0(SALU_CYCLE_1) | instskip(SKIP_3) | instid1(VALU_DEP_1)
	s_or_b32 exec_lo, exec_lo, s30
	v_and_b32_e32 v38, 0xff, v15
	s_mov_b32 s14, 0
	s_mov_b32 s31, exec_lo
                                        ; implicit-def: $sgpr30
	v_cmpx_lt_i16_e32 0x7f, v38
	s_xor_b32 s31, exec_lo, s31
	s_cbranch_execnz .LBB6_8004
; %bb.7847:                             ;   in Loop: Header=BB6_7654 Depth=3
	s_or_saveexec_b32 s31, s31
	v_mov_b32_e32 v14, s30
	s_xor_b32 exec_lo, exec_lo, s31
	s_cbranch_execnz .LBB6_8007
.LBB6_7848:                             ;   in Loop: Header=BB6_7654 Depth=3
	s_or_b32 exec_lo, exec_lo, s31
	s_and_saveexec_b32 s30, s14
	s_cbranch_execz .LBB6_7850
.LBB6_7849:                             ;   in Loop: Header=BB6_7654 Depth=3
	v_and_b32_e32 v14, 7, v15
	v_bfe_u32 v48, v15, 3, 4
	v_lshlrev_b32_e32 v49, 24, v15
	s_delay_alu instid0(VALU_DEP_3) | instskip(NEXT) | instid1(VALU_DEP_3)
	v_clz_i32_u32_e32 v38, v14
	v_cmp_eq_u32_e64 s13, 0, v48
	s_delay_alu instid0(VALU_DEP_2) | instskip(NEXT) | instid1(VALU_DEP_1)
	v_min_u32_e32 v38, 32, v38
	v_subrev_nc_u32_e32 v39, 28, v38
	v_sub_nc_u32_e32 v38, 29, v38
	s_delay_alu instid0(VALU_DEP_2) | instskip(NEXT) | instid1(VALU_DEP_2)
	v_lshlrev_b32_e32 v39, v39, v15
	v_cndmask_b32_e64 v38, v48, v38, s13
	s_delay_alu instid0(VALU_DEP_2) | instskip(NEXT) | instid1(VALU_DEP_2)
	v_and_b32_e32 v39, 7, v39
	v_lshl_add_u32 v38, v38, 23, 0x3b800000
	s_delay_alu instid0(VALU_DEP_2) | instskip(SKIP_1) | instid1(VALU_DEP_2)
	v_cndmask_b32_e64 v14, v14, v39, s13
	v_and_b32_e32 v39, 0x80000000, v49
	v_lshlrev_b32_e32 v14, 20, v14
	s_delay_alu instid0(VALU_DEP_1)
	v_or3_b32 v14, v39, v38, v14
.LBB6_7850:                             ;   in Loop: Header=BB6_7654 Depth=3
	s_or_b32 exec_lo, exec_lo, s30
	v_and_b32_e32 v39, 0xff, v11
	s_mov_b32 s14, 0
	s_mov_b32 s31, exec_lo
                                        ; implicit-def: $sgpr30
	s_delay_alu instid0(VALU_DEP_1)
	v_cmpx_lt_i16_e32 0x7f, v39
	s_xor_b32 s31, exec_lo, s31
	s_cbranch_execnz .LBB6_8008
; %bb.7851:                             ;   in Loop: Header=BB6_7654 Depth=3
	s_or_saveexec_b32 s31, s31
	v_mov_b32_e32 v38, s30
	s_xor_b32 exec_lo, exec_lo, s31
	s_cbranch_execnz .LBB6_8011
.LBB6_7852:                             ;   in Loop: Header=BB6_7654 Depth=3
	s_or_b32 exec_lo, exec_lo, s31
	s_and_saveexec_b32 s30, s14
	s_cbranch_execz .LBB6_7854
.LBB6_7853:                             ;   in Loop: Header=BB6_7654 Depth=3
	v_and_b32_e32 v38, 7, v11
	v_bfe_u32 v49, v11, 3, 4
	v_lshlrev_b32_e32 v50, 24, v11
	s_delay_alu instid0(VALU_DEP_3) | instskip(NEXT) | instid1(VALU_DEP_3)
	v_clz_i32_u32_e32 v39, v38
	v_cmp_eq_u32_e64 s13, 0, v49
	s_delay_alu instid0(VALU_DEP_2) | instskip(NEXT) | instid1(VALU_DEP_1)
	v_min_u32_e32 v39, 32, v39
	v_subrev_nc_u32_e32 v48, 28, v39
	v_sub_nc_u32_e32 v39, 29, v39
	s_delay_alu instid0(VALU_DEP_2) | instskip(NEXT) | instid1(VALU_DEP_2)
	v_lshlrev_b32_e32 v48, v48, v11
	v_cndmask_b32_e64 v39, v49, v39, s13
	s_delay_alu instid0(VALU_DEP_2) | instskip(NEXT) | instid1(VALU_DEP_2)
	v_and_b32_e32 v48, 7, v48
	v_lshl_add_u32 v39, v39, 23, 0x3b800000
	s_delay_alu instid0(VALU_DEP_2) | instskip(SKIP_1) | instid1(VALU_DEP_2)
	v_cndmask_b32_e64 v38, v38, v48, s13
	v_and_b32_e32 v48, 0x80000000, v50
	v_lshlrev_b32_e32 v38, 20, v38
	s_delay_alu instid0(VALU_DEP_1)
	v_or3_b32 v38, v48, v39, v38
.LBB6_7854:                             ;   in Loop: Header=BB6_7654 Depth=3
	s_or_b32 exec_lo, exec_lo, s30
	s_delay_alu instid0(VALU_DEP_1) | instskip(NEXT) | instid1(VALU_DEP_1)
	v_add_f32_e32 v38, v14, v38
	v_and_b32_e32 v14, 0x7f800000, v38
	s_delay_alu instid0(VALU_DEP_1) | instskip(SKIP_1) | instid1(VALU_DEP_2)
	v_cmp_ne_u32_e64 s13, 0x7f800000, v14
	v_mov_b32_e32 v14, 0x80
	s_and_saveexec_b32 s30, s13
	s_cbranch_execz .LBB6_7862
; %bb.7855:                             ;   in Loop: Header=BB6_7654 Depth=3
	v_mov_b32_e32 v14, 0
	s_mov_b32 s31, exec_lo
	v_cmpx_ne_u32_e32 0, v38
	s_cbranch_execz .LBB6_7861
; %bb.7856:                             ;   in Loop: Header=BB6_7654 Depth=3
	v_bfe_u32 v14, v38, 23, 8
	v_and_b32_e32 v39, 0x7fffff, v38
	s_delay_alu instid0(VALU_DEP_2) | instskip(SKIP_1) | instid1(VALU_DEP_3)
	v_sub_nc_u32_e32 v48, 0x78, v14
	v_cmp_gt_u32_e64 s13, 0x79, v14
	v_or_b32_e32 v49, 0x800000, v39
	s_delay_alu instid0(VALU_DEP_2) | instskip(SKIP_2) | instid1(VALU_DEP_2)
	v_cndmask_b32_e64 v48, 0, v48, s13
	v_cmp_eq_u32_e64 s13, 0, v14
	v_add_nc_u32_e32 v14, 0xffffff89, v14
	v_cndmask_b32_e64 v48, v48, 0x77, s13
	v_cndmask_b32_e64 v39, v49, v39, s13
	s_delay_alu instid0(VALU_DEP_3) | instskip(NEXT) | instid1(VALU_DEP_3)
	v_cndmask_b32_e64 v14, v14, 0xffffff8a, s13
	v_lshl_add_u32 v49, 0x100000, v48, -1
	s_delay_alu instid0(VALU_DEP_3) | instskip(SKIP_1) | instid1(VALU_DEP_4)
	v_lshrrev_b32_e32 v50, v48, v39
	v_lshlrev_b32_e64 v101, v48, 0x80000
	v_add_nc_u32_e32 v48, v48, v14
	s_delay_alu instid0(VALU_DEP_4) | instskip(NEXT) | instid1(VALU_DEP_4)
	v_and_b32_e32 v39, v49, v39
	v_bfe_u32 v51, v50, 20, 1
	s_delay_alu instid0(VALU_DEP_2) | instskip(NEXT) | instid1(VALU_DEP_2)
	v_cmp_eq_u32_e64 s14, v39, v101
	v_add_nc_u32_e32 v49, -1, v51
	s_delay_alu instid0(VALU_DEP_1) | instskip(SKIP_2) | instid1(VALU_DEP_2)
	v_cndmask_b32_e64 v39, 0, v49, s14
	v_lshrrev_b32_e32 v49, 23, v50
	s_mov_b32 s14, exec_lo
	v_add_nc_u32_e32 v39, v39, v50
	s_delay_alu instid0(VALU_DEP_2) | instskip(NEXT) | instid1(VALU_DEP_2)
	v_xor_b32_e32 v49, 1, v49
	v_and_b32_e32 v14, 0xfffff, v39
	s_delay_alu instid0(VALU_DEP_1) | instskip(NEXT) | instid1(VALU_DEP_3)
	v_add_nc_u32_e32 v39, v14, v50
                                        ; implicit-def: $vgpr14
	v_cmpx_ne_u32_e64 v48, v49
	s_xor_b32 s14, exec_lo, s14
; %bb.7857:                             ;   in Loop: Header=BB6_7654 Depth=3
	s_delay_alu instid0(VALU_DEP_2) | instskip(SKIP_1) | instid1(VALU_DEP_2)
	v_cmp_lt_u32_e64 s13, 0xffffff, v39
	v_sub_nc_u32_e32 v14, v48, v49
	v_cndmask_b32_e64 v48, 0, 1, s13
	s_delay_alu instid0(VALU_DEP_2) | instskip(NEXT) | instid1(VALU_DEP_2)
	v_add_co_ci_u32_e64 v14, s13, 0, v14, s13
	v_lshrrev_b32_e32 v39, v48, v39
; %bb.7858:                             ;   in Loop: Header=BB6_7654 Depth=3
	s_and_not1_saveexec_b32 s13, s14
; %bb.7859:                             ;   in Loop: Header=BB6_7654 Depth=3
	s_delay_alu instid0(VALU_DEP_1)
	v_bfe_u32 v14, v39, 23, 1
; %bb.7860:                             ;   in Loop: Header=BB6_7654 Depth=3
	s_or_b32 exec_lo, exec_lo, s13
	v_lshrrev_b32_e32 v39, 20, v39
	s_delay_alu instid0(VALU_DEP_2) | instskip(SKIP_2) | instid1(VALU_DEP_3)
	v_cmp_gt_i32_e64 s13, 16, v14
	v_lshrrev_b32_e32 v38, 24, v38
	v_min_i32_e32 v48, 15, v14
	v_cndmask_b32_e64 v39, 7, v39, s13
	s_delay_alu instid0(VALU_DEP_3) | instskip(NEXT) | instid1(VALU_DEP_3)
	v_and_b32_e32 v38, 0x80, v38
	v_lshlrev_b32_e32 v48, 3, v48
	s_delay_alu instid0(VALU_DEP_3) | instskip(SKIP_1) | instid1(VALU_DEP_2)
	v_and_b32_e32 v49, 7, v39
	v_or_b32_e32 v14, v14, v39
	v_or3_b32 v38, v48, v38, v49
	s_delay_alu instid0(VALU_DEP_2) | instskip(NEXT) | instid1(VALU_DEP_1)
	v_cmp_ne_u32_e64 s13, 0, v14
	v_cndmask_b32_e64 v14, 0, v38, s13
.LBB6_7861:                             ;   in Loop: Header=BB6_7654 Depth=3
	s_or_b32 exec_lo, exec_lo, s31
.LBB6_7862:                             ;   in Loop: Header=BB6_7654 Depth=3
	s_delay_alu instid0(SALU_CYCLE_1) | instskip(SKIP_3) | instid1(VALU_DEP_1)
	s_or_b32 exec_lo, exec_lo, s30
	v_lshrrev_b16 v39, 8, v15
	s_mov_b32 s14, 0
	s_mov_b32 s31, exec_lo
                                        ; implicit-def: $sgpr30
	v_cmpx_lt_i16_e32 0x7f, v39
	s_xor_b32 s31, exec_lo, s31
	s_cbranch_execnz .LBB6_8012
; %bb.7863:                             ;   in Loop: Header=BB6_7654 Depth=3
	s_or_saveexec_b32 s31, s31
	v_mov_b32_e32 v38, s30
	s_xor_b32 exec_lo, exec_lo, s31
	s_cbranch_execnz .LBB6_8015
.LBB6_7864:                             ;   in Loop: Header=BB6_7654 Depth=3
	s_or_b32 exec_lo, exec_lo, s31
	s_and_saveexec_b32 s30, s14
	s_cbranch_execz .LBB6_7866
.LBB6_7865:                             ;   in Loop: Header=BB6_7654 Depth=3
	v_and_b32_e32 v38, 0xffff, v39
	v_lshlrev_b32_e32 v39, 24, v39
	s_delay_alu instid0(VALU_DEP_2) | instskip(NEXT) | instid1(VALU_DEP_2)
	v_and_b32_e32 v48, 7, v38
	v_and_b32_e32 v39, 0x80000000, v39
	s_delay_alu instid0(VALU_DEP_2) | instskip(NEXT) | instid1(VALU_DEP_1)
	v_clz_i32_u32_e32 v49, v48
	v_min_u32_e32 v49, 32, v49
	s_delay_alu instid0(VALU_DEP_1) | instskip(SKIP_1) | instid1(VALU_DEP_2)
	v_subrev_nc_u32_e32 v50, 28, v49
	v_sub_nc_u32_e32 v49, 29, v49
	v_lshlrev_b32_e32 v50, v50, v38
	v_bfe_u32 v38, v38, 3, 4
	s_delay_alu instid0(VALU_DEP_2) | instskip(NEXT) | instid1(VALU_DEP_2)
	v_and_b32_e32 v50, 7, v50
	v_cmp_eq_u32_e64 s13, 0, v38
	s_delay_alu instid0(VALU_DEP_1) | instskip(NEXT) | instid1(VALU_DEP_3)
	v_cndmask_b32_e64 v38, v38, v49, s13
	v_cndmask_b32_e64 v48, v48, v50, s13
	s_delay_alu instid0(VALU_DEP_2) | instskip(NEXT) | instid1(VALU_DEP_2)
	v_lshl_add_u32 v38, v38, 23, 0x3b800000
	v_lshlrev_b32_e32 v48, 20, v48
	s_delay_alu instid0(VALU_DEP_1)
	v_or3_b32 v38, v39, v38, v48
.LBB6_7866:                             ;   in Loop: Header=BB6_7654 Depth=3
	s_or_b32 exec_lo, exec_lo, s30
	v_lshrrev_b16 v39, 8, v11
	s_mov_b32 s14, 0
	s_mov_b32 s31, exec_lo
                                        ; implicit-def: $sgpr30
	s_delay_alu instid0(VALU_DEP_1)
	v_cmpx_lt_i16_e32 0x7f, v39
	s_xor_b32 s31, exec_lo, s31
	s_cbranch_execnz .LBB6_8016
; %bb.7867:                             ;   in Loop: Header=BB6_7654 Depth=3
	s_or_saveexec_b32 s31, s31
	v_mov_b32_e32 v48, s30
	s_xor_b32 exec_lo, exec_lo, s31
	s_cbranch_execnz .LBB6_8019
.LBB6_7868:                             ;   in Loop: Header=BB6_7654 Depth=3
	s_or_b32 exec_lo, exec_lo, s31
	s_and_saveexec_b32 s30, s14
	s_cbranch_execz .LBB6_7870
.LBB6_7869:                             ;   in Loop: Header=BB6_7654 Depth=3
	v_and_b32_e32 v48, 0xffff, v39
	v_lshlrev_b32_e32 v39, 24, v39
	s_delay_alu instid0(VALU_DEP_2) | instskip(NEXT) | instid1(VALU_DEP_2)
	v_and_b32_e32 v49, 7, v48
	v_and_b32_e32 v39, 0x80000000, v39
	s_delay_alu instid0(VALU_DEP_2) | instskip(NEXT) | instid1(VALU_DEP_1)
	v_clz_i32_u32_e32 v50, v49
	v_min_u32_e32 v50, 32, v50
	s_delay_alu instid0(VALU_DEP_1) | instskip(SKIP_1) | instid1(VALU_DEP_2)
	v_subrev_nc_u32_e32 v51, 28, v50
	v_sub_nc_u32_e32 v50, 29, v50
	v_lshlrev_b32_e32 v51, v51, v48
	v_bfe_u32 v48, v48, 3, 4
	s_delay_alu instid0(VALU_DEP_2) | instskip(NEXT) | instid1(VALU_DEP_2)
	v_and_b32_e32 v51, 7, v51
	v_cmp_eq_u32_e64 s13, 0, v48
	s_delay_alu instid0(VALU_DEP_1) | instskip(NEXT) | instid1(VALU_DEP_3)
	v_cndmask_b32_e64 v48, v48, v50, s13
	v_cndmask_b32_e64 v49, v49, v51, s13
	s_delay_alu instid0(VALU_DEP_2) | instskip(NEXT) | instid1(VALU_DEP_2)
	v_lshl_add_u32 v48, v48, 23, 0x3b800000
	v_lshlrev_b32_e32 v49, 20, v49
	s_delay_alu instid0(VALU_DEP_1)
	v_or3_b32 v48, v39, v48, v49
.LBB6_7870:                             ;   in Loop: Header=BB6_7654 Depth=3
	s_or_b32 exec_lo, exec_lo, s30
	s_delay_alu instid0(VALU_DEP_1) | instskip(NEXT) | instid1(VALU_DEP_1)
	v_add_f32_e32 v39, v38, v48
	v_and_b32_e32 v38, 0x7f800000, v39
	s_delay_alu instid0(VALU_DEP_1) | instskip(SKIP_1) | instid1(VALU_DEP_2)
	v_cmp_ne_u32_e64 s13, 0x7f800000, v38
	v_mov_b32_e32 v38, 0x8000
	s_and_saveexec_b32 s30, s13
	s_cbranch_execz .LBB6_7878
; %bb.7871:                             ;   in Loop: Header=BB6_7654 Depth=3
	v_mov_b32_e32 v38, 0
	s_mov_b32 s31, exec_lo
	v_cmpx_ne_u32_e32 0, v39
	s_cbranch_execz .LBB6_7877
; %bb.7872:                             ;   in Loop: Header=BB6_7654 Depth=3
	v_bfe_u32 v38, v39, 23, 8
	v_and_b32_e32 v48, 0x7fffff, v39
	s_delay_alu instid0(VALU_DEP_2) | instskip(SKIP_1) | instid1(VALU_DEP_3)
	v_sub_nc_u32_e32 v49, 0x78, v38
	v_cmp_gt_u32_e64 s13, 0x79, v38
	v_or_b32_e32 v50, 0x800000, v48
	s_delay_alu instid0(VALU_DEP_2) | instskip(SKIP_2) | instid1(VALU_DEP_2)
	v_cndmask_b32_e64 v49, 0, v49, s13
	v_cmp_eq_u32_e64 s13, 0, v38
	v_add_nc_u32_e32 v38, 0xffffff89, v38
	v_cndmask_b32_e64 v49, v49, 0x77, s13
	v_cndmask_b32_e64 v48, v50, v48, s13
	s_delay_alu instid0(VALU_DEP_3) | instskip(NEXT) | instid1(VALU_DEP_3)
	v_cndmask_b32_e64 v38, v38, 0xffffff8a, s13
	v_lshl_add_u32 v50, 0x100000, v49, -1
	s_delay_alu instid0(VALU_DEP_3) | instskip(SKIP_1) | instid1(VALU_DEP_4)
	v_lshrrev_b32_e32 v51, v49, v48
	v_lshlrev_b32_e64 v102, v49, 0x80000
	v_add_nc_u32_e32 v49, v49, v38
	s_delay_alu instid0(VALU_DEP_4) | instskip(NEXT) | instid1(VALU_DEP_4)
	v_and_b32_e32 v48, v50, v48
	v_bfe_u32 v101, v51, 20, 1
	s_delay_alu instid0(VALU_DEP_2) | instskip(NEXT) | instid1(VALU_DEP_2)
	v_cmp_eq_u32_e64 s14, v48, v102
	v_add_nc_u32_e32 v50, -1, v101
	s_delay_alu instid0(VALU_DEP_1) | instskip(SKIP_2) | instid1(VALU_DEP_2)
	v_cndmask_b32_e64 v48, 0, v50, s14
	v_lshrrev_b32_e32 v50, 23, v51
	s_mov_b32 s14, exec_lo
	v_add_nc_u32_e32 v48, v48, v51
	s_delay_alu instid0(VALU_DEP_2) | instskip(NEXT) | instid1(VALU_DEP_2)
	v_xor_b32_e32 v50, 1, v50
	v_and_b32_e32 v38, 0xfffff, v48
	s_delay_alu instid0(VALU_DEP_1) | instskip(NEXT) | instid1(VALU_DEP_3)
	v_add_nc_u32_e32 v48, v38, v51
                                        ; implicit-def: $vgpr38
	v_cmpx_ne_u32_e64 v49, v50
	s_xor_b32 s14, exec_lo, s14
; %bb.7873:                             ;   in Loop: Header=BB6_7654 Depth=3
	s_delay_alu instid0(VALU_DEP_2) | instskip(SKIP_1) | instid1(VALU_DEP_2)
	v_cmp_lt_u32_e64 s13, 0xffffff, v48
	v_sub_nc_u32_e32 v38, v49, v50
	v_cndmask_b32_e64 v49, 0, 1, s13
	s_delay_alu instid0(VALU_DEP_2) | instskip(NEXT) | instid1(VALU_DEP_2)
	v_add_co_ci_u32_e64 v38, s13, 0, v38, s13
	v_lshrrev_b32_e32 v48, v49, v48
; %bb.7874:                             ;   in Loop: Header=BB6_7654 Depth=3
	s_and_not1_saveexec_b32 s13, s14
; %bb.7875:                             ;   in Loop: Header=BB6_7654 Depth=3
	s_delay_alu instid0(VALU_DEP_1)
	v_bfe_u32 v38, v48, 23, 1
; %bb.7876:                             ;   in Loop: Header=BB6_7654 Depth=3
	s_or_b32 exec_lo, exec_lo, s13
	v_lshrrev_b32_e32 v48, 20, v48
	s_delay_alu instid0(VALU_DEP_2) | instskip(SKIP_2) | instid1(VALU_DEP_3)
	v_min_i32_e32 v49, 15, v38
	v_cmp_gt_i32_e64 s13, 16, v38
	v_lshrrev_b32_e32 v39, 24, v39
	v_lshlrev_b32_e32 v49, 3, v49
	s_delay_alu instid0(VALU_DEP_3) | instskip(NEXT) | instid1(VALU_DEP_3)
	v_cndmask_b32_e64 v48, 7, v48, s13
	v_and_b32_e32 v39, 0x80, v39
	s_delay_alu instid0(VALU_DEP_3) | instskip(NEXT) | instid1(VALU_DEP_3)
	v_and_b32_e32 v49, 0xf8, v49
	v_and_b32_e32 v50, 7, v48
	v_or_b32_e32 v38, v38, v48
	s_delay_alu instid0(VALU_DEP_2) | instskip(NEXT) | instid1(VALU_DEP_2)
	v_or3_b32 v39, v39, v49, v50
	v_cmp_ne_u32_e64 s13, 0, v38
	s_delay_alu instid0(VALU_DEP_2) | instskip(NEXT) | instid1(VALU_DEP_1)
	v_lshlrev_b32_e32 v39, 8, v39
	v_cndmask_b32_e64 v38, 0, v39, s13
.LBB6_7877:                             ;   in Loop: Header=BB6_7654 Depth=3
	s_or_b32 exec_lo, exec_lo, s31
.LBB6_7878:                             ;   in Loop: Header=BB6_7654 Depth=3
	s_delay_alu instid0(SALU_CYCLE_1) | instskip(SKIP_3) | instid1(VALU_DEP_1)
	s_or_b32 exec_lo, exec_lo, s30
	v_lshrrev_b32_e32 v48, 16, v15
	s_mov_b32 s14, 0
	s_mov_b32 s31, exec_lo
                                        ; implicit-def: $sgpr30
	v_and_b32_e32 v49, 0xff, v48
	s_delay_alu instid0(VALU_DEP_1)
	v_cmpx_lt_i16_e32 0x7f, v49
	s_xor_b32 s31, exec_lo, s31
	s_cbranch_execnz .LBB6_8020
; %bb.7879:                             ;   in Loop: Header=BB6_7654 Depth=3
	s_or_saveexec_b32 s31, s31
	v_mov_b32_e32 v39, s30
	s_xor_b32 exec_lo, exec_lo, s31
	s_cbranch_execnz .LBB6_8023
.LBB6_7880:                             ;   in Loop: Header=BB6_7654 Depth=3
	s_or_b32 exec_lo, exec_lo, s31
	s_and_saveexec_b32 s30, s14
	s_cbranch_execz .LBB6_7882
.LBB6_7881:                             ;   in Loop: Header=BB6_7654 Depth=3
	v_bfe_u32 v39, v15, 16, 3
	v_lshlrev_b32_e32 v51, 8, v15
	s_delay_alu instid0(VALU_DEP_2) | instskip(NEXT) | instid1(VALU_DEP_1)
	v_clz_i32_u32_e32 v49, v39
	v_min_u32_e32 v49, 32, v49
	s_delay_alu instid0(VALU_DEP_1) | instskip(SKIP_1) | instid1(VALU_DEP_2)
	v_subrev_nc_u32_e32 v50, 28, v49
	v_sub_nc_u32_e32 v49, 29, v49
	v_lshlrev_b32_e32 v48, v50, v48
	v_bfe_u32 v50, v15, 19, 4
	s_delay_alu instid0(VALU_DEP_2) | instskip(NEXT) | instid1(VALU_DEP_2)
	v_and_b32_e32 v48, 7, v48
	v_cmp_eq_u32_e64 s13, 0, v50
	s_delay_alu instid0(VALU_DEP_1) | instskip(NEXT) | instid1(VALU_DEP_3)
	v_cndmask_b32_e64 v49, v50, v49, s13
	v_cndmask_b32_e64 v39, v39, v48, s13
	v_and_b32_e32 v48, 0x80000000, v51
	s_delay_alu instid0(VALU_DEP_3) | instskip(NEXT) | instid1(VALU_DEP_3)
	v_lshl_add_u32 v49, v49, 23, 0x3b800000
	v_lshlrev_b32_e32 v39, 20, v39
	s_delay_alu instid0(VALU_DEP_1)
	v_or3_b32 v39, v48, v49, v39
.LBB6_7882:                             ;   in Loop: Header=BB6_7654 Depth=3
	s_or_b32 exec_lo, exec_lo, s30
	v_lshrrev_b32_e32 v48, 16, v11
	s_mov_b32 s14, 0
	s_mov_b32 s31, exec_lo
                                        ; implicit-def: $sgpr30
	s_delay_alu instid0(VALU_DEP_1) | instskip(NEXT) | instid1(VALU_DEP_1)
	v_and_b32_e32 v50, 0xff, v48
	v_cmpx_lt_i16_e32 0x7f, v50
	s_xor_b32 s31, exec_lo, s31
	s_cbranch_execnz .LBB6_8024
; %bb.7883:                             ;   in Loop: Header=BB6_7654 Depth=3
	s_or_saveexec_b32 s31, s31
	v_mov_b32_e32 v49, s30
	s_xor_b32 exec_lo, exec_lo, s31
	s_cbranch_execnz .LBB6_8027
.LBB6_7884:                             ;   in Loop: Header=BB6_7654 Depth=3
	s_or_b32 exec_lo, exec_lo, s31
	s_and_saveexec_b32 s30, s14
	s_cbranch_execz .LBB6_7886
.LBB6_7885:                             ;   in Loop: Header=BB6_7654 Depth=3
	v_bfe_u32 v49, v11, 16, 3
	v_lshlrev_b32_e32 v101, 8, v11
	s_delay_alu instid0(VALU_DEP_2) | instskip(NEXT) | instid1(VALU_DEP_1)
	v_clz_i32_u32_e32 v50, v49
	v_min_u32_e32 v50, 32, v50
	s_delay_alu instid0(VALU_DEP_1) | instskip(SKIP_1) | instid1(VALU_DEP_2)
	v_subrev_nc_u32_e32 v51, 28, v50
	v_sub_nc_u32_e32 v50, 29, v50
	v_lshlrev_b32_e32 v48, v51, v48
	v_bfe_u32 v51, v11, 19, 4
	s_delay_alu instid0(VALU_DEP_2) | instskip(NEXT) | instid1(VALU_DEP_2)
	v_and_b32_e32 v48, 7, v48
	v_cmp_eq_u32_e64 s13, 0, v51
	s_delay_alu instid0(VALU_DEP_1) | instskip(NEXT) | instid1(VALU_DEP_3)
	v_cndmask_b32_e64 v50, v51, v50, s13
	v_cndmask_b32_e64 v48, v49, v48, s13
	v_and_b32_e32 v49, 0x80000000, v101
	s_delay_alu instid0(VALU_DEP_3) | instskip(NEXT) | instid1(VALU_DEP_3)
	v_lshl_add_u32 v50, v50, 23, 0x3b800000
	v_lshlrev_b32_e32 v48, 20, v48
	s_delay_alu instid0(VALU_DEP_1)
	v_or3_b32 v49, v49, v50, v48
.LBB6_7886:                             ;   in Loop: Header=BB6_7654 Depth=3
	s_or_b32 exec_lo, exec_lo, s30
	s_delay_alu instid0(VALU_DEP_1) | instskip(NEXT) | instid1(VALU_DEP_1)
	v_add_f32_e32 v48, v39, v49
	v_and_b32_e32 v39, 0x7f800000, v48
	s_delay_alu instid0(VALU_DEP_1) | instskip(SKIP_1) | instid1(VALU_DEP_2)
	v_cmp_ne_u32_e64 s13, 0x7f800000, v39
	v_mov_b32_e32 v39, 0x80
	s_and_saveexec_b32 s30, s13
	s_cbranch_execz .LBB6_7894
; %bb.7887:                             ;   in Loop: Header=BB6_7654 Depth=3
	v_mov_b32_e32 v39, 0
	s_mov_b32 s31, exec_lo
	v_cmpx_ne_u32_e32 0, v48
	s_cbranch_execz .LBB6_7893
; %bb.7888:                             ;   in Loop: Header=BB6_7654 Depth=3
	v_bfe_u32 v39, v48, 23, 8
	v_and_b32_e32 v49, 0x7fffff, v48
	s_delay_alu instid0(VALU_DEP_2) | instskip(SKIP_1) | instid1(VALU_DEP_3)
	v_sub_nc_u32_e32 v50, 0x78, v39
	v_cmp_gt_u32_e64 s13, 0x79, v39
	v_or_b32_e32 v51, 0x800000, v49
	s_delay_alu instid0(VALU_DEP_2) | instskip(SKIP_2) | instid1(VALU_DEP_2)
	v_cndmask_b32_e64 v50, 0, v50, s13
	v_cmp_eq_u32_e64 s13, 0, v39
	v_add_nc_u32_e32 v39, 0xffffff89, v39
	v_cndmask_b32_e64 v50, v50, 0x77, s13
	v_cndmask_b32_e64 v49, v51, v49, s13
	s_delay_alu instid0(VALU_DEP_3) | instskip(NEXT) | instid1(VALU_DEP_3)
	v_cndmask_b32_e64 v39, v39, 0xffffff8a, s13
	v_lshl_add_u32 v51, 0x100000, v50, -1
	s_delay_alu instid0(VALU_DEP_3) | instskip(SKIP_1) | instid1(VALU_DEP_4)
	v_lshrrev_b32_e32 v101, v50, v49
	v_lshlrev_b32_e64 v112, v50, 0x80000
	v_add_nc_u32_e32 v50, v50, v39
	s_delay_alu instid0(VALU_DEP_4) | instskip(NEXT) | instid1(VALU_DEP_4)
	v_and_b32_e32 v49, v51, v49
	v_bfe_u32 v102, v101, 20, 1
	s_delay_alu instid0(VALU_DEP_2) | instskip(NEXT) | instid1(VALU_DEP_2)
	v_cmp_eq_u32_e64 s14, v49, v112
	v_add_nc_u32_e32 v51, -1, v102
	s_delay_alu instid0(VALU_DEP_1) | instskip(SKIP_2) | instid1(VALU_DEP_2)
	v_cndmask_b32_e64 v49, 0, v51, s14
	v_lshrrev_b32_e32 v51, 23, v101
	s_mov_b32 s14, exec_lo
	v_add_nc_u32_e32 v49, v49, v101
	s_delay_alu instid0(VALU_DEP_2) | instskip(NEXT) | instid1(VALU_DEP_2)
	v_xor_b32_e32 v51, 1, v51
	v_and_b32_e32 v39, 0xfffff, v49
	s_delay_alu instid0(VALU_DEP_1) | instskip(NEXT) | instid1(VALU_DEP_3)
	v_add_nc_u32_e32 v49, v39, v101
                                        ; implicit-def: $vgpr39
	v_cmpx_ne_u32_e64 v50, v51
	s_xor_b32 s14, exec_lo, s14
; %bb.7889:                             ;   in Loop: Header=BB6_7654 Depth=3
	s_delay_alu instid0(VALU_DEP_2) | instskip(SKIP_1) | instid1(VALU_DEP_2)
	v_cmp_lt_u32_e64 s13, 0xffffff, v49
	v_sub_nc_u32_e32 v39, v50, v51
	v_cndmask_b32_e64 v50, 0, 1, s13
	s_delay_alu instid0(VALU_DEP_2) | instskip(NEXT) | instid1(VALU_DEP_2)
	v_add_co_ci_u32_e64 v39, s13, 0, v39, s13
	v_lshrrev_b32_e32 v49, v50, v49
; %bb.7890:                             ;   in Loop: Header=BB6_7654 Depth=3
	s_and_not1_saveexec_b32 s13, s14
; %bb.7891:                             ;   in Loop: Header=BB6_7654 Depth=3
	s_delay_alu instid0(VALU_DEP_1)
	v_bfe_u32 v39, v49, 23, 1
; %bb.7892:                             ;   in Loop: Header=BB6_7654 Depth=3
	s_or_b32 exec_lo, exec_lo, s13
	v_lshrrev_b32_e32 v49, 20, v49
	s_delay_alu instid0(VALU_DEP_2) | instskip(SKIP_2) | instid1(VALU_DEP_3)
	v_min_i32_e32 v50, 15, v39
	v_cmp_gt_i32_e64 s13, 16, v39
	v_lshrrev_b32_e32 v48, 24, v48
	v_lshlrev_b32_e32 v50, 3, v50
	s_delay_alu instid0(VALU_DEP_3) | instskip(NEXT) | instid1(VALU_DEP_3)
	v_cndmask_b32_e64 v49, 7, v49, s13
	v_and_b32_e32 v48, 0x80, v48
	s_delay_alu instid0(VALU_DEP_3) | instskip(NEXT) | instid1(VALU_DEP_3)
	v_and_b32_e32 v50, 0xf8, v50
	v_and_b32_e32 v51, 7, v49
	v_or_b32_e32 v39, v39, v49
	s_delay_alu instid0(VALU_DEP_2) | instskip(NEXT) | instid1(VALU_DEP_2)
	v_or3_b32 v48, v50, v48, v51
	v_cmp_ne_u32_e64 s13, 0, v39
	s_delay_alu instid0(VALU_DEP_1)
	v_cndmask_b32_e64 v39, 0, v48, s13
.LBB6_7893:                             ;   in Loop: Header=BB6_7654 Depth=3
	s_or_b32 exec_lo, exec_lo, s31
.LBB6_7894:                             ;   in Loop: Header=BB6_7654 Depth=3
	s_delay_alu instid0(SALU_CYCLE_1) | instskip(SKIP_3) | instid1(VALU_DEP_1)
	s_or_b32 exec_lo, exec_lo, s30
	v_lshrrev_b32_e32 v49, 24, v15
	s_mov_b32 s14, 0
	s_mov_b32 s31, exec_lo
                                        ; implicit-def: $sgpr30
	v_cmpx_lt_i16_e32 0x7f, v49
	s_xor_b32 s31, exec_lo, s31
	s_cbranch_execnz .LBB6_8028
; %bb.7895:                             ;   in Loop: Header=BB6_7654 Depth=3
	s_or_saveexec_b32 s31, s31
	v_mov_b32_e32 v48, s30
	s_xor_b32 exec_lo, exec_lo, s31
	s_cbranch_execnz .LBB6_8031
.LBB6_7896:                             ;   in Loop: Header=BB6_7654 Depth=3
	s_or_b32 exec_lo, exec_lo, s31
	s_and_saveexec_b32 s30, s14
	s_cbranch_execz .LBB6_7898
.LBB6_7897:                             ;   in Loop: Header=BB6_7654 Depth=3
	v_bfe_u32 v48, v15, 24, 3
	s_delay_alu instid0(VALU_DEP_1) | instskip(NEXT) | instid1(VALU_DEP_1)
	v_clz_i32_u32_e32 v50, v48
	v_min_u32_e32 v50, 32, v50
	s_delay_alu instid0(VALU_DEP_1) | instskip(SKIP_1) | instid1(VALU_DEP_2)
	v_subrev_nc_u32_e32 v51, 28, v50
	v_sub_nc_u32_e32 v50, 29, v50
	v_lshlrev_b32_e32 v49, v51, v49
	v_bfe_u32 v51, v15, 27, 4
	v_and_b32_e32 v15, 0x80000000, v15
	s_delay_alu instid0(VALU_DEP_3) | instskip(NEXT) | instid1(VALU_DEP_3)
	v_and_b32_e32 v49, 7, v49
	v_cmp_eq_u32_e64 s13, 0, v51
	s_delay_alu instid0(VALU_DEP_1) | instskip(NEXT) | instid1(VALU_DEP_3)
	v_cndmask_b32_e64 v50, v51, v50, s13
	v_cndmask_b32_e64 v48, v48, v49, s13
	s_delay_alu instid0(VALU_DEP_2) | instskip(NEXT) | instid1(VALU_DEP_2)
	v_lshl_add_u32 v49, v50, 23, 0x3b800000
	v_lshlrev_b32_e32 v48, 20, v48
	s_delay_alu instid0(VALU_DEP_1)
	v_or3_b32 v48, v15, v49, v48
.LBB6_7898:                             ;   in Loop: Header=BB6_7654 Depth=3
	s_or_b32 exec_lo, exec_lo, s30
	v_lshrrev_b32_e32 v15, 24, v11
	s_mov_b32 s14, 0
	s_mov_b32 s31, exec_lo
                                        ; implicit-def: $sgpr30
	s_delay_alu instid0(VALU_DEP_1)
	v_cmpx_lt_i16_e32 0x7f, v15
	s_xor_b32 s31, exec_lo, s31
	s_cbranch_execnz .LBB6_8032
; %bb.7899:                             ;   in Loop: Header=BB6_7654 Depth=3
	s_or_saveexec_b32 s31, s31
	v_mov_b32_e32 v49, s30
	s_xor_b32 exec_lo, exec_lo, s31
	s_cbranch_execnz .LBB6_8035
.LBB6_7900:                             ;   in Loop: Header=BB6_7654 Depth=3
	s_or_b32 exec_lo, exec_lo, s31
	s_and_saveexec_b32 s30, s14
	s_cbranch_execz .LBB6_7902
.LBB6_7901:                             ;   in Loop: Header=BB6_7654 Depth=3
	v_bfe_u32 v49, v11, 24, 3
	s_delay_alu instid0(VALU_DEP_1) | instskip(NEXT) | instid1(VALU_DEP_1)
	v_clz_i32_u32_e32 v50, v49
	v_min_u32_e32 v50, 32, v50
	s_delay_alu instid0(VALU_DEP_1) | instskip(SKIP_1) | instid1(VALU_DEP_2)
	v_subrev_nc_u32_e32 v51, 28, v50
	v_sub_nc_u32_e32 v50, 29, v50
	v_lshlrev_b32_e32 v15, v51, v15
	v_bfe_u32 v51, v11, 27, 4
	v_and_b32_e32 v11, 0x80000000, v11
	s_delay_alu instid0(VALU_DEP_3) | instskip(NEXT) | instid1(VALU_DEP_3)
	v_and_b32_e32 v15, 7, v15
	v_cmp_eq_u32_e64 s13, 0, v51
	s_delay_alu instid0(VALU_DEP_1) | instskip(NEXT) | instid1(VALU_DEP_3)
	v_cndmask_b32_e64 v50, v51, v50, s13
	v_cndmask_b32_e64 v15, v49, v15, s13
	s_delay_alu instid0(VALU_DEP_2) | instskip(NEXT) | instid1(VALU_DEP_2)
	v_lshl_add_u32 v49, v50, 23, 0x3b800000
	v_lshlrev_b32_e32 v15, 20, v15
	s_delay_alu instid0(VALU_DEP_1)
	v_or3_b32 v49, v11, v49, v15
.LBB6_7902:                             ;   in Loop: Header=BB6_7654 Depth=3
	s_or_b32 exec_lo, exec_lo, s30
	s_delay_alu instid0(VALU_DEP_1) | instskip(NEXT) | instid1(VALU_DEP_1)
	v_add_f32_e32 v11, v48, v49
	v_and_b32_e32 v15, 0x7f800000, v11
	s_delay_alu instid0(VALU_DEP_1) | instskip(SKIP_1) | instid1(VALU_DEP_2)
	v_cmp_ne_u32_e64 s13, 0x7f800000, v15
	v_mov_b32_e32 v15, 0x8000
	s_and_saveexec_b32 s30, s13
	s_cbranch_execz .LBB6_7653
; %bb.7903:                             ;   in Loop: Header=BB6_7654 Depth=3
	v_mov_b32_e32 v15, 0
	s_mov_b32 s31, exec_lo
	v_cmpx_ne_u32_e32 0, v11
	s_cbranch_execz .LBB6_7652
; %bb.7904:                             ;   in Loop: Header=BB6_7654 Depth=3
	v_bfe_u32 v15, v11, 23, 8
	v_and_b32_e32 v48, 0x7fffff, v11
	s_delay_alu instid0(VALU_DEP_2) | instskip(SKIP_1) | instid1(VALU_DEP_3)
	v_sub_nc_u32_e32 v49, 0x78, v15
	v_cmp_gt_u32_e64 s13, 0x79, v15
	v_or_b32_e32 v50, 0x800000, v48
	s_delay_alu instid0(VALU_DEP_2) | instskip(SKIP_2) | instid1(VALU_DEP_2)
	v_cndmask_b32_e64 v49, 0, v49, s13
	v_cmp_eq_u32_e64 s13, 0, v15
	v_add_nc_u32_e32 v15, 0xffffff89, v15
	v_cndmask_b32_e64 v49, v49, 0x77, s13
	v_cndmask_b32_e64 v48, v50, v48, s13
	s_delay_alu instid0(VALU_DEP_3) | instskip(NEXT) | instid1(VALU_DEP_3)
	v_cndmask_b32_e64 v15, v15, 0xffffff8a, s13
	v_lshl_add_u32 v50, 0x100000, v49, -1
	s_delay_alu instid0(VALU_DEP_3) | instskip(SKIP_1) | instid1(VALU_DEP_4)
	v_lshrrev_b32_e32 v51, v49, v48
	v_lshlrev_b32_e64 v102, v49, 0x80000
	v_add_nc_u32_e32 v49, v49, v15
	s_delay_alu instid0(VALU_DEP_4) | instskip(NEXT) | instid1(VALU_DEP_4)
	v_and_b32_e32 v48, v50, v48
	v_bfe_u32 v101, v51, 20, 1
	s_delay_alu instid0(VALU_DEP_2) | instskip(NEXT) | instid1(VALU_DEP_2)
	v_cmp_eq_u32_e64 s14, v48, v102
	v_add_nc_u32_e32 v50, -1, v101
	s_delay_alu instid0(VALU_DEP_1) | instskip(SKIP_2) | instid1(VALU_DEP_2)
	v_cndmask_b32_e64 v48, 0, v50, s14
	v_lshrrev_b32_e32 v50, 23, v51
	s_mov_b32 s14, exec_lo
	v_add_nc_u32_e32 v48, v48, v51
	s_delay_alu instid0(VALU_DEP_2) | instskip(NEXT) | instid1(VALU_DEP_2)
	v_xor_b32_e32 v50, 1, v50
	v_and_b32_e32 v15, 0xfffff, v48
	s_delay_alu instid0(VALU_DEP_1) | instskip(NEXT) | instid1(VALU_DEP_3)
	v_add_nc_u32_e32 v48, v15, v51
                                        ; implicit-def: $vgpr15
	v_cmpx_ne_u32_e64 v49, v50
	s_xor_b32 s14, exec_lo, s14
; %bb.7905:                             ;   in Loop: Header=BB6_7654 Depth=3
	s_delay_alu instid0(VALU_DEP_2) | instskip(SKIP_1) | instid1(VALU_DEP_2)
	v_cmp_lt_u32_e64 s13, 0xffffff, v48
	v_sub_nc_u32_e32 v15, v49, v50
	v_cndmask_b32_e64 v49, 0, 1, s13
	s_delay_alu instid0(VALU_DEP_2) | instskip(NEXT) | instid1(VALU_DEP_2)
	v_add_co_ci_u32_e64 v15, s13, 0, v15, s13
	v_lshrrev_b32_e32 v48, v49, v48
; %bb.7906:                             ;   in Loop: Header=BB6_7654 Depth=3
	s_and_not1_saveexec_b32 s13, s14
	s_cbranch_execz .LBB6_7651
; %bb.7907:                             ;   in Loop: Header=BB6_7654 Depth=3
	s_delay_alu instid0(VALU_DEP_1)
	v_bfe_u32 v15, v48, 23, 1
	s_branch .LBB6_7651
.LBB6_7908:                             ;   in Loop: Header=BB6_7654 Depth=3
	s_mov_b32 s14, -1
	s_mov_b32 s34, exec_lo
                                        ; implicit-def: $sgpr30
	v_cmpx_eq_u16_e32 0x80, v32
; %bb.7909:                             ;   in Loop: Header=BB6_7654 Depth=3
	s_mov_b32 s30, 0x7f800001
	s_xor_b32 s14, exec_lo, -1
; %bb.7910:                             ;   in Loop: Header=BB6_7654 Depth=3
	s_or_b32 exec_lo, exec_lo, s34
	s_delay_alu instid0(SALU_CYCLE_1)
	s_and_b32 s14, s14, exec_lo
                                        ; implicit-def: $vgpr32
	s_or_saveexec_b32 s31, s31
	v_mov_b32_e32 v27, s30
	s_xor_b32 exec_lo, exec_lo, s31
	s_cbranch_execz .LBB6_7656
.LBB6_7911:                             ;   in Loop: Header=BB6_7654 Depth=3
	v_cmp_ne_u16_e64 s13, 0, v32
	v_mov_b32_e32 v27, 0
	s_and_not1_b32 s14, s14, exec_lo
	s_delay_alu instid0(VALU_DEP_2) | instskip(NEXT) | instid1(SALU_CYCLE_1)
	s_and_b32 s13, s13, exec_lo
	s_or_b32 s14, s14, s13
	s_or_b32 exec_lo, exec_lo, s31
	s_and_saveexec_b32 s30, s14
	s_cbranch_execnz .LBB6_7657
	s_branch .LBB6_7658
.LBB6_7912:                             ;   in Loop: Header=BB6_7654 Depth=3
	s_mov_b32 s14, -1
	s_mov_b32 s34, exec_lo
                                        ; implicit-def: $sgpr30
	v_cmpx_eq_u16_e32 0x80, v33
; %bb.7913:                             ;   in Loop: Header=BB6_7654 Depth=3
	s_mov_b32 s30, 0x7f800001
	s_xor_b32 s14, exec_lo, -1
; %bb.7914:                             ;   in Loop: Header=BB6_7654 Depth=3
	s_or_b32 exec_lo, exec_lo, s34
	s_delay_alu instid0(SALU_CYCLE_1)
	s_and_b32 s14, s14, exec_lo
                                        ; implicit-def: $vgpr33
	s_or_saveexec_b32 s31, s31
	v_mov_b32_e32 v32, s30
	s_xor_b32 exec_lo, exec_lo, s31
	s_cbranch_execz .LBB6_7660
.LBB6_7915:                             ;   in Loop: Header=BB6_7654 Depth=3
	v_cmp_ne_u16_e64 s13, 0, v33
	v_mov_b32_e32 v32, 0
	s_and_not1_b32 s14, s14, exec_lo
	s_delay_alu instid0(VALU_DEP_2) | instskip(NEXT) | instid1(SALU_CYCLE_1)
	s_and_b32 s13, s13, exec_lo
	s_or_b32 s14, s14, s13
	s_or_b32 exec_lo, exec_lo, s31
	s_and_saveexec_b32 s30, s14
	s_cbranch_execnz .LBB6_7661
	s_branch .LBB6_7662
.LBB6_7916:                             ;   in Loop: Header=BB6_7654 Depth=3
	s_mov_b32 s14, -1
	s_mov_b32 s34, exec_lo
                                        ; implicit-def: $sgpr30
	v_cmpx_eq_u16_e32 0x80, v33
; %bb.7917:                             ;   in Loop: Header=BB6_7654 Depth=3
	s_mov_b32 s30, 0x7f800001
	s_xor_b32 s14, exec_lo, -1
; %bb.7918:                             ;   in Loop: Header=BB6_7654 Depth=3
	s_or_b32 exec_lo, exec_lo, s34
	s_delay_alu instid0(SALU_CYCLE_1)
	s_and_b32 s14, s14, exec_lo
	s_or_saveexec_b32 s31, s31
	v_mov_b32_e32 v32, s30
	s_xor_b32 exec_lo, exec_lo, s31
	s_cbranch_execz .LBB6_7672
.LBB6_7919:                             ;   in Loop: Header=BB6_7654 Depth=3
	v_cmp_ne_u16_e64 s13, 0, v33
	v_mov_b32_e32 v32, 0
	s_and_not1_b32 s14, s14, exec_lo
	s_delay_alu instid0(VALU_DEP_2) | instskip(NEXT) | instid1(SALU_CYCLE_1)
	s_and_b32 s13, s13, exec_lo
	s_or_b32 s14, s14, s13
	s_or_b32 exec_lo, exec_lo, s31
	s_and_saveexec_b32 s30, s14
	s_cbranch_execnz .LBB6_7673
	s_branch .LBB6_7674
.LBB6_7920:                             ;   in Loop: Header=BB6_7654 Depth=3
	s_mov_b32 s14, -1
	s_mov_b32 s34, exec_lo
                                        ; implicit-def: $sgpr30
	v_cmpx_eq_u16_e32 0x80, v33
; %bb.7921:                             ;   in Loop: Header=BB6_7654 Depth=3
	s_mov_b32 s30, 0x7f800001
	s_xor_b32 s14, exec_lo, -1
; %bb.7922:                             ;   in Loop: Header=BB6_7654 Depth=3
	s_or_b32 exec_lo, exec_lo, s34
	s_delay_alu instid0(SALU_CYCLE_1)
	s_and_b32 s14, s14, exec_lo
	s_or_saveexec_b32 s31, s31
	v_mov_b32_e32 v34, s30
	s_xor_b32 exec_lo, exec_lo, s31
	s_cbranch_execz .LBB6_7676
.LBB6_7923:                             ;   in Loop: Header=BB6_7654 Depth=3
	v_cmp_ne_u16_e64 s13, 0, v33
	v_mov_b32_e32 v34, 0
	s_and_not1_b32 s14, s14, exec_lo
	s_delay_alu instid0(VALU_DEP_2) | instskip(NEXT) | instid1(SALU_CYCLE_1)
	s_and_b32 s13, s13, exec_lo
	s_or_b32 s14, s14, s13
	s_or_b32 exec_lo, exec_lo, s31
	s_and_saveexec_b32 s30, s14
	s_cbranch_execnz .LBB6_7677
	s_branch .LBB6_7678
.LBB6_7924:                             ;   in Loop: Header=BB6_7654 Depth=3
	s_mov_b32 s14, -1
	s_mov_b32 s34, exec_lo
                                        ; implicit-def: $sgpr30
	v_cmpx_eq_u16_e32 0x80, v35
; %bb.7925:                             ;   in Loop: Header=BB6_7654 Depth=3
	s_mov_b32 s30, 0x7f800001
	s_xor_b32 s14, exec_lo, -1
; %bb.7926:                             ;   in Loop: Header=BB6_7654 Depth=3
	s_or_b32 exec_lo, exec_lo, s34
	s_delay_alu instid0(SALU_CYCLE_1)
	s_and_b32 s14, s14, exec_lo
                                        ; implicit-def: $vgpr35
	s_or_saveexec_b32 s31, s31
	v_mov_b32_e32 v33, s30
	s_xor_b32 exec_lo, exec_lo, s31
	s_cbranch_execz .LBB6_7688
.LBB6_7927:                             ;   in Loop: Header=BB6_7654 Depth=3
	v_cmp_ne_u16_e64 s13, 0, v35
	v_mov_b32_e32 v33, 0
	s_and_not1_b32 s14, s14, exec_lo
	s_delay_alu instid0(VALU_DEP_2) | instskip(NEXT) | instid1(SALU_CYCLE_1)
	s_and_b32 s13, s13, exec_lo
	s_or_b32 s14, s14, s13
	s_or_b32 exec_lo, exec_lo, s31
	s_and_saveexec_b32 s30, s14
	s_cbranch_execnz .LBB6_7689
	s_branch .LBB6_7690
.LBB6_7928:                             ;   in Loop: Header=BB6_7654 Depth=3
	s_mov_b32 s14, -1
	s_mov_b32 s34, exec_lo
                                        ; implicit-def: $sgpr30
	v_cmpx_eq_u16_e32 0x80, v36
; %bb.7929:                             ;   in Loop: Header=BB6_7654 Depth=3
	s_mov_b32 s30, 0x7f800001
	s_xor_b32 s14, exec_lo, -1
; %bb.7930:                             ;   in Loop: Header=BB6_7654 Depth=3
	s_or_b32 exec_lo, exec_lo, s34
	s_delay_alu instid0(SALU_CYCLE_1)
	s_and_b32 s14, s14, exec_lo
                                        ; implicit-def: $vgpr36
	s_or_saveexec_b32 s31, s31
	v_mov_b32_e32 v35, s30
	s_xor_b32 exec_lo, exec_lo, s31
	s_cbranch_execz .LBB6_7692
.LBB6_7931:                             ;   in Loop: Header=BB6_7654 Depth=3
	v_cmp_ne_u16_e64 s13, 0, v36
	v_mov_b32_e32 v35, 0
	s_and_not1_b32 s14, s14, exec_lo
	s_delay_alu instid0(VALU_DEP_2) | instskip(NEXT) | instid1(SALU_CYCLE_1)
	s_and_b32 s13, s13, exec_lo
	s_or_b32 s14, s14, s13
	s_or_b32 exec_lo, exec_lo, s31
	s_and_saveexec_b32 s30, s14
	s_cbranch_execnz .LBB6_7693
	s_branch .LBB6_7694
.LBB6_7932:                             ;   in Loop: Header=BB6_7654 Depth=3
	s_mov_b32 s14, -1
	s_mov_b32 s34, exec_lo
                                        ; implicit-def: $sgpr30
	v_cmpx_eq_u16_e32 0x80, v35
; %bb.7933:                             ;   in Loop: Header=BB6_7654 Depth=3
	s_mov_b32 s30, 0x7f800001
	s_xor_b32 s14, exec_lo, -1
; %bb.7934:                             ;   in Loop: Header=BB6_7654 Depth=3
	s_or_b32 exec_lo, exec_lo, s34
	s_delay_alu instid0(SALU_CYCLE_1)
	s_and_b32 s14, s14, exec_lo
	s_or_saveexec_b32 s31, s31
	v_mov_b32_e32 v34, s30
	s_xor_b32 exec_lo, exec_lo, s31
	s_cbranch_execz .LBB6_7704
.LBB6_7935:                             ;   in Loop: Header=BB6_7654 Depth=3
	v_cmp_ne_u16_e64 s13, 0, v35
	v_mov_b32_e32 v34, 0
	s_and_not1_b32 s14, s14, exec_lo
	s_delay_alu instid0(VALU_DEP_2) | instskip(NEXT) | instid1(SALU_CYCLE_1)
	s_and_b32 s13, s13, exec_lo
	s_or_b32 s14, s14, s13
	s_or_b32 exec_lo, exec_lo, s31
	s_and_saveexec_b32 s30, s14
	s_cbranch_execnz .LBB6_7705
	s_branch .LBB6_7706
.LBB6_7936:                             ;   in Loop: Header=BB6_7654 Depth=3
	s_mov_b32 s14, -1
	s_mov_b32 s34, exec_lo
                                        ; implicit-def: $sgpr30
	v_cmpx_eq_u16_e32 0x80, v12
; %bb.7937:                             ;   in Loop: Header=BB6_7654 Depth=3
	s_mov_b32 s30, 0x7f800001
	s_xor_b32 s14, exec_lo, -1
; %bb.7938:                             ;   in Loop: Header=BB6_7654 Depth=3
	s_or_b32 exec_lo, exec_lo, s34
	s_delay_alu instid0(SALU_CYCLE_1)
	s_and_b32 s14, s14, exec_lo
	s_or_saveexec_b32 s31, s31
	v_mov_b32_e32 v35, s30
	s_xor_b32 exec_lo, exec_lo, s31
	s_cbranch_execz .LBB6_7708
.LBB6_7939:                             ;   in Loop: Header=BB6_7654 Depth=3
	v_cmp_ne_u16_e64 s13, 0, v12
	v_mov_b32_e32 v35, 0
	s_and_not1_b32 s14, s14, exec_lo
	s_delay_alu instid0(VALU_DEP_2) | instskip(NEXT) | instid1(SALU_CYCLE_1)
	s_and_b32 s13, s13, exec_lo
	s_or_b32 s14, s14, s13
	s_or_b32 exec_lo, exec_lo, s31
	s_and_saveexec_b32 s30, s14
	s_cbranch_execnz .LBB6_7709
	s_branch .LBB6_7710
.LBB6_7940:                             ;   in Loop: Header=BB6_7654 Depth=3
	s_mov_b32 s14, -1
	s_mov_b32 s34, exec_lo
                                        ; implicit-def: $sgpr30
	v_cmpx_eq_u16_e32 0x80, v34
; %bb.7941:                             ;   in Loop: Header=BB6_7654 Depth=3
	s_mov_b32 s30, 0x7f800001
	s_xor_b32 s14, exec_lo, -1
; %bb.7942:                             ;   in Loop: Header=BB6_7654 Depth=3
	s_or_b32 exec_lo, exec_lo, s34
	s_delay_alu instid0(SALU_CYCLE_1)
	s_and_b32 s14, s14, exec_lo
                                        ; implicit-def: $vgpr34
	s_or_saveexec_b32 s31, s31
	v_mov_b32_e32 v12, s30
	s_xor_b32 exec_lo, exec_lo, s31
	s_cbranch_execz .LBB6_7720
.LBB6_7943:                             ;   in Loop: Header=BB6_7654 Depth=3
	v_cmp_ne_u16_e64 s13, 0, v34
	v_mov_b32_e32 v12, 0
	s_and_not1_b32 s14, s14, exec_lo
	s_delay_alu instid0(VALU_DEP_2) | instskip(NEXT) | instid1(SALU_CYCLE_1)
	s_and_b32 s13, s13, exec_lo
	s_or_b32 s14, s14, s13
	s_or_b32 exec_lo, exec_lo, s31
	s_and_saveexec_b32 s30, s14
	s_cbranch_execnz .LBB6_7721
	s_branch .LBB6_7722
.LBB6_7944:                             ;   in Loop: Header=BB6_7654 Depth=3
	s_mov_b32 s14, -1
	s_mov_b32 s34, exec_lo
                                        ; implicit-def: $sgpr30
	v_cmpx_eq_u16_e32 0x80, v35
; %bb.7945:                             ;   in Loop: Header=BB6_7654 Depth=3
	s_mov_b32 s30, 0x7f800001
	s_xor_b32 s14, exec_lo, -1
; %bb.7946:                             ;   in Loop: Header=BB6_7654 Depth=3
	s_or_b32 exec_lo, exec_lo, s34
	s_delay_alu instid0(SALU_CYCLE_1)
	s_and_b32 s14, s14, exec_lo
                                        ; implicit-def: $vgpr35
	s_or_saveexec_b32 s31, s31
	v_mov_b32_e32 v34, s30
	s_xor_b32 exec_lo, exec_lo, s31
	s_cbranch_execz .LBB6_7724
.LBB6_7947:                             ;   in Loop: Header=BB6_7654 Depth=3
	v_cmp_ne_u16_e64 s13, 0, v35
	v_mov_b32_e32 v34, 0
	s_and_not1_b32 s14, s14, exec_lo
	s_delay_alu instid0(VALU_DEP_2) | instskip(NEXT) | instid1(SALU_CYCLE_1)
	s_and_b32 s13, s13, exec_lo
	s_or_b32 s14, s14, s13
	s_or_b32 exec_lo, exec_lo, s31
	s_and_saveexec_b32 s30, s14
	s_cbranch_execnz .LBB6_7725
	s_branch .LBB6_7726
.LBB6_7948:                             ;   in Loop: Header=BB6_7654 Depth=3
	s_mov_b32 s14, -1
	s_mov_b32 s34, exec_lo
                                        ; implicit-def: $sgpr30
	v_cmpx_eq_u16_e32 0x80, v35
; %bb.7949:                             ;   in Loop: Header=BB6_7654 Depth=3
	s_mov_b32 s30, 0x7f800001
	s_xor_b32 s14, exec_lo, -1
; %bb.7950:                             ;   in Loop: Header=BB6_7654 Depth=3
	s_or_b32 exec_lo, exec_lo, s34
	s_delay_alu instid0(SALU_CYCLE_1)
	s_and_b32 s14, s14, exec_lo
	s_or_saveexec_b32 s31, s31
	v_mov_b32_e32 v34, s30
	s_xor_b32 exec_lo, exec_lo, s31
	s_cbranch_execz .LBB6_7736
.LBB6_7951:                             ;   in Loop: Header=BB6_7654 Depth=3
	v_cmp_ne_u16_e64 s13, 0, v35
	v_mov_b32_e32 v34, 0
	s_and_not1_b32 s14, s14, exec_lo
	s_delay_alu instid0(VALU_DEP_2) | instskip(NEXT) | instid1(SALU_CYCLE_1)
	s_and_b32 s13, s13, exec_lo
	s_or_b32 s14, s14, s13
	s_or_b32 exec_lo, exec_lo, s31
	s_and_saveexec_b32 s30, s14
	s_cbranch_execnz .LBB6_7737
	s_branch .LBB6_7738
.LBB6_7952:                             ;   in Loop: Header=BB6_7654 Depth=3
	s_mov_b32 s14, -1
	s_mov_b32 s34, exec_lo
                                        ; implicit-def: $sgpr30
	v_cmpx_eq_u16_e32 0x80, v35
; %bb.7953:                             ;   in Loop: Header=BB6_7654 Depth=3
	s_mov_b32 s30, 0x7f800001
	s_xor_b32 s14, exec_lo, -1
; %bb.7954:                             ;   in Loop: Header=BB6_7654 Depth=3
	s_or_b32 exec_lo, exec_lo, s34
	s_delay_alu instid0(SALU_CYCLE_1)
	s_and_b32 s14, s14, exec_lo
	s_or_saveexec_b32 s31, s31
	v_mov_b32_e32 v36, s30
	s_xor_b32 exec_lo, exec_lo, s31
	s_cbranch_execz .LBB6_7740
.LBB6_7955:                             ;   in Loop: Header=BB6_7654 Depth=3
	v_cmp_ne_u16_e64 s13, 0, v35
	v_mov_b32_e32 v36, 0
	s_and_not1_b32 s14, s14, exec_lo
	s_delay_alu instid0(VALU_DEP_2) | instskip(NEXT) | instid1(SALU_CYCLE_1)
	s_and_b32 s13, s13, exec_lo
	s_or_b32 s14, s14, s13
	s_or_b32 exec_lo, exec_lo, s31
	s_and_saveexec_b32 s30, s14
	s_cbranch_execnz .LBB6_7741
	s_branch .LBB6_7742
.LBB6_7956:                             ;   in Loop: Header=BB6_7654 Depth=3
	s_mov_b32 s14, -1
	s_mov_b32 s34, exec_lo
                                        ; implicit-def: $sgpr30
	v_cmpx_eq_u16_e32 0x80, v37
; %bb.7957:                             ;   in Loop: Header=BB6_7654 Depth=3
	s_mov_b32 s30, 0x7f800001
	s_xor_b32 s14, exec_lo, -1
; %bb.7958:                             ;   in Loop: Header=BB6_7654 Depth=3
	s_or_b32 exec_lo, exec_lo, s34
	s_delay_alu instid0(SALU_CYCLE_1)
	s_and_b32 s14, s14, exec_lo
                                        ; implicit-def: $vgpr37
	s_or_saveexec_b32 s31, s31
	v_mov_b32_e32 v35, s30
	s_xor_b32 exec_lo, exec_lo, s31
	s_cbranch_execz .LBB6_7752
.LBB6_7959:                             ;   in Loop: Header=BB6_7654 Depth=3
	v_cmp_ne_u16_e64 s13, 0, v37
	v_mov_b32_e32 v35, 0
	s_and_not1_b32 s14, s14, exec_lo
	s_delay_alu instid0(VALU_DEP_2) | instskip(NEXT) | instid1(SALU_CYCLE_1)
	s_and_b32 s13, s13, exec_lo
	s_or_b32 s14, s14, s13
	s_or_b32 exec_lo, exec_lo, s31
	s_and_saveexec_b32 s30, s14
	s_cbranch_execnz .LBB6_7753
	s_branch .LBB6_7754
.LBB6_7960:                             ;   in Loop: Header=BB6_7654 Depth=3
	s_mov_b32 s14, -1
	s_mov_b32 s34, exec_lo
                                        ; implicit-def: $sgpr30
	v_cmpx_eq_u16_e32 0x80, v38
; %bb.7961:                             ;   in Loop: Header=BB6_7654 Depth=3
	s_mov_b32 s30, 0x7f800001
	s_xor_b32 s14, exec_lo, -1
; %bb.7962:                             ;   in Loop: Header=BB6_7654 Depth=3
	s_or_b32 exec_lo, exec_lo, s34
	s_delay_alu instid0(SALU_CYCLE_1)
	s_and_b32 s14, s14, exec_lo
                                        ; implicit-def: $vgpr38
	s_or_saveexec_b32 s31, s31
	v_mov_b32_e32 v37, s30
	s_xor_b32 exec_lo, exec_lo, s31
	s_cbranch_execz .LBB6_7756
.LBB6_7963:                             ;   in Loop: Header=BB6_7654 Depth=3
	v_cmp_ne_u16_e64 s13, 0, v38
	v_mov_b32_e32 v37, 0
	s_and_not1_b32 s14, s14, exec_lo
	s_delay_alu instid0(VALU_DEP_2) | instskip(NEXT) | instid1(SALU_CYCLE_1)
	s_and_b32 s13, s13, exec_lo
	s_or_b32 s14, s14, s13
	s_or_b32 exec_lo, exec_lo, s31
	s_and_saveexec_b32 s30, s14
	s_cbranch_execnz .LBB6_7757
	s_branch .LBB6_7758
.LBB6_7964:                             ;   in Loop: Header=BB6_7654 Depth=3
	s_mov_b32 s14, -1
	s_mov_b32 s34, exec_lo
                                        ; implicit-def: $sgpr30
	v_cmpx_eq_u16_e32 0x80, v37
; %bb.7965:                             ;   in Loop: Header=BB6_7654 Depth=3
	s_mov_b32 s30, 0x7f800001
	s_xor_b32 s14, exec_lo, -1
; %bb.7966:                             ;   in Loop: Header=BB6_7654 Depth=3
	s_or_b32 exec_lo, exec_lo, s34
	s_delay_alu instid0(SALU_CYCLE_1)
	s_and_b32 s14, s14, exec_lo
	s_or_saveexec_b32 s31, s31
	v_mov_b32_e32 v36, s30
	s_xor_b32 exec_lo, exec_lo, s31
	s_cbranch_execz .LBB6_7768
.LBB6_7967:                             ;   in Loop: Header=BB6_7654 Depth=3
	v_cmp_ne_u16_e64 s13, 0, v37
	v_mov_b32_e32 v36, 0
	s_and_not1_b32 s14, s14, exec_lo
	s_delay_alu instid0(VALU_DEP_2) | instskip(NEXT) | instid1(SALU_CYCLE_1)
	s_and_b32 s13, s13, exec_lo
	s_or_b32 s14, s14, s13
	s_or_b32 exec_lo, exec_lo, s31
	s_and_saveexec_b32 s30, s14
	s_cbranch_execnz .LBB6_7769
	s_branch .LBB6_7770
.LBB6_7968:                             ;   in Loop: Header=BB6_7654 Depth=3
	s_mov_b32 s14, -1
	s_mov_b32 s34, exec_lo
                                        ; implicit-def: $sgpr30
	v_cmpx_eq_u16_e32 0x80, v13
; %bb.7969:                             ;   in Loop: Header=BB6_7654 Depth=3
	s_mov_b32 s30, 0x7f800001
	s_xor_b32 s14, exec_lo, -1
; %bb.7970:                             ;   in Loop: Header=BB6_7654 Depth=3
	s_or_b32 exec_lo, exec_lo, s34
	s_delay_alu instid0(SALU_CYCLE_1)
	s_and_b32 s14, s14, exec_lo
	s_or_saveexec_b32 s31, s31
	v_mov_b32_e32 v37, s30
	s_xor_b32 exec_lo, exec_lo, s31
	s_cbranch_execz .LBB6_7772
.LBB6_7971:                             ;   in Loop: Header=BB6_7654 Depth=3
	v_cmp_ne_u16_e64 s13, 0, v13
	v_mov_b32_e32 v37, 0
	s_and_not1_b32 s14, s14, exec_lo
	s_delay_alu instid0(VALU_DEP_2) | instskip(NEXT) | instid1(SALU_CYCLE_1)
	s_and_b32 s13, s13, exec_lo
	s_or_b32 s14, s14, s13
	s_or_b32 exec_lo, exec_lo, s31
	s_and_saveexec_b32 s30, s14
	s_cbranch_execnz .LBB6_7773
	s_branch .LBB6_7774
.LBB6_7972:                             ;   in Loop: Header=BB6_7654 Depth=3
	s_mov_b32 s14, -1
	s_mov_b32 s34, exec_lo
                                        ; implicit-def: $sgpr30
	v_cmpx_eq_u16_e32 0x80, v36
; %bb.7973:                             ;   in Loop: Header=BB6_7654 Depth=3
	s_mov_b32 s30, 0x7f800001
	s_xor_b32 s14, exec_lo, -1
; %bb.7974:                             ;   in Loop: Header=BB6_7654 Depth=3
	s_or_b32 exec_lo, exec_lo, s34
	s_delay_alu instid0(SALU_CYCLE_1)
	s_and_b32 s14, s14, exec_lo
                                        ; implicit-def: $vgpr36
	s_or_saveexec_b32 s31, s31
	v_mov_b32_e32 v13, s30
	s_xor_b32 exec_lo, exec_lo, s31
	s_cbranch_execz .LBB6_7784
.LBB6_7975:                             ;   in Loop: Header=BB6_7654 Depth=3
	v_cmp_ne_u16_e64 s13, 0, v36
	v_mov_b32_e32 v13, 0
	s_and_not1_b32 s14, s14, exec_lo
	s_delay_alu instid0(VALU_DEP_2) | instskip(NEXT) | instid1(SALU_CYCLE_1)
	s_and_b32 s13, s13, exec_lo
	s_or_b32 s14, s14, s13
	s_or_b32 exec_lo, exec_lo, s31
	s_and_saveexec_b32 s30, s14
	s_cbranch_execnz .LBB6_7785
	s_branch .LBB6_7786
.LBB6_7976:                             ;   in Loop: Header=BB6_7654 Depth=3
	s_mov_b32 s14, -1
	s_mov_b32 s34, exec_lo
                                        ; implicit-def: $sgpr30
	v_cmpx_eq_u16_e32 0x80, v37
; %bb.7977:                             ;   in Loop: Header=BB6_7654 Depth=3
	s_mov_b32 s30, 0x7f800001
	s_xor_b32 s14, exec_lo, -1
; %bb.7978:                             ;   in Loop: Header=BB6_7654 Depth=3
	s_or_b32 exec_lo, exec_lo, s34
	s_delay_alu instid0(SALU_CYCLE_1)
	s_and_b32 s14, s14, exec_lo
                                        ; implicit-def: $vgpr37
	s_or_saveexec_b32 s31, s31
	v_mov_b32_e32 v36, s30
	s_xor_b32 exec_lo, exec_lo, s31
	s_cbranch_execz .LBB6_7788
.LBB6_7979:                             ;   in Loop: Header=BB6_7654 Depth=3
	v_cmp_ne_u16_e64 s13, 0, v37
	v_mov_b32_e32 v36, 0
	s_and_not1_b32 s14, s14, exec_lo
	s_delay_alu instid0(VALU_DEP_2) | instskip(NEXT) | instid1(SALU_CYCLE_1)
	s_and_b32 s13, s13, exec_lo
	s_or_b32 s14, s14, s13
	s_or_b32 exec_lo, exec_lo, s31
	s_and_saveexec_b32 s30, s14
	s_cbranch_execnz .LBB6_7789
	s_branch .LBB6_7790
.LBB6_7980:                             ;   in Loop: Header=BB6_7654 Depth=3
	s_mov_b32 s14, -1
	s_mov_b32 s34, exec_lo
                                        ; implicit-def: $sgpr30
	v_cmpx_eq_u16_e32 0x80, v37
; %bb.7981:                             ;   in Loop: Header=BB6_7654 Depth=3
	s_mov_b32 s30, 0x7f800001
	s_xor_b32 s14, exec_lo, -1
; %bb.7982:                             ;   in Loop: Header=BB6_7654 Depth=3
	s_or_b32 exec_lo, exec_lo, s34
	s_delay_alu instid0(SALU_CYCLE_1)
	s_and_b32 s14, s14, exec_lo
	s_or_saveexec_b32 s31, s31
	v_mov_b32_e32 v36, s30
	s_xor_b32 exec_lo, exec_lo, s31
	s_cbranch_execz .LBB6_7800
.LBB6_7983:                             ;   in Loop: Header=BB6_7654 Depth=3
	v_cmp_ne_u16_e64 s13, 0, v37
	v_mov_b32_e32 v36, 0
	s_and_not1_b32 s14, s14, exec_lo
	s_delay_alu instid0(VALU_DEP_2) | instskip(NEXT) | instid1(SALU_CYCLE_1)
	s_and_b32 s13, s13, exec_lo
	s_or_b32 s14, s14, s13
	s_or_b32 exec_lo, exec_lo, s31
	s_and_saveexec_b32 s30, s14
	s_cbranch_execnz .LBB6_7801
	s_branch .LBB6_7802
.LBB6_7984:                             ;   in Loop: Header=BB6_7654 Depth=3
	s_mov_b32 s14, -1
	s_mov_b32 s34, exec_lo
                                        ; implicit-def: $sgpr30
	v_cmpx_eq_u16_e32 0x80, v37
; %bb.7985:                             ;   in Loop: Header=BB6_7654 Depth=3
	s_mov_b32 s30, 0x7f800001
	s_xor_b32 s14, exec_lo, -1
; %bb.7986:                             ;   in Loop: Header=BB6_7654 Depth=3
	s_or_b32 exec_lo, exec_lo, s34
	s_delay_alu instid0(SALU_CYCLE_1)
	s_and_b32 s14, s14, exec_lo
	s_or_saveexec_b32 s31, s31
	v_mov_b32_e32 v38, s30
	s_xor_b32 exec_lo, exec_lo, s31
	s_cbranch_execz .LBB6_7804
.LBB6_7987:                             ;   in Loop: Header=BB6_7654 Depth=3
	v_cmp_ne_u16_e64 s13, 0, v37
	v_mov_b32_e32 v38, 0
	s_and_not1_b32 s14, s14, exec_lo
	s_delay_alu instid0(VALU_DEP_2) | instskip(NEXT) | instid1(SALU_CYCLE_1)
	s_and_b32 s13, s13, exec_lo
	s_or_b32 s14, s14, s13
	s_or_b32 exec_lo, exec_lo, s31
	s_and_saveexec_b32 s30, s14
	s_cbranch_execnz .LBB6_7805
	s_branch .LBB6_7806
.LBB6_7988:                             ;   in Loop: Header=BB6_7654 Depth=3
	s_mov_b32 s14, -1
	s_mov_b32 s34, exec_lo
                                        ; implicit-def: $sgpr30
	v_cmpx_eq_u16_e32 0x80, v39
; %bb.7989:                             ;   in Loop: Header=BB6_7654 Depth=3
	s_mov_b32 s30, 0x7f800001
	s_xor_b32 s14, exec_lo, -1
; %bb.7990:                             ;   in Loop: Header=BB6_7654 Depth=3
	s_or_b32 exec_lo, exec_lo, s34
	s_delay_alu instid0(SALU_CYCLE_1)
	s_and_b32 s14, s14, exec_lo
                                        ; implicit-def: $vgpr39
	s_or_saveexec_b32 s31, s31
	v_mov_b32_e32 v37, s30
	s_xor_b32 exec_lo, exec_lo, s31
	s_cbranch_execz .LBB6_7816
.LBB6_7991:                             ;   in Loop: Header=BB6_7654 Depth=3
	v_cmp_ne_u16_e64 s13, 0, v39
	v_mov_b32_e32 v37, 0
	s_and_not1_b32 s14, s14, exec_lo
	s_delay_alu instid0(VALU_DEP_2) | instskip(NEXT) | instid1(SALU_CYCLE_1)
	s_and_b32 s13, s13, exec_lo
	s_or_b32 s14, s14, s13
	s_or_b32 exec_lo, exec_lo, s31
	s_and_saveexec_b32 s30, s14
	s_cbranch_execnz .LBB6_7817
	s_branch .LBB6_7818
.LBB6_7992:                             ;   in Loop: Header=BB6_7654 Depth=3
	s_mov_b32 s14, -1
	s_mov_b32 s34, exec_lo
                                        ; implicit-def: $sgpr30
	v_cmpx_eq_u16_e32 0x80, v48
; %bb.7993:                             ;   in Loop: Header=BB6_7654 Depth=3
	s_mov_b32 s30, 0x7f800001
	s_xor_b32 s14, exec_lo, -1
; %bb.7994:                             ;   in Loop: Header=BB6_7654 Depth=3
	s_or_b32 exec_lo, exec_lo, s34
	s_delay_alu instid0(SALU_CYCLE_1)
	s_and_b32 s14, s14, exec_lo
                                        ; implicit-def: $vgpr48
	s_or_saveexec_b32 s31, s31
	v_mov_b32_e32 v39, s30
	s_xor_b32 exec_lo, exec_lo, s31
	s_cbranch_execz .LBB6_7820
.LBB6_7995:                             ;   in Loop: Header=BB6_7654 Depth=3
	v_cmp_ne_u16_e64 s13, 0, v48
	v_mov_b32_e32 v39, 0
	s_and_not1_b32 s14, s14, exec_lo
	s_delay_alu instid0(VALU_DEP_2) | instskip(NEXT) | instid1(SALU_CYCLE_1)
	s_and_b32 s13, s13, exec_lo
	s_or_b32 s14, s14, s13
	s_or_b32 exec_lo, exec_lo, s31
	s_and_saveexec_b32 s30, s14
	s_cbranch_execnz .LBB6_7821
	s_branch .LBB6_7822
.LBB6_7996:                             ;   in Loop: Header=BB6_7654 Depth=3
	s_mov_b32 s14, -1
	s_mov_b32 s34, exec_lo
                                        ; implicit-def: $sgpr30
	v_cmpx_eq_u16_e32 0x80, v39
; %bb.7997:                             ;   in Loop: Header=BB6_7654 Depth=3
	s_mov_b32 s30, 0x7f800001
	s_xor_b32 s14, exec_lo, -1
; %bb.7998:                             ;   in Loop: Header=BB6_7654 Depth=3
	s_or_b32 exec_lo, exec_lo, s34
	s_delay_alu instid0(SALU_CYCLE_1)
	s_and_b32 s14, s14, exec_lo
	s_or_saveexec_b32 s31, s31
	v_mov_b32_e32 v38, s30
	s_xor_b32 exec_lo, exec_lo, s31
	s_cbranch_execz .LBB6_7832
.LBB6_7999:                             ;   in Loop: Header=BB6_7654 Depth=3
	v_cmp_ne_u16_e64 s13, 0, v39
	v_mov_b32_e32 v38, 0
	s_and_not1_b32 s14, s14, exec_lo
	s_delay_alu instid0(VALU_DEP_2) | instskip(NEXT) | instid1(SALU_CYCLE_1)
	s_and_b32 s13, s13, exec_lo
	s_or_b32 s14, s14, s13
	s_or_b32 exec_lo, exec_lo, s31
	s_and_saveexec_b32 s30, s14
	s_cbranch_execnz .LBB6_7833
	s_branch .LBB6_7834
.LBB6_8000:                             ;   in Loop: Header=BB6_7654 Depth=3
	s_mov_b32 s14, -1
	s_mov_b32 s34, exec_lo
                                        ; implicit-def: $sgpr30
	v_cmpx_eq_u16_e32 0x80, v14
; %bb.8001:                             ;   in Loop: Header=BB6_7654 Depth=3
	s_mov_b32 s30, 0x7f800001
	s_xor_b32 s14, exec_lo, -1
; %bb.8002:                             ;   in Loop: Header=BB6_7654 Depth=3
	s_or_b32 exec_lo, exec_lo, s34
	s_delay_alu instid0(SALU_CYCLE_1)
	s_and_b32 s14, s14, exec_lo
	s_or_saveexec_b32 s31, s31
	v_mov_b32_e32 v39, s30
	s_xor_b32 exec_lo, exec_lo, s31
	s_cbranch_execz .LBB6_7836
.LBB6_8003:                             ;   in Loop: Header=BB6_7654 Depth=3
	v_cmp_ne_u16_e64 s13, 0, v14
	v_mov_b32_e32 v39, 0
	s_and_not1_b32 s14, s14, exec_lo
	s_delay_alu instid0(VALU_DEP_2) | instskip(NEXT) | instid1(SALU_CYCLE_1)
	s_and_b32 s13, s13, exec_lo
	s_or_b32 s14, s14, s13
	s_or_b32 exec_lo, exec_lo, s31
	s_and_saveexec_b32 s30, s14
	s_cbranch_execnz .LBB6_7837
	s_branch .LBB6_7838
.LBB6_8004:                             ;   in Loop: Header=BB6_7654 Depth=3
	s_mov_b32 s14, -1
	s_mov_b32 s34, exec_lo
                                        ; implicit-def: $sgpr30
	v_cmpx_eq_u16_e32 0x80, v38
; %bb.8005:                             ;   in Loop: Header=BB6_7654 Depth=3
	s_mov_b32 s30, 0x7f800001
	s_xor_b32 s14, exec_lo, -1
; %bb.8006:                             ;   in Loop: Header=BB6_7654 Depth=3
	s_or_b32 exec_lo, exec_lo, s34
	s_delay_alu instid0(SALU_CYCLE_1)
	s_and_b32 s14, s14, exec_lo
                                        ; implicit-def: $vgpr38
	s_or_saveexec_b32 s31, s31
	v_mov_b32_e32 v14, s30
	s_xor_b32 exec_lo, exec_lo, s31
	s_cbranch_execz .LBB6_7848
.LBB6_8007:                             ;   in Loop: Header=BB6_7654 Depth=3
	v_cmp_ne_u16_e64 s13, 0, v38
	v_mov_b32_e32 v14, 0
	s_and_not1_b32 s14, s14, exec_lo
	s_delay_alu instid0(VALU_DEP_2) | instskip(NEXT) | instid1(SALU_CYCLE_1)
	s_and_b32 s13, s13, exec_lo
	s_or_b32 s14, s14, s13
	s_or_b32 exec_lo, exec_lo, s31
	s_and_saveexec_b32 s30, s14
	s_cbranch_execnz .LBB6_7849
	s_branch .LBB6_7850
.LBB6_8008:                             ;   in Loop: Header=BB6_7654 Depth=3
	s_mov_b32 s14, -1
	s_mov_b32 s34, exec_lo
                                        ; implicit-def: $sgpr30
	v_cmpx_eq_u16_e32 0x80, v39
; %bb.8009:                             ;   in Loop: Header=BB6_7654 Depth=3
	s_mov_b32 s30, 0x7f800001
	s_xor_b32 s14, exec_lo, -1
; %bb.8010:                             ;   in Loop: Header=BB6_7654 Depth=3
	s_or_b32 exec_lo, exec_lo, s34
	s_delay_alu instid0(SALU_CYCLE_1)
	s_and_b32 s14, s14, exec_lo
                                        ; implicit-def: $vgpr39
	s_or_saveexec_b32 s31, s31
	v_mov_b32_e32 v38, s30
	s_xor_b32 exec_lo, exec_lo, s31
	s_cbranch_execz .LBB6_7852
.LBB6_8011:                             ;   in Loop: Header=BB6_7654 Depth=3
	v_cmp_ne_u16_e64 s13, 0, v39
	v_mov_b32_e32 v38, 0
	s_and_not1_b32 s14, s14, exec_lo
	s_delay_alu instid0(VALU_DEP_2) | instskip(NEXT) | instid1(SALU_CYCLE_1)
	s_and_b32 s13, s13, exec_lo
	s_or_b32 s14, s14, s13
	s_or_b32 exec_lo, exec_lo, s31
	s_and_saveexec_b32 s30, s14
	s_cbranch_execnz .LBB6_7853
	s_branch .LBB6_7854
.LBB6_8012:                             ;   in Loop: Header=BB6_7654 Depth=3
	s_mov_b32 s14, -1
	s_mov_b32 s34, exec_lo
                                        ; implicit-def: $sgpr30
	v_cmpx_eq_u16_e32 0x80, v39
; %bb.8013:                             ;   in Loop: Header=BB6_7654 Depth=3
	s_mov_b32 s30, 0x7f800001
	s_xor_b32 s14, exec_lo, -1
; %bb.8014:                             ;   in Loop: Header=BB6_7654 Depth=3
	s_or_b32 exec_lo, exec_lo, s34
	s_delay_alu instid0(SALU_CYCLE_1)
	s_and_b32 s14, s14, exec_lo
	s_or_saveexec_b32 s31, s31
	v_mov_b32_e32 v38, s30
	s_xor_b32 exec_lo, exec_lo, s31
	s_cbranch_execz .LBB6_7864
.LBB6_8015:                             ;   in Loop: Header=BB6_7654 Depth=3
	v_cmp_ne_u16_e64 s13, 0, v39
	v_mov_b32_e32 v38, 0
	s_and_not1_b32 s14, s14, exec_lo
	s_delay_alu instid0(VALU_DEP_2) | instskip(NEXT) | instid1(SALU_CYCLE_1)
	s_and_b32 s13, s13, exec_lo
	s_or_b32 s14, s14, s13
	s_or_b32 exec_lo, exec_lo, s31
	s_and_saveexec_b32 s30, s14
	s_cbranch_execnz .LBB6_7865
	s_branch .LBB6_7866
.LBB6_8016:                             ;   in Loop: Header=BB6_7654 Depth=3
	s_mov_b32 s14, -1
	s_mov_b32 s34, exec_lo
                                        ; implicit-def: $sgpr30
	v_cmpx_eq_u16_e32 0x80, v39
; %bb.8017:                             ;   in Loop: Header=BB6_7654 Depth=3
	s_mov_b32 s30, 0x7f800001
	s_xor_b32 s14, exec_lo, -1
; %bb.8018:                             ;   in Loop: Header=BB6_7654 Depth=3
	s_or_b32 exec_lo, exec_lo, s34
	s_delay_alu instid0(SALU_CYCLE_1)
	s_and_b32 s14, s14, exec_lo
	s_or_saveexec_b32 s31, s31
	v_mov_b32_e32 v48, s30
	s_xor_b32 exec_lo, exec_lo, s31
	s_cbranch_execz .LBB6_7868
.LBB6_8019:                             ;   in Loop: Header=BB6_7654 Depth=3
	v_cmp_ne_u16_e64 s13, 0, v39
	v_mov_b32_e32 v48, 0
	s_and_not1_b32 s14, s14, exec_lo
	s_delay_alu instid0(VALU_DEP_2) | instskip(NEXT) | instid1(SALU_CYCLE_1)
	s_and_b32 s13, s13, exec_lo
	s_or_b32 s14, s14, s13
	s_or_b32 exec_lo, exec_lo, s31
	s_and_saveexec_b32 s30, s14
	s_cbranch_execnz .LBB6_7869
	s_branch .LBB6_7870
.LBB6_8020:                             ;   in Loop: Header=BB6_7654 Depth=3
	s_mov_b32 s14, -1
	s_mov_b32 s34, exec_lo
                                        ; implicit-def: $sgpr30
	v_cmpx_eq_u16_e32 0x80, v49
; %bb.8021:                             ;   in Loop: Header=BB6_7654 Depth=3
	s_mov_b32 s30, 0x7f800001
	s_xor_b32 s14, exec_lo, -1
; %bb.8022:                             ;   in Loop: Header=BB6_7654 Depth=3
	s_or_b32 exec_lo, exec_lo, s34
	s_delay_alu instid0(SALU_CYCLE_1)
	s_and_b32 s14, s14, exec_lo
                                        ; implicit-def: $vgpr49
	s_or_saveexec_b32 s31, s31
	v_mov_b32_e32 v39, s30
	s_xor_b32 exec_lo, exec_lo, s31
	s_cbranch_execz .LBB6_7880
.LBB6_8023:                             ;   in Loop: Header=BB6_7654 Depth=3
	v_cmp_ne_u16_e64 s13, 0, v49
	v_mov_b32_e32 v39, 0
	s_and_not1_b32 s14, s14, exec_lo
	s_delay_alu instid0(VALU_DEP_2) | instskip(NEXT) | instid1(SALU_CYCLE_1)
	s_and_b32 s13, s13, exec_lo
	s_or_b32 s14, s14, s13
	s_or_b32 exec_lo, exec_lo, s31
	s_and_saveexec_b32 s30, s14
	s_cbranch_execnz .LBB6_7881
	s_branch .LBB6_7882
.LBB6_8024:                             ;   in Loop: Header=BB6_7654 Depth=3
	s_mov_b32 s14, -1
	s_mov_b32 s34, exec_lo
                                        ; implicit-def: $sgpr30
	v_cmpx_eq_u16_e32 0x80, v50
; %bb.8025:                             ;   in Loop: Header=BB6_7654 Depth=3
	s_mov_b32 s30, 0x7f800001
	s_xor_b32 s14, exec_lo, -1
; %bb.8026:                             ;   in Loop: Header=BB6_7654 Depth=3
	s_or_b32 exec_lo, exec_lo, s34
	s_delay_alu instid0(SALU_CYCLE_1)
	s_and_b32 s14, s14, exec_lo
                                        ; implicit-def: $vgpr50
	s_or_saveexec_b32 s31, s31
	v_mov_b32_e32 v49, s30
	s_xor_b32 exec_lo, exec_lo, s31
	s_cbranch_execz .LBB6_7884
.LBB6_8027:                             ;   in Loop: Header=BB6_7654 Depth=3
	v_cmp_ne_u16_e64 s13, 0, v50
	v_mov_b32_e32 v49, 0
	s_and_not1_b32 s14, s14, exec_lo
	s_delay_alu instid0(VALU_DEP_2) | instskip(NEXT) | instid1(SALU_CYCLE_1)
	s_and_b32 s13, s13, exec_lo
	s_or_b32 s14, s14, s13
	s_or_b32 exec_lo, exec_lo, s31
	s_and_saveexec_b32 s30, s14
	s_cbranch_execnz .LBB6_7885
	s_branch .LBB6_7886
.LBB6_8028:                             ;   in Loop: Header=BB6_7654 Depth=3
	s_mov_b32 s14, -1
	s_mov_b32 s34, exec_lo
                                        ; implicit-def: $sgpr30
	v_cmpx_eq_u16_e32 0x80, v49
; %bb.8029:                             ;   in Loop: Header=BB6_7654 Depth=3
	s_mov_b32 s30, 0x7f800001
	s_xor_b32 s14, exec_lo, -1
; %bb.8030:                             ;   in Loop: Header=BB6_7654 Depth=3
	s_or_b32 exec_lo, exec_lo, s34
	s_delay_alu instid0(SALU_CYCLE_1)
	s_and_b32 s14, s14, exec_lo
	s_or_saveexec_b32 s31, s31
	v_mov_b32_e32 v48, s30
	s_xor_b32 exec_lo, exec_lo, s31
	s_cbranch_execz .LBB6_7896
.LBB6_8031:                             ;   in Loop: Header=BB6_7654 Depth=3
	v_cmp_ne_u16_e64 s13, 0, v49
	v_mov_b32_e32 v48, 0
	s_and_not1_b32 s14, s14, exec_lo
	s_delay_alu instid0(VALU_DEP_2) | instskip(NEXT) | instid1(SALU_CYCLE_1)
	s_and_b32 s13, s13, exec_lo
	s_or_b32 s14, s14, s13
	s_or_b32 exec_lo, exec_lo, s31
	s_and_saveexec_b32 s30, s14
	s_cbranch_execnz .LBB6_7897
	s_branch .LBB6_7898
.LBB6_8032:                             ;   in Loop: Header=BB6_7654 Depth=3
	s_mov_b32 s14, -1
	s_mov_b32 s34, exec_lo
                                        ; implicit-def: $sgpr30
	v_cmpx_eq_u16_e32 0x80, v15
; %bb.8033:                             ;   in Loop: Header=BB6_7654 Depth=3
	s_mov_b32 s30, 0x7f800001
	s_xor_b32 s14, exec_lo, -1
; %bb.8034:                             ;   in Loop: Header=BB6_7654 Depth=3
	s_or_b32 exec_lo, exec_lo, s34
	s_delay_alu instid0(SALU_CYCLE_1)
	s_and_b32 s14, s14, exec_lo
	s_or_saveexec_b32 s31, s31
	v_mov_b32_e32 v49, s30
	s_xor_b32 exec_lo, exec_lo, s31
	s_cbranch_execz .LBB6_7900
.LBB6_8035:                             ;   in Loop: Header=BB6_7654 Depth=3
	v_cmp_ne_u16_e64 s13, 0, v15
	v_mov_b32_e32 v49, 0
	s_and_not1_b32 s14, s14, exec_lo
	s_delay_alu instid0(VALU_DEP_2) | instskip(NEXT) | instid1(SALU_CYCLE_1)
	s_and_b32 s13, s13, exec_lo
	s_or_b32 s14, s14, s13
	s_or_b32 exec_lo, exec_lo, s31
	s_and_saveexec_b32 s30, s14
	s_cbranch_execnz .LBB6_7901
	s_branch .LBB6_7902
.LBB6_8036:                             ;   in Loop: Header=BB6_3271 Depth=2
	s_or_b32 exec_lo, exec_lo, s17
.LBB6_8037:                             ;   in Loop: Header=BB6_3271 Depth=2
	s_delay_alu instid0(SALU_CYCLE_1) | instskip(SKIP_3) | instid1(VALU_DEP_1)
	s_or_b32 exec_lo, exec_lo, s16
	v_dual_mov_b32 v14, 0 :: v_dual_and_b32 v9, 15, v182
	s_mov_b32 s14, 0
	s_mov_b32 s16, exec_lo
                                        ; implicit-def: $vgpr16
                                        ; implicit-def: $vgpr8
	v_cndmask_b32_e32 v15, v24, v9, vcc_lo
	s_delay_alu instid0(VALU_DEP_1)
	v_cmpx_ne_u32_e32 0, v15
; %bb.8038:                             ;   in Loop: Header=BB6_3271 Depth=2
	v_cmp_lt_i32_e64 s13, 0, v25
	v_sub_nc_u32_e32 v9, v24, v9
	s_mov_b32 s14, exec_lo
	s_delay_alu instid0(VALU_DEP_2) | instskip(NEXT) | instid1(VALU_DEP_1)
	v_cndmask_b32_e64 v8, 0, v129, s13
	v_sub_nc_u32_e32 v8, v8, v25
	s_delay_alu instid0(VALU_DEP_1) | instskip(NEXT) | instid1(VALU_DEP_1)
	v_lshl_add_u32 v16, v8, 5, v23
	v_ashrrev_i32_e32 v8, 31, v16
	s_delay_alu instid0(VALU_DEP_1) | instskip(NEXT) | instid1(VALU_DEP_1)
	v_lshrrev_b32_e32 v8, 27, v8
	v_dual_cndmask_b32 v9, 0, v9 :: v_dual_add_nc_u32 v8, v16, v8
	s_delay_alu instid0(VALU_DEP_1) | instskip(NEXT) | instid1(VALU_DEP_2)
	v_add3_u32 v14, v2, v22, v9
	v_ashrrev_i32_e32 v8, 5, v8
; %bb.8039:                             ;   in Loop: Header=BB6_3271 Depth=2
	s_or_b32 exec_lo, exec_lo, s16
	s_delay_alu instid0(SALU_CYCLE_1)
	s_and_b32 s13, s14, exec_lo
.LBB6_8040:                             ;   in Loop: Header=BB6_3271 Depth=2
	s_or_b32 exec_lo, exec_lo, s15
.LBB6_8041:                             ;   in Loop: Header=BB6_3271 Depth=2
	s_and_saveexec_b32 s14, s13
	s_cbranch_execz .LBB6_8845
; %bb.8042:                             ;   in Loop: Header=BB6_3271 Depth=2
	v_ashrrev_i32_e32 v2, 31, v15
	s_mov_b32 s15, exec_lo
	s_delay_alu instid0(VALU_DEP_1) | instskip(NEXT) | instid1(VALU_DEP_1)
	v_lshrrev_b32_e32 v2, 22, v2
	v_add_nc_u32_e32 v2, v15, v2
	s_delay_alu instid0(VALU_DEP_1) | instskip(NEXT) | instid1(VALU_DEP_1)
	v_ashrrev_i32_e32 v17, 10, v2
	v_sub_nc_u32_e32 v2, v17, v8
	s_delay_alu instid0(VALU_DEP_1)
	v_cmpx_lt_i32_e32 0, v2
	s_cbranch_execz .LBB6_8815
; %bb.8043:                             ;   in Loop: Header=BB6_3271 Depth=2
	s_cbranch_execnz .LBB6_9907
; %bb.8044:                             ;   in Loop: Header=BB6_3271 Depth=2
	v_ashrrev_i32_e32 v9, 31, v16
	ds_load_b64 v[18:19], v0
	v_lshlrev_b32_e32 v8, 10, v8
	s_mov_b32 s16, 0
	v_lshrrev_b32_e32 v9, 27, v9
	s_delay_alu instid0(VALU_DEP_1) | instskip(NEXT) | instid1(VALU_DEP_1)
	v_add_nc_u32_e32 v9, v16, v9
	v_and_b32_e32 v13, 0xffffffe0, v9
	ds_load_b128 v[9:12], v0
	v_sub_nc_u32_e32 v13, v16, v13
	s_waitcnt lgkmcnt(1)
	v_add_co_u32 v18, vcc_lo, 0x3e0, v18
	v_add_co_ci_u32_e32 v19, vcc_lo, 0, v19, vcc_lo
	s_delay_alu instid0(VALU_DEP_3) | instskip(NEXT) | instid1(VALU_DEP_1)
	v_add3_u32 v13, v14, v13, v8
	v_ashrrev_i32_e32 v20, 31, v13
	s_waitcnt lgkmcnt(0)
	v_add_co_u32 v8, vcc_lo, v9, v13
	s_delay_alu instid0(VALU_DEP_2)
	v_add_co_ci_u32_e32 v9, vcc_lo, v10, v20, vcc_lo
	v_add_co_u32 v10, vcc_lo, v11, v13
	v_add_co_ci_u32_e32 v11, vcc_lo, v12, v20, vcc_lo
	v_add_co_u32 v12, vcc_lo, v18, v13
	v_add_co_ci_u32_e32 v13, vcc_lo, v19, v20, vcc_lo
	s_branch .LBB6_8048
.LBB6_8045:                             ;   in Loop: Header=BB6_8048 Depth=3
	s_or_b32 exec_lo, exec_lo, s13
	s_delay_alu instid0(VALU_DEP_1) | instskip(NEXT) | instid1(VALU_DEP_2)
	v_lshrrev_b32_e32 v22, 20, v22
	v_cmp_gt_i32_e32 vcc_lo, 16, v18
	v_lshrrev_b32_e32 v19, 24, v19
	v_min_i32_e32 v25, 15, v18
	s_delay_alu instid0(VALU_DEP_2) | instskip(NEXT) | instid1(VALU_DEP_1)
	v_dual_cndmask_b32 v22, 7, v22 :: v_dual_and_b32 v19, 0x80, v19
	v_or_b32_e32 v18, v18, v22
	v_and_b32_e32 v32, 7, v22
	s_delay_alu instid0(VALU_DEP_2) | instskip(SKIP_1) | instid1(VALU_DEP_1)
	v_cmp_ne_u32_e32 vcc_lo, 0, v18
	v_lshlrev_b32_e32 v25, 3, v25
	v_or3_b32 v19, v25, v19, v32
	s_delay_alu instid0(VALU_DEP_1)
	v_cndmask_b32_e32 v18, 0, v19, vcc_lo
.LBB6_8046:                             ;   in Loop: Header=BB6_8048 Depth=3
	s_or_b32 exec_lo, exec_lo, s30
.LBB6_8047:                             ;   in Loop: Header=BB6_8048 Depth=3
	s_delay_alu instid0(SALU_CYCLE_1)
	s_or_b32 exec_lo, exec_lo, s17
	v_add_co_u32 v73, vcc_lo, 0xfffffc20, v12
	v_add_co_ci_u32_e32 v74, vcc_lo, -1, v13, vcc_lo
	v_add_co_u32 v19, vcc_lo, 0xfffffc40, v12
	v_sub_nc_u32_e32 v2, v2, v129
	flat_store_b8 v[73:74], v20 glc slc dlc
	v_add_co_ci_u32_e32 v20, vcc_lo, -1, v13, vcc_lo
	v_add_co_u32 v73, vcc_lo, 0xfffffc60, v12
	v_add_co_ci_u32_e32 v74, vcc_lo, -1, v13, vcc_lo
	v_add_co_u32 v75, vcc_lo, 0xfffffc80, v12
	v_add_co_ci_u32_e32 v76, vcc_lo, -1, v13, vcc_lo
	v_add_co_u32 v77, vcc_lo, 0xfffffca0, v12
	v_add_co_ci_u32_e32 v78, vcc_lo, -1, v13, vcc_lo
	v_add_co_u32 v88, vcc_lo, 0xfffffcc0, v12
	v_add_co_ci_u32_e32 v89, vcc_lo, -1, v13, vcc_lo
	flat_store_b8 v[19:20], v23 glc slc dlc
	flat_store_b8 v[73:74], v26 glc slc dlc
	flat_store_b8 v[75:76], v33 glc slc dlc
	flat_store_b8 v[77:78], v36 glc slc dlc
	flat_store_b8 v[88:89], v39 glc slc dlc
	v_add_co_u32 v19, vcc_lo, 0xfffffce0, v12
	v_add_co_ci_u32_e32 v20, vcc_lo, -1, v13, vcc_lo
	v_add_co_u32 v22, vcc_lo, 0xfffffd00, v12
	v_add_co_ci_u32_e32 v23, vcc_lo, -1, v13, vcc_lo
	v_add_co_u32 v25, vcc_lo, 0xfffffd20, v12
	v_add_co_ci_u32_e32 v26, vcc_lo, -1, v13, vcc_lo
	v_add_co_u32 v32, vcc_lo, 0xfffffd40, v12
	v_add_co_ci_u32_e32 v33, vcc_lo, -1, v13, vcc_lo
	v_add_co_u32 v35, vcc_lo, 0xfffffd60, v12
	v_add_co_ci_u32_e32 v36, vcc_lo, -1, v13, vcc_lo
	flat_store_b8 v[19:20], v50 glc slc dlc
	flat_store_b8 v[22:23], v102 glc slc dlc
	flat_store_b8 v[25:26], v114 glc slc dlc
	flat_store_b8 v[32:33], v117 glc slc dlc
	flat_store_b8 v[35:36], v41 glc slc dlc
	v_add_co_u32 v19, vcc_lo, 0xfffffd80, v12
	;; [unrolled: 15-line block ×5, first 2 shown]
	v_add_co_ci_u32_e32 v20, vcc_lo, -1, v13, vcc_lo
	v_add_co_u32 v22, vcc_lo, 0xffffff80, v12
	v_add_co_ci_u32_e32 v23, vcc_lo, -1, v13, vcc_lo
	v_add_co_u32 v25, vcc_lo, 0xffffffa0, v12
	;; [unrolled: 2-line block ×5, first 2 shown]
	v_add_co_ci_u32_e32 v9, vcc_lo, v9, v160, vcc_lo
	v_add_co_u32 v10, vcc_lo, v10, v151
	v_add_co_ci_u32_e32 v11, vcc_lo, v11, v160, vcc_lo
	flat_store_b8 v[19:20], v37 glc slc dlc
	flat_store_b8 v[22:23], v34 glc slc dlc
	;; [unrolled: 1-line block ×6, first 2 shown]
	v_cmp_gt_i32_e32 vcc_lo, 1, v2
	v_add_co_u32 v12, s13, v12, v151
	s_delay_alu instid0(VALU_DEP_1) | instskip(SKIP_1) | instid1(SALU_CYCLE_1)
	v_add_co_ci_u32_e64 v13, s13, v13, v160, s13
	s_or_b32 s16, vcc_lo, s16
	s_and_not1_b32 exec_lo, exec_lo, s16
	s_cbranch_execz .LBB6_8814
.LBB6_8048:                             ;   Parent Loop BB6_51 Depth=1
                                        ;     Parent Loop BB6_3271 Depth=2
                                        ; =>    This Inner Loop Header: Depth=3
	s_clause 0x1f
	flat_load_u8 v104, v[8:9] slc dlc
	flat_load_u8 v95, v[8:9] offset:32 slc dlc
	flat_load_u8 v94, v[8:9] offset:64 slc dlc
	;; [unrolled: 1-line block ×31, first 2 shown]
	s_clause 0x1f
	flat_load_u8 v20, v[10:11] slc dlc
	flat_load_u8 v23, v[10:11] offset:32 slc dlc
	flat_load_u8 v26, v[10:11] offset:64 slc dlc
	;; [unrolled: 1-line block ×31, first 2 shown]
	s_mov_b32 s13, 0
	s_mov_b32 s30, exec_lo
                                        ; implicit-def: $sgpr17
	s_waitcnt vmcnt(62) lgkmcnt(62)
	v_cmpx_lt_i16_e32 0x7f, v104
	s_xor_b32 s30, exec_lo, s30
	s_cbranch_execnz .LBB6_8558
; %bb.8049:                             ;   in Loop: Header=BB6_8048 Depth=3
	s_or_saveexec_b32 s30, s30
	v_mov_b32_e32 v105, s17
	s_xor_b32 exec_lo, exec_lo, s30
	s_cbranch_execnz .LBB6_8561
.LBB6_8050:                             ;   in Loop: Header=BB6_8048 Depth=3
	s_or_b32 exec_lo, exec_lo, s30
	s_and_saveexec_b32 s17, s13
	s_cbranch_execz .LBB6_8052
.LBB6_8051:                             ;   in Loop: Header=BB6_8048 Depth=3
	v_and_b32_e32 v105, 0xffff, v104
	v_lshlrev_b32_e32 v104, 24, v104
	s_delay_alu instid0(VALU_DEP_2) | instskip(NEXT) | instid1(VALU_DEP_2)
	v_and_b32_e32 v106, 7, v105
	v_and_b32_e32 v104, 0x80000000, v104
	s_delay_alu instid0(VALU_DEP_2) | instskip(NEXT) | instid1(VALU_DEP_1)
	v_clz_i32_u32_e32 v107, v106
	v_min_u32_e32 v107, 32, v107
	s_delay_alu instid0(VALU_DEP_1) | instskip(SKIP_1) | instid1(VALU_DEP_2)
	v_subrev_nc_u32_e32 v108, 28, v107
	v_sub_nc_u32_e32 v107, 29, v107
	v_lshlrev_b32_e32 v108, v108, v105
	v_bfe_u32 v105, v105, 3, 4
	s_delay_alu instid0(VALU_DEP_2) | instskip(NEXT) | instid1(VALU_DEP_2)
	v_and_b32_e32 v108, 7, v108
	v_cmp_eq_u32_e32 vcc_lo, 0, v105
	s_delay_alu instid0(VALU_DEP_2) | instskip(NEXT) | instid1(VALU_DEP_1)
	v_dual_cndmask_b32 v105, v105, v107 :: v_dual_cndmask_b32 v106, v106, v108
	v_lshl_add_u32 v105, v105, 23, 0x3b800000
	s_delay_alu instid0(VALU_DEP_2) | instskip(NEXT) | instid1(VALU_DEP_1)
	v_lshlrev_b32_e32 v106, 20, v106
	v_or3_b32 v105, v104, v105, v106
.LBB6_8052:                             ;   in Loop: Header=BB6_8048 Depth=3
	s_or_b32 exec_lo, exec_lo, s17
	s_waitcnt vmcnt(31) lgkmcnt(31)
	v_and_b32_e32 v106, 0xff, v20
	s_mov_b32 s13, 0
	s_mov_b32 s30, exec_lo
                                        ; implicit-def: $sgpr17
	s_delay_alu instid0(VALU_DEP_1)
	v_cmpx_lt_i16_e32 0x7f, v106
	s_xor_b32 s30, exec_lo, s30
	s_cbranch_execnz .LBB6_8562
; %bb.8053:                             ;   in Loop: Header=BB6_8048 Depth=3
	s_or_saveexec_b32 s30, s30
	v_mov_b32_e32 v104, s17
	s_xor_b32 exec_lo, exec_lo, s30
	s_cbranch_execnz .LBB6_8565
.LBB6_8054:                             ;   in Loop: Header=BB6_8048 Depth=3
	s_or_b32 exec_lo, exec_lo, s30
	s_and_saveexec_b32 s17, s13
	s_cbranch_execz .LBB6_8056
.LBB6_8055:                             ;   in Loop: Header=BB6_8048 Depth=3
	v_and_b32_e32 v104, 7, v20
	v_lshrrev_b16 v108, 3, v20
	s_delay_alu instid0(VALU_DEP_2) | instskip(NEXT) | instid1(VALU_DEP_2)
	v_clz_i32_u32_e32 v106, v104
	v_and_b32_e32 v108, 15, v108
	s_delay_alu instid0(VALU_DEP_2) | instskip(NEXT) | instid1(VALU_DEP_2)
	v_min_u32_e32 v106, 32, v106
	v_cmp_eq_u32_e32 vcc_lo, 0, v108
	s_delay_alu instid0(VALU_DEP_2) | instskip(SKIP_1) | instid1(VALU_DEP_1)
	v_subrev_nc_u32_e32 v107, 28, v106
	v_sub_nc_u32_e32 v106, 29, v106
	v_dual_cndmask_b32 v106, v108, v106 :: v_dual_lshlrev_b32 v107, v107, v20
	v_lshlrev_b32_e32 v20, 24, v20
	s_delay_alu instid0(VALU_DEP_2) | instskip(NEXT) | instid1(VALU_DEP_3)
	v_and_b32_e32 v107, 7, v107
	v_lshl_add_u32 v106, v106, 23, 0x3b800000
	s_delay_alu instid0(VALU_DEP_3) | instskip(NEXT) | instid1(VALU_DEP_3)
	v_and_b32_e32 v20, 0x80000000, v20
	v_cndmask_b32_e32 v104, v104, v107, vcc_lo
	s_delay_alu instid0(VALU_DEP_1) | instskip(NEXT) | instid1(VALU_DEP_1)
	v_lshlrev_b32_e32 v104, 20, v104
	v_or3_b32 v104, v20, v106, v104
.LBB6_8056:                             ;   in Loop: Header=BB6_8048 Depth=3
	s_or_b32 exec_lo, exec_lo, s17
	s_delay_alu instid0(VALU_DEP_1) | instskip(NEXT) | instid1(VALU_DEP_1)
	v_add_f32_e32 v104, v105, v104
	v_and_b32_e32 v20, 0x7f800000, v104
	s_delay_alu instid0(VALU_DEP_1)
	v_cmp_ne_u32_e32 vcc_lo, 0x7f800000, v20
	v_mov_b32_e32 v20, 0x80
	s_and_saveexec_b32 s17, vcc_lo
	s_cbranch_execz .LBB6_8064
; %bb.8057:                             ;   in Loop: Header=BB6_8048 Depth=3
	v_mov_b32_e32 v20, 0
	s_mov_b32 s30, exec_lo
	v_cmpx_ne_u32_e32 0, v104
	s_cbranch_execz .LBB6_8063
; %bb.8058:                             ;   in Loop: Header=BB6_8048 Depth=3
	v_bfe_u32 v20, v104, 23, 8
	s_delay_alu instid0(VALU_DEP_1) | instskip(SKIP_1) | instid1(VALU_DEP_2)
	v_sub_nc_u32_e32 v106, 0x78, v20
	v_cmp_gt_u32_e32 vcc_lo, 0x79, v20
	v_dual_cndmask_b32 v106, 0, v106 :: v_dual_and_b32 v105, 0x7fffff, v104
	s_delay_alu instid0(VALU_DEP_1) | instskip(SKIP_2) | instid1(VALU_DEP_4)
	v_or_b32_e32 v107, 0x800000, v105
	v_cmp_eq_u32_e32 vcc_lo, 0, v20
	v_add_nc_u32_e32 v20, 0xffffff89, v20
	v_cndmask_b32_e64 v106, v106, 0x77, vcc_lo
	s_delay_alu instid0(VALU_DEP_4) | instskip(NEXT) | instid1(VALU_DEP_3)
	v_cndmask_b32_e32 v105, v107, v105, vcc_lo
	v_cndmask_b32_e64 v20, v20, 0xffffff8a, vcc_lo
	s_delay_alu instid0(VALU_DEP_3) | instskip(NEXT) | instid1(VALU_DEP_3)
	v_lshl_add_u32 v107, 0x100000, v106, -1
	v_lshrrev_b32_e32 v108, v106, v105
	v_lshlrev_b32_e64 v110, v106, 0x80000
	s_delay_alu instid0(VALU_DEP_4) | instskip(NEXT) | instid1(VALU_DEP_4)
	v_add_nc_u32_e32 v106, v106, v20
	v_and_b32_e32 v105, v107, v105
	s_delay_alu instid0(VALU_DEP_4) | instskip(NEXT) | instid1(VALU_DEP_2)
	v_bfe_u32 v109, v108, 20, 1
	v_cmp_eq_u32_e64 s13, v105, v110
	s_delay_alu instid0(VALU_DEP_2) | instskip(NEXT) | instid1(VALU_DEP_1)
	v_add_nc_u32_e32 v107, -1, v109
	v_cndmask_b32_e64 v105, 0, v107, s13
	v_lshrrev_b32_e32 v107, 23, v108
	s_mov_b32 s13, exec_lo
	s_delay_alu instid0(VALU_DEP_2) | instskip(NEXT) | instid1(VALU_DEP_2)
	v_add_nc_u32_e32 v105, v105, v108
	v_xor_b32_e32 v107, 1, v107
	s_delay_alu instid0(VALU_DEP_2) | instskip(NEXT) | instid1(VALU_DEP_1)
	v_and_b32_e32 v20, 0xfffff, v105
	v_add_nc_u32_e32 v105, v20, v108
                                        ; implicit-def: $vgpr20
	s_delay_alu instid0(VALU_DEP_3)
	v_cmpx_ne_u32_e64 v106, v107
	s_xor_b32 s13, exec_lo, s13
; %bb.8059:                             ;   in Loop: Header=BB6_8048 Depth=3
	s_delay_alu instid0(VALU_DEP_2) | instskip(SKIP_2) | instid1(VALU_DEP_2)
	v_cmp_lt_u32_e32 vcc_lo, 0xffffff, v105
	v_sub_nc_u32_e32 v20, v106, v107
	v_cndmask_b32_e64 v106, 0, 1, vcc_lo
	v_add_co_ci_u32_e32 v20, vcc_lo, 0, v20, vcc_lo
	s_delay_alu instid0(VALU_DEP_2)
	v_lshrrev_b32_e32 v105, v106, v105
; %bb.8060:                             ;   in Loop: Header=BB6_8048 Depth=3
	s_and_not1_saveexec_b32 s13, s13
; %bb.8061:                             ;   in Loop: Header=BB6_8048 Depth=3
	s_delay_alu instid0(VALU_DEP_1)
	v_bfe_u32 v20, v105, 23, 1
; %bb.8062:                             ;   in Loop: Header=BB6_8048 Depth=3
	s_or_b32 exec_lo, exec_lo, s13
	v_lshrrev_b32_e32 v105, 20, v105
	s_delay_alu instid0(VALU_DEP_2) | instskip(SKIP_2) | instid1(VALU_DEP_2)
	v_cmp_gt_i32_e32 vcc_lo, 16, v20
	v_lshrrev_b32_e32 v104, 24, v104
	v_min_i32_e32 v106, 15, v20
	v_dual_cndmask_b32 v105, 7, v105 :: v_dual_and_b32 v104, 0x80, v104
	s_delay_alu instid0(VALU_DEP_2) | instskip(NEXT) | instid1(VALU_DEP_2)
	v_lshlrev_b32_e32 v106, 3, v106
	v_or_b32_e32 v20, v20, v105
	s_delay_alu instid0(VALU_DEP_1) | instskip(SKIP_1) | instid1(VALU_DEP_1)
	v_cmp_ne_u32_e32 vcc_lo, 0, v20
	v_and_b32_e32 v107, 7, v105
	v_or3_b32 v104, v106, v104, v107
	s_delay_alu instid0(VALU_DEP_1)
	v_cndmask_b32_e32 v20, 0, v104, vcc_lo
.LBB6_8063:                             ;   in Loop: Header=BB6_8048 Depth=3
	s_or_b32 exec_lo, exec_lo, s30
.LBB6_8064:                             ;   in Loop: Header=BB6_8048 Depth=3
	s_delay_alu instid0(SALU_CYCLE_1) | instskip(SKIP_3) | instid1(VALU_DEP_1)
	s_or_b32 exec_lo, exec_lo, s17
	v_and_b32_e32 v105, 0xff, v95
	s_mov_b32 s13, 0
	s_mov_b32 s30, exec_lo
                                        ; implicit-def: $sgpr17
	v_cmpx_lt_i16_e32 0x7f, v105
	s_xor_b32 s30, exec_lo, s30
	s_cbranch_execnz .LBB6_8566
; %bb.8065:                             ;   in Loop: Header=BB6_8048 Depth=3
	s_or_saveexec_b32 s30, s30
	v_mov_b32_e32 v104, s17
	s_xor_b32 exec_lo, exec_lo, s30
	s_cbranch_execnz .LBB6_8569
.LBB6_8066:                             ;   in Loop: Header=BB6_8048 Depth=3
	s_or_b32 exec_lo, exec_lo, s30
	s_and_saveexec_b32 s17, s13
	s_cbranch_execz .LBB6_8068
.LBB6_8067:                             ;   in Loop: Header=BB6_8048 Depth=3
	v_lshrrev_b16 v107, 3, v95
	s_delay_alu instid0(VALU_DEP_1) | instskip(NEXT) | instid1(VALU_DEP_1)
	v_and_b32_e32 v107, 15, v107
	v_cmp_eq_u32_e32 vcc_lo, 0, v107
	v_and_b32_e32 v104, 7, v95
	s_delay_alu instid0(VALU_DEP_1) | instskip(NEXT) | instid1(VALU_DEP_1)
	v_clz_i32_u32_e32 v105, v104
	v_min_u32_e32 v105, 32, v105
	s_delay_alu instid0(VALU_DEP_1) | instskip(SKIP_1) | instid1(VALU_DEP_1)
	v_subrev_nc_u32_e32 v106, 28, v105
	v_sub_nc_u32_e32 v105, 29, v105
	v_dual_cndmask_b32 v105, v107, v105 :: v_dual_lshlrev_b32 v106, v106, v95
	v_lshlrev_b32_e32 v95, 24, v95
	s_delay_alu instid0(VALU_DEP_2) | instskip(NEXT) | instid1(VALU_DEP_3)
	v_and_b32_e32 v106, 7, v106
	v_lshl_add_u32 v105, v105, 23, 0x3b800000
	s_delay_alu instid0(VALU_DEP_2) | instskip(NEXT) | instid1(VALU_DEP_1)
	v_dual_cndmask_b32 v104, v104, v106 :: v_dual_and_b32 v95, 0x80000000, v95
	v_lshlrev_b32_e32 v104, 20, v104
	s_delay_alu instid0(VALU_DEP_1)
	v_or3_b32 v104, v95, v105, v104
.LBB6_8068:                             ;   in Loop: Header=BB6_8048 Depth=3
	s_or_b32 exec_lo, exec_lo, s17
	s_waitcnt vmcnt(30) lgkmcnt(30)
	v_and_b32_e32 v105, 0xff, v23
	s_mov_b32 s13, 0
	s_mov_b32 s30, exec_lo
                                        ; implicit-def: $sgpr17
	s_delay_alu instid0(VALU_DEP_1)
	v_cmpx_lt_i16_e32 0x7f, v105
	s_xor_b32 s30, exec_lo, s30
	s_cbranch_execnz .LBB6_8570
; %bb.8069:                             ;   in Loop: Header=BB6_8048 Depth=3
	s_or_saveexec_b32 s30, s30
	v_mov_b32_e32 v95, s17
	s_xor_b32 exec_lo, exec_lo, s30
	s_cbranch_execnz .LBB6_8573
.LBB6_8070:                             ;   in Loop: Header=BB6_8048 Depth=3
	s_or_b32 exec_lo, exec_lo, s30
	s_and_saveexec_b32 s17, s13
	s_cbranch_execz .LBB6_8072
.LBB6_8071:                             ;   in Loop: Header=BB6_8048 Depth=3
	v_and_b32_e32 v95, 7, v23
	v_lshrrev_b16 v107, 3, v23
	s_delay_alu instid0(VALU_DEP_2) | instskip(NEXT) | instid1(VALU_DEP_2)
	v_clz_i32_u32_e32 v105, v95
	v_and_b32_e32 v107, 15, v107
	s_delay_alu instid0(VALU_DEP_2) | instskip(NEXT) | instid1(VALU_DEP_2)
	v_min_u32_e32 v105, 32, v105
	v_cmp_eq_u32_e32 vcc_lo, 0, v107
	s_delay_alu instid0(VALU_DEP_2) | instskip(SKIP_1) | instid1(VALU_DEP_1)
	v_subrev_nc_u32_e32 v106, 28, v105
	v_sub_nc_u32_e32 v105, 29, v105
	v_dual_cndmask_b32 v105, v107, v105 :: v_dual_lshlrev_b32 v106, v106, v23
	v_lshlrev_b32_e32 v23, 24, v23
	s_delay_alu instid0(VALU_DEP_2) | instskip(NEXT) | instid1(VALU_DEP_3)
	v_and_b32_e32 v106, 7, v106
	v_lshl_add_u32 v105, v105, 23, 0x3b800000
	s_delay_alu instid0(VALU_DEP_3) | instskip(NEXT) | instid1(VALU_DEP_3)
	v_and_b32_e32 v23, 0x80000000, v23
	v_cndmask_b32_e32 v95, v95, v106, vcc_lo
	s_delay_alu instid0(VALU_DEP_1) | instskip(NEXT) | instid1(VALU_DEP_1)
	v_lshlrev_b32_e32 v95, 20, v95
	v_or3_b32 v95, v23, v105, v95
.LBB6_8072:                             ;   in Loop: Header=BB6_8048 Depth=3
	s_or_b32 exec_lo, exec_lo, s17
	s_delay_alu instid0(VALU_DEP_1) | instskip(NEXT) | instid1(VALU_DEP_1)
	v_add_f32_e32 v95, v104, v95
	v_and_b32_e32 v23, 0x7f800000, v95
	s_delay_alu instid0(VALU_DEP_1)
	v_cmp_ne_u32_e32 vcc_lo, 0x7f800000, v23
	v_mov_b32_e32 v23, 0x80
	s_and_saveexec_b32 s17, vcc_lo
	s_cbranch_execz .LBB6_8080
; %bb.8073:                             ;   in Loop: Header=BB6_8048 Depth=3
	v_mov_b32_e32 v23, 0
	s_mov_b32 s30, exec_lo
	v_cmpx_ne_u32_e32 0, v95
	s_cbranch_execz .LBB6_8079
; %bb.8074:                             ;   in Loop: Header=BB6_8048 Depth=3
	v_bfe_u32 v23, v95, 23, 8
	s_delay_alu instid0(VALU_DEP_1) | instskip(SKIP_1) | instid1(VALU_DEP_2)
	v_sub_nc_u32_e32 v105, 0x78, v23
	v_cmp_gt_u32_e32 vcc_lo, 0x79, v23
	v_dual_cndmask_b32 v105, 0, v105 :: v_dual_and_b32 v104, 0x7fffff, v95
	s_delay_alu instid0(VALU_DEP_1) | instskip(SKIP_2) | instid1(VALU_DEP_4)
	v_or_b32_e32 v106, 0x800000, v104
	v_cmp_eq_u32_e32 vcc_lo, 0, v23
	v_add_nc_u32_e32 v23, 0xffffff89, v23
	v_cndmask_b32_e64 v105, v105, 0x77, vcc_lo
	s_delay_alu instid0(VALU_DEP_4) | instskip(NEXT) | instid1(VALU_DEP_3)
	v_cndmask_b32_e32 v104, v106, v104, vcc_lo
	v_cndmask_b32_e64 v23, v23, 0xffffff8a, vcc_lo
	s_delay_alu instid0(VALU_DEP_3) | instskip(NEXT) | instid1(VALU_DEP_3)
	v_lshl_add_u32 v106, 0x100000, v105, -1
	v_lshrrev_b32_e32 v107, v105, v104
	v_lshlrev_b32_e64 v109, v105, 0x80000
	s_delay_alu instid0(VALU_DEP_4) | instskip(NEXT) | instid1(VALU_DEP_4)
	v_add_nc_u32_e32 v105, v105, v23
	v_and_b32_e32 v104, v106, v104
	s_delay_alu instid0(VALU_DEP_4) | instskip(NEXT) | instid1(VALU_DEP_2)
	v_bfe_u32 v108, v107, 20, 1
	v_cmp_eq_u32_e64 s13, v104, v109
	s_delay_alu instid0(VALU_DEP_2) | instskip(NEXT) | instid1(VALU_DEP_1)
	v_add_nc_u32_e32 v106, -1, v108
	v_cndmask_b32_e64 v104, 0, v106, s13
	v_lshrrev_b32_e32 v106, 23, v107
	s_mov_b32 s13, exec_lo
	s_delay_alu instid0(VALU_DEP_2) | instskip(NEXT) | instid1(VALU_DEP_2)
	v_add_nc_u32_e32 v104, v104, v107
	v_xor_b32_e32 v106, 1, v106
	s_delay_alu instid0(VALU_DEP_2) | instskip(NEXT) | instid1(VALU_DEP_1)
	v_and_b32_e32 v23, 0xfffff, v104
	v_add_nc_u32_e32 v104, v23, v107
                                        ; implicit-def: $vgpr23
	s_delay_alu instid0(VALU_DEP_3)
	v_cmpx_ne_u32_e64 v105, v106
	s_xor_b32 s13, exec_lo, s13
; %bb.8075:                             ;   in Loop: Header=BB6_8048 Depth=3
	s_delay_alu instid0(VALU_DEP_2) | instskip(SKIP_2) | instid1(VALU_DEP_2)
	v_cmp_lt_u32_e32 vcc_lo, 0xffffff, v104
	v_sub_nc_u32_e32 v23, v105, v106
	v_cndmask_b32_e64 v105, 0, 1, vcc_lo
	v_add_co_ci_u32_e32 v23, vcc_lo, 0, v23, vcc_lo
	s_delay_alu instid0(VALU_DEP_2)
	v_lshrrev_b32_e32 v104, v105, v104
; %bb.8076:                             ;   in Loop: Header=BB6_8048 Depth=3
	s_and_not1_saveexec_b32 s13, s13
; %bb.8077:                             ;   in Loop: Header=BB6_8048 Depth=3
	s_delay_alu instid0(VALU_DEP_1)
	v_bfe_u32 v23, v104, 23, 1
; %bb.8078:                             ;   in Loop: Header=BB6_8048 Depth=3
	s_or_b32 exec_lo, exec_lo, s13
	v_lshrrev_b32_e32 v104, 20, v104
	s_delay_alu instid0(VALU_DEP_2) | instskip(SKIP_2) | instid1(VALU_DEP_2)
	v_cmp_gt_i32_e32 vcc_lo, 16, v23
	v_lshrrev_b32_e32 v95, 24, v95
	v_min_i32_e32 v105, 15, v23
	v_dual_cndmask_b32 v104, 7, v104 :: v_dual_and_b32 v95, 0x80, v95
	s_delay_alu instid0(VALU_DEP_2) | instskip(NEXT) | instid1(VALU_DEP_2)
	v_lshlrev_b32_e32 v105, 3, v105
	v_or_b32_e32 v23, v23, v104
	s_delay_alu instid0(VALU_DEP_1) | instskip(SKIP_1) | instid1(VALU_DEP_1)
	v_cmp_ne_u32_e32 vcc_lo, 0, v23
	v_and_b32_e32 v106, 7, v104
	v_or3_b32 v95, v105, v95, v106
	s_delay_alu instid0(VALU_DEP_1)
	v_cndmask_b32_e32 v23, 0, v95, vcc_lo
.LBB6_8079:                             ;   in Loop: Header=BB6_8048 Depth=3
	s_or_b32 exec_lo, exec_lo, s30
.LBB6_8080:                             ;   in Loop: Header=BB6_8048 Depth=3
	s_delay_alu instid0(SALU_CYCLE_1) | instskip(SKIP_3) | instid1(VALU_DEP_1)
	s_or_b32 exec_lo, exec_lo, s17
	v_and_b32_e32 v104, 0xff, v94
	s_mov_b32 s13, 0
	s_mov_b32 s30, exec_lo
                                        ; implicit-def: $sgpr17
	v_cmpx_lt_i16_e32 0x7f, v104
	s_xor_b32 s30, exec_lo, s30
	s_cbranch_execnz .LBB6_8574
; %bb.8081:                             ;   in Loop: Header=BB6_8048 Depth=3
	s_or_saveexec_b32 s30, s30
	v_mov_b32_e32 v95, s17
	s_xor_b32 exec_lo, exec_lo, s30
	s_cbranch_execnz .LBB6_8577
.LBB6_8082:                             ;   in Loop: Header=BB6_8048 Depth=3
	s_or_b32 exec_lo, exec_lo, s30
	s_and_saveexec_b32 s17, s13
	s_cbranch_execz .LBB6_8084
.LBB6_8083:                             ;   in Loop: Header=BB6_8048 Depth=3
	v_lshrrev_b16 v106, 3, v94
	s_delay_alu instid0(VALU_DEP_1) | instskip(NEXT) | instid1(VALU_DEP_1)
	v_and_b32_e32 v106, 15, v106
	v_cmp_eq_u32_e32 vcc_lo, 0, v106
	v_and_b32_e32 v95, 7, v94
	s_delay_alu instid0(VALU_DEP_1) | instskip(NEXT) | instid1(VALU_DEP_1)
	v_clz_i32_u32_e32 v104, v95
	v_min_u32_e32 v104, 32, v104
	s_delay_alu instid0(VALU_DEP_1) | instskip(SKIP_1) | instid1(VALU_DEP_1)
	v_subrev_nc_u32_e32 v105, 28, v104
	v_sub_nc_u32_e32 v104, 29, v104
	v_dual_cndmask_b32 v104, v106, v104 :: v_dual_lshlrev_b32 v105, v105, v94
	v_lshlrev_b32_e32 v94, 24, v94
	s_delay_alu instid0(VALU_DEP_2) | instskip(NEXT) | instid1(VALU_DEP_3)
	v_and_b32_e32 v105, 7, v105
	v_lshl_add_u32 v104, v104, 23, 0x3b800000
	s_delay_alu instid0(VALU_DEP_2) | instskip(NEXT) | instid1(VALU_DEP_1)
	v_dual_cndmask_b32 v95, v95, v105 :: v_dual_and_b32 v94, 0x80000000, v94
	v_lshlrev_b32_e32 v95, 20, v95
	s_delay_alu instid0(VALU_DEP_1)
	v_or3_b32 v95, v94, v104, v95
.LBB6_8084:                             ;   in Loop: Header=BB6_8048 Depth=3
	s_or_b32 exec_lo, exec_lo, s17
	s_waitcnt vmcnt(29) lgkmcnt(29)
	v_and_b32_e32 v104, 0xff, v26
	s_mov_b32 s13, 0
	s_mov_b32 s30, exec_lo
                                        ; implicit-def: $sgpr17
	s_delay_alu instid0(VALU_DEP_1)
	v_cmpx_lt_i16_e32 0x7f, v104
	s_xor_b32 s30, exec_lo, s30
	s_cbranch_execnz .LBB6_8578
; %bb.8085:                             ;   in Loop: Header=BB6_8048 Depth=3
	s_or_saveexec_b32 s30, s30
	v_mov_b32_e32 v94, s17
	s_xor_b32 exec_lo, exec_lo, s30
	s_cbranch_execnz .LBB6_8581
.LBB6_8086:                             ;   in Loop: Header=BB6_8048 Depth=3
	s_or_b32 exec_lo, exec_lo, s30
	s_and_saveexec_b32 s17, s13
	s_cbranch_execz .LBB6_8088
.LBB6_8087:                             ;   in Loop: Header=BB6_8048 Depth=3
	v_and_b32_e32 v94, 7, v26
	v_lshrrev_b16 v106, 3, v26
	s_delay_alu instid0(VALU_DEP_2) | instskip(NEXT) | instid1(VALU_DEP_2)
	v_clz_i32_u32_e32 v104, v94
	v_and_b32_e32 v106, 15, v106
	s_delay_alu instid0(VALU_DEP_2) | instskip(NEXT) | instid1(VALU_DEP_2)
	v_min_u32_e32 v104, 32, v104
	v_cmp_eq_u32_e32 vcc_lo, 0, v106
	s_delay_alu instid0(VALU_DEP_2) | instskip(SKIP_1) | instid1(VALU_DEP_1)
	v_subrev_nc_u32_e32 v105, 28, v104
	v_sub_nc_u32_e32 v104, 29, v104
	v_dual_cndmask_b32 v104, v106, v104 :: v_dual_lshlrev_b32 v105, v105, v26
	v_lshlrev_b32_e32 v26, 24, v26
	s_delay_alu instid0(VALU_DEP_2) | instskip(NEXT) | instid1(VALU_DEP_3)
	v_and_b32_e32 v105, 7, v105
	v_lshl_add_u32 v104, v104, 23, 0x3b800000
	s_delay_alu instid0(VALU_DEP_3) | instskip(NEXT) | instid1(VALU_DEP_3)
	v_and_b32_e32 v26, 0x80000000, v26
	v_cndmask_b32_e32 v94, v94, v105, vcc_lo
	s_delay_alu instid0(VALU_DEP_1) | instskip(NEXT) | instid1(VALU_DEP_1)
	v_lshlrev_b32_e32 v94, 20, v94
	v_or3_b32 v94, v26, v104, v94
.LBB6_8088:                             ;   in Loop: Header=BB6_8048 Depth=3
	s_or_b32 exec_lo, exec_lo, s17
	s_delay_alu instid0(VALU_DEP_1) | instskip(NEXT) | instid1(VALU_DEP_1)
	v_add_f32_e32 v94, v95, v94
	v_and_b32_e32 v26, 0x7f800000, v94
	s_delay_alu instid0(VALU_DEP_1)
	v_cmp_ne_u32_e32 vcc_lo, 0x7f800000, v26
	v_mov_b32_e32 v26, 0x80
	s_and_saveexec_b32 s17, vcc_lo
	s_cbranch_execz .LBB6_8096
; %bb.8089:                             ;   in Loop: Header=BB6_8048 Depth=3
	v_mov_b32_e32 v26, 0
	s_mov_b32 s30, exec_lo
	v_cmpx_ne_u32_e32 0, v94
	s_cbranch_execz .LBB6_8095
; %bb.8090:                             ;   in Loop: Header=BB6_8048 Depth=3
	v_bfe_u32 v26, v94, 23, 8
	s_delay_alu instid0(VALU_DEP_1) | instskip(SKIP_1) | instid1(VALU_DEP_2)
	v_sub_nc_u32_e32 v104, 0x78, v26
	v_cmp_gt_u32_e32 vcc_lo, 0x79, v26
	v_dual_cndmask_b32 v104, 0, v104 :: v_dual_and_b32 v95, 0x7fffff, v94
	s_delay_alu instid0(VALU_DEP_1) | instskip(SKIP_2) | instid1(VALU_DEP_4)
	v_or_b32_e32 v105, 0x800000, v95
	v_cmp_eq_u32_e32 vcc_lo, 0, v26
	v_add_nc_u32_e32 v26, 0xffffff89, v26
	v_cndmask_b32_e64 v104, v104, 0x77, vcc_lo
	s_delay_alu instid0(VALU_DEP_4) | instskip(NEXT) | instid1(VALU_DEP_3)
	v_cndmask_b32_e32 v95, v105, v95, vcc_lo
	v_cndmask_b32_e64 v26, v26, 0xffffff8a, vcc_lo
	s_delay_alu instid0(VALU_DEP_3) | instskip(NEXT) | instid1(VALU_DEP_3)
	v_lshl_add_u32 v105, 0x100000, v104, -1
	v_lshrrev_b32_e32 v106, v104, v95
	v_lshlrev_b32_e64 v108, v104, 0x80000
	s_delay_alu instid0(VALU_DEP_4) | instskip(NEXT) | instid1(VALU_DEP_4)
	v_add_nc_u32_e32 v104, v104, v26
	v_and_b32_e32 v95, v105, v95
	s_delay_alu instid0(VALU_DEP_4) | instskip(NEXT) | instid1(VALU_DEP_2)
	v_bfe_u32 v107, v106, 20, 1
	v_cmp_eq_u32_e64 s13, v95, v108
	s_delay_alu instid0(VALU_DEP_2) | instskip(NEXT) | instid1(VALU_DEP_1)
	v_add_nc_u32_e32 v105, -1, v107
	v_cndmask_b32_e64 v95, 0, v105, s13
	v_lshrrev_b32_e32 v105, 23, v106
	s_mov_b32 s13, exec_lo
	s_delay_alu instid0(VALU_DEP_2) | instskip(NEXT) | instid1(VALU_DEP_2)
	v_add_nc_u32_e32 v95, v95, v106
	v_xor_b32_e32 v105, 1, v105
	s_delay_alu instid0(VALU_DEP_2) | instskip(NEXT) | instid1(VALU_DEP_1)
	v_and_b32_e32 v26, 0xfffff, v95
	v_add_nc_u32_e32 v95, v26, v106
                                        ; implicit-def: $vgpr26
	s_delay_alu instid0(VALU_DEP_3)
	v_cmpx_ne_u32_e64 v104, v105
	s_xor_b32 s13, exec_lo, s13
; %bb.8091:                             ;   in Loop: Header=BB6_8048 Depth=3
	s_delay_alu instid0(VALU_DEP_2) | instskip(SKIP_2) | instid1(VALU_DEP_2)
	v_cmp_lt_u32_e32 vcc_lo, 0xffffff, v95
	v_sub_nc_u32_e32 v26, v104, v105
	v_cndmask_b32_e64 v104, 0, 1, vcc_lo
	v_add_co_ci_u32_e32 v26, vcc_lo, 0, v26, vcc_lo
	s_delay_alu instid0(VALU_DEP_2)
	v_lshrrev_b32_e32 v95, v104, v95
; %bb.8092:                             ;   in Loop: Header=BB6_8048 Depth=3
	s_and_not1_saveexec_b32 s13, s13
; %bb.8093:                             ;   in Loop: Header=BB6_8048 Depth=3
	s_delay_alu instid0(VALU_DEP_1)
	v_bfe_u32 v26, v95, 23, 1
; %bb.8094:                             ;   in Loop: Header=BB6_8048 Depth=3
	s_or_b32 exec_lo, exec_lo, s13
	v_lshrrev_b32_e32 v95, 20, v95
	s_delay_alu instid0(VALU_DEP_2) | instskip(SKIP_2) | instid1(VALU_DEP_2)
	v_cmp_gt_i32_e32 vcc_lo, 16, v26
	v_lshrrev_b32_e32 v94, 24, v94
	v_min_i32_e32 v104, 15, v26
	v_dual_cndmask_b32 v95, 7, v95 :: v_dual_and_b32 v94, 0x80, v94
	s_delay_alu instid0(VALU_DEP_2) | instskip(NEXT) | instid1(VALU_DEP_2)
	v_lshlrev_b32_e32 v104, 3, v104
	v_or_b32_e32 v26, v26, v95
	s_delay_alu instid0(VALU_DEP_1) | instskip(SKIP_1) | instid1(VALU_DEP_1)
	v_cmp_ne_u32_e32 vcc_lo, 0, v26
	v_and_b32_e32 v105, 7, v95
	v_or3_b32 v94, v104, v94, v105
	s_delay_alu instid0(VALU_DEP_1)
	v_cndmask_b32_e32 v26, 0, v94, vcc_lo
.LBB6_8095:                             ;   in Loop: Header=BB6_8048 Depth=3
	s_or_b32 exec_lo, exec_lo, s30
.LBB6_8096:                             ;   in Loop: Header=BB6_8048 Depth=3
	s_delay_alu instid0(SALU_CYCLE_1) | instskip(SKIP_3) | instid1(VALU_DEP_1)
	s_or_b32 exec_lo, exec_lo, s17
	v_and_b32_e32 v95, 0xff, v93
	s_mov_b32 s13, 0
	s_mov_b32 s30, exec_lo
                                        ; implicit-def: $sgpr17
	v_cmpx_lt_i16_e32 0x7f, v95
	s_xor_b32 s30, exec_lo, s30
	s_cbranch_execnz .LBB6_8582
; %bb.8097:                             ;   in Loop: Header=BB6_8048 Depth=3
	s_or_saveexec_b32 s30, s30
	v_mov_b32_e32 v94, s17
	s_xor_b32 exec_lo, exec_lo, s30
	s_cbranch_execnz .LBB6_8585
.LBB6_8098:                             ;   in Loop: Header=BB6_8048 Depth=3
	s_or_b32 exec_lo, exec_lo, s30
	s_and_saveexec_b32 s17, s13
	s_cbranch_execz .LBB6_8100
.LBB6_8099:                             ;   in Loop: Header=BB6_8048 Depth=3
	v_lshrrev_b16 v105, 3, v93
	s_delay_alu instid0(VALU_DEP_1) | instskip(NEXT) | instid1(VALU_DEP_1)
	v_and_b32_e32 v105, 15, v105
	v_cmp_eq_u32_e32 vcc_lo, 0, v105
	v_and_b32_e32 v94, 7, v93
	s_delay_alu instid0(VALU_DEP_1) | instskip(NEXT) | instid1(VALU_DEP_1)
	v_clz_i32_u32_e32 v95, v94
	v_min_u32_e32 v95, 32, v95
	s_delay_alu instid0(VALU_DEP_1) | instskip(SKIP_1) | instid1(VALU_DEP_1)
	v_subrev_nc_u32_e32 v104, 28, v95
	v_sub_nc_u32_e32 v95, 29, v95
	v_dual_cndmask_b32 v95, v105, v95 :: v_dual_lshlrev_b32 v104, v104, v93
	v_lshlrev_b32_e32 v93, 24, v93
	s_delay_alu instid0(VALU_DEP_2) | instskip(NEXT) | instid1(VALU_DEP_3)
	v_and_b32_e32 v104, 7, v104
	v_lshl_add_u32 v95, v95, 23, 0x3b800000
	s_delay_alu instid0(VALU_DEP_2) | instskip(NEXT) | instid1(VALU_DEP_1)
	v_dual_cndmask_b32 v94, v94, v104 :: v_dual_and_b32 v93, 0x80000000, v93
	v_lshlrev_b32_e32 v94, 20, v94
	s_delay_alu instid0(VALU_DEP_1)
	v_or3_b32 v94, v93, v95, v94
.LBB6_8100:                             ;   in Loop: Header=BB6_8048 Depth=3
	s_or_b32 exec_lo, exec_lo, s17
	s_waitcnt vmcnt(28) lgkmcnt(28)
	v_and_b32_e32 v95, 0xff, v33
	s_mov_b32 s13, 0
	s_mov_b32 s30, exec_lo
                                        ; implicit-def: $sgpr17
	s_delay_alu instid0(VALU_DEP_1)
	v_cmpx_lt_i16_e32 0x7f, v95
	s_xor_b32 s30, exec_lo, s30
	s_cbranch_execnz .LBB6_8586
; %bb.8101:                             ;   in Loop: Header=BB6_8048 Depth=3
	s_or_saveexec_b32 s30, s30
	v_mov_b32_e32 v93, s17
	s_xor_b32 exec_lo, exec_lo, s30
	s_cbranch_execnz .LBB6_8589
.LBB6_8102:                             ;   in Loop: Header=BB6_8048 Depth=3
	s_or_b32 exec_lo, exec_lo, s30
	s_and_saveexec_b32 s17, s13
	s_cbranch_execz .LBB6_8104
.LBB6_8103:                             ;   in Loop: Header=BB6_8048 Depth=3
	v_and_b32_e32 v93, 7, v33
	v_lshrrev_b16 v105, 3, v33
	s_delay_alu instid0(VALU_DEP_2) | instskip(NEXT) | instid1(VALU_DEP_2)
	v_clz_i32_u32_e32 v95, v93
	v_and_b32_e32 v105, 15, v105
	s_delay_alu instid0(VALU_DEP_2) | instskip(NEXT) | instid1(VALU_DEP_2)
	v_min_u32_e32 v95, 32, v95
	v_cmp_eq_u32_e32 vcc_lo, 0, v105
	s_delay_alu instid0(VALU_DEP_2) | instskip(SKIP_1) | instid1(VALU_DEP_1)
	v_subrev_nc_u32_e32 v104, 28, v95
	v_sub_nc_u32_e32 v95, 29, v95
	v_dual_cndmask_b32 v95, v105, v95 :: v_dual_lshlrev_b32 v104, v104, v33
	v_lshlrev_b32_e32 v33, 24, v33
	s_delay_alu instid0(VALU_DEP_2) | instskip(NEXT) | instid1(VALU_DEP_3)
	v_and_b32_e32 v104, 7, v104
	v_lshl_add_u32 v95, v95, 23, 0x3b800000
	s_delay_alu instid0(VALU_DEP_3) | instskip(NEXT) | instid1(VALU_DEP_3)
	v_and_b32_e32 v33, 0x80000000, v33
	v_cndmask_b32_e32 v93, v93, v104, vcc_lo
	s_delay_alu instid0(VALU_DEP_1) | instskip(NEXT) | instid1(VALU_DEP_1)
	v_lshlrev_b32_e32 v93, 20, v93
	v_or3_b32 v93, v33, v95, v93
.LBB6_8104:                             ;   in Loop: Header=BB6_8048 Depth=3
	s_or_b32 exec_lo, exec_lo, s17
	s_delay_alu instid0(VALU_DEP_1) | instskip(NEXT) | instid1(VALU_DEP_1)
	v_add_f32_e32 v93, v94, v93
	v_and_b32_e32 v33, 0x7f800000, v93
	s_delay_alu instid0(VALU_DEP_1)
	v_cmp_ne_u32_e32 vcc_lo, 0x7f800000, v33
	v_mov_b32_e32 v33, 0x80
	s_and_saveexec_b32 s17, vcc_lo
	s_cbranch_execz .LBB6_8112
; %bb.8105:                             ;   in Loop: Header=BB6_8048 Depth=3
	v_mov_b32_e32 v33, 0
	s_mov_b32 s30, exec_lo
	v_cmpx_ne_u32_e32 0, v93
	s_cbranch_execz .LBB6_8111
; %bb.8106:                             ;   in Loop: Header=BB6_8048 Depth=3
	v_bfe_u32 v33, v93, 23, 8
	s_delay_alu instid0(VALU_DEP_1) | instskip(SKIP_1) | instid1(VALU_DEP_2)
	v_sub_nc_u32_e32 v95, 0x78, v33
	v_cmp_gt_u32_e32 vcc_lo, 0x79, v33
	v_dual_cndmask_b32 v95, 0, v95 :: v_dual_and_b32 v94, 0x7fffff, v93
	s_delay_alu instid0(VALU_DEP_1) | instskip(SKIP_2) | instid1(VALU_DEP_4)
	v_or_b32_e32 v104, 0x800000, v94
	v_cmp_eq_u32_e32 vcc_lo, 0, v33
	v_add_nc_u32_e32 v33, 0xffffff89, v33
	v_cndmask_b32_e64 v95, v95, 0x77, vcc_lo
	s_delay_alu instid0(VALU_DEP_4) | instskip(NEXT) | instid1(VALU_DEP_3)
	v_cndmask_b32_e32 v94, v104, v94, vcc_lo
	v_cndmask_b32_e64 v33, v33, 0xffffff8a, vcc_lo
	s_delay_alu instid0(VALU_DEP_3) | instskip(NEXT) | instid1(VALU_DEP_3)
	v_lshl_add_u32 v104, 0x100000, v95, -1
	v_lshrrev_b32_e32 v105, v95, v94
	v_lshlrev_b32_e64 v107, v95, 0x80000
	s_delay_alu instid0(VALU_DEP_4) | instskip(NEXT) | instid1(VALU_DEP_4)
	v_add_nc_u32_e32 v95, v95, v33
	v_and_b32_e32 v94, v104, v94
	s_delay_alu instid0(VALU_DEP_4) | instskip(NEXT) | instid1(VALU_DEP_2)
	v_bfe_u32 v106, v105, 20, 1
	v_cmp_eq_u32_e64 s13, v94, v107
	s_delay_alu instid0(VALU_DEP_2) | instskip(NEXT) | instid1(VALU_DEP_1)
	v_add_nc_u32_e32 v104, -1, v106
	v_cndmask_b32_e64 v94, 0, v104, s13
	v_lshrrev_b32_e32 v104, 23, v105
	s_mov_b32 s13, exec_lo
	s_delay_alu instid0(VALU_DEP_2) | instskip(NEXT) | instid1(VALU_DEP_2)
	v_add_nc_u32_e32 v94, v94, v105
	v_xor_b32_e32 v104, 1, v104
	s_delay_alu instid0(VALU_DEP_2) | instskip(NEXT) | instid1(VALU_DEP_1)
	v_and_b32_e32 v33, 0xfffff, v94
	v_add_nc_u32_e32 v94, v33, v105
                                        ; implicit-def: $vgpr33
	s_delay_alu instid0(VALU_DEP_3)
	v_cmpx_ne_u32_e64 v95, v104
	s_xor_b32 s13, exec_lo, s13
; %bb.8107:                             ;   in Loop: Header=BB6_8048 Depth=3
	s_delay_alu instid0(VALU_DEP_2) | instskip(SKIP_2) | instid1(VALU_DEP_2)
	v_cmp_lt_u32_e32 vcc_lo, 0xffffff, v94
	v_sub_nc_u32_e32 v33, v95, v104
	v_cndmask_b32_e64 v95, 0, 1, vcc_lo
	v_add_co_ci_u32_e32 v33, vcc_lo, 0, v33, vcc_lo
	s_delay_alu instid0(VALU_DEP_2)
	v_lshrrev_b32_e32 v94, v95, v94
; %bb.8108:                             ;   in Loop: Header=BB6_8048 Depth=3
	s_and_not1_saveexec_b32 s13, s13
; %bb.8109:                             ;   in Loop: Header=BB6_8048 Depth=3
	s_delay_alu instid0(VALU_DEP_1)
	v_bfe_u32 v33, v94, 23, 1
; %bb.8110:                             ;   in Loop: Header=BB6_8048 Depth=3
	s_or_b32 exec_lo, exec_lo, s13
	v_lshrrev_b32_e32 v94, 20, v94
	s_delay_alu instid0(VALU_DEP_2) | instskip(SKIP_2) | instid1(VALU_DEP_2)
	v_cmp_gt_i32_e32 vcc_lo, 16, v33
	v_lshrrev_b32_e32 v93, 24, v93
	v_min_i32_e32 v95, 15, v33
	v_dual_cndmask_b32 v94, 7, v94 :: v_dual_and_b32 v93, 0x80, v93
	s_delay_alu instid0(VALU_DEP_2) | instskip(NEXT) | instid1(VALU_DEP_2)
	v_lshlrev_b32_e32 v95, 3, v95
	v_or_b32_e32 v33, v33, v94
	s_delay_alu instid0(VALU_DEP_1) | instskip(SKIP_1) | instid1(VALU_DEP_1)
	v_cmp_ne_u32_e32 vcc_lo, 0, v33
	v_and_b32_e32 v104, 7, v94
	v_or3_b32 v93, v95, v93, v104
	s_delay_alu instid0(VALU_DEP_1)
	v_cndmask_b32_e32 v33, 0, v93, vcc_lo
.LBB6_8111:                             ;   in Loop: Header=BB6_8048 Depth=3
	s_or_b32 exec_lo, exec_lo, s30
.LBB6_8112:                             ;   in Loop: Header=BB6_8048 Depth=3
	s_delay_alu instid0(SALU_CYCLE_1) | instskip(SKIP_3) | instid1(VALU_DEP_1)
	s_or_b32 exec_lo, exec_lo, s17
	v_and_b32_e32 v94, 0xff, v92
	s_mov_b32 s13, 0
	s_mov_b32 s30, exec_lo
                                        ; implicit-def: $sgpr17
	v_cmpx_lt_i16_e32 0x7f, v94
	s_xor_b32 s30, exec_lo, s30
	s_cbranch_execnz .LBB6_8590
; %bb.8113:                             ;   in Loop: Header=BB6_8048 Depth=3
	s_or_saveexec_b32 s30, s30
	v_mov_b32_e32 v93, s17
	s_xor_b32 exec_lo, exec_lo, s30
	s_cbranch_execnz .LBB6_8593
.LBB6_8114:                             ;   in Loop: Header=BB6_8048 Depth=3
	s_or_b32 exec_lo, exec_lo, s30
	s_and_saveexec_b32 s17, s13
	s_cbranch_execz .LBB6_8116
.LBB6_8115:                             ;   in Loop: Header=BB6_8048 Depth=3
	v_lshrrev_b16 v104, 3, v92
	s_delay_alu instid0(VALU_DEP_1) | instskip(NEXT) | instid1(VALU_DEP_1)
	v_and_b32_e32 v104, 15, v104
	v_cmp_eq_u32_e32 vcc_lo, 0, v104
	v_and_b32_e32 v93, 7, v92
	s_delay_alu instid0(VALU_DEP_1) | instskip(NEXT) | instid1(VALU_DEP_1)
	v_clz_i32_u32_e32 v94, v93
	v_min_u32_e32 v94, 32, v94
	s_delay_alu instid0(VALU_DEP_1) | instskip(SKIP_1) | instid1(VALU_DEP_1)
	v_subrev_nc_u32_e32 v95, 28, v94
	v_sub_nc_u32_e32 v94, 29, v94
	v_dual_cndmask_b32 v94, v104, v94 :: v_dual_lshlrev_b32 v95, v95, v92
	v_lshlrev_b32_e32 v92, 24, v92
	s_delay_alu instid0(VALU_DEP_2) | instskip(NEXT) | instid1(VALU_DEP_3)
	v_and_b32_e32 v95, 7, v95
	v_lshl_add_u32 v94, v94, 23, 0x3b800000
	s_delay_alu instid0(VALU_DEP_2) | instskip(NEXT) | instid1(VALU_DEP_1)
	v_dual_cndmask_b32 v93, v93, v95 :: v_dual_and_b32 v92, 0x80000000, v92
	v_lshlrev_b32_e32 v93, 20, v93
	s_delay_alu instid0(VALU_DEP_1)
	v_or3_b32 v93, v92, v94, v93
.LBB6_8116:                             ;   in Loop: Header=BB6_8048 Depth=3
	s_or_b32 exec_lo, exec_lo, s17
	s_waitcnt vmcnt(27) lgkmcnt(27)
	v_and_b32_e32 v94, 0xff, v36
	s_mov_b32 s13, 0
	s_mov_b32 s30, exec_lo
                                        ; implicit-def: $sgpr17
	s_delay_alu instid0(VALU_DEP_1)
	v_cmpx_lt_i16_e32 0x7f, v94
	s_xor_b32 s30, exec_lo, s30
	s_cbranch_execnz .LBB6_8594
; %bb.8117:                             ;   in Loop: Header=BB6_8048 Depth=3
	s_or_saveexec_b32 s30, s30
	v_mov_b32_e32 v92, s17
	s_xor_b32 exec_lo, exec_lo, s30
	s_cbranch_execnz .LBB6_8597
.LBB6_8118:                             ;   in Loop: Header=BB6_8048 Depth=3
	s_or_b32 exec_lo, exec_lo, s30
	s_and_saveexec_b32 s17, s13
	s_cbranch_execz .LBB6_8120
.LBB6_8119:                             ;   in Loop: Header=BB6_8048 Depth=3
	v_and_b32_e32 v92, 7, v36
	v_lshrrev_b16 v104, 3, v36
	s_delay_alu instid0(VALU_DEP_2) | instskip(NEXT) | instid1(VALU_DEP_2)
	v_clz_i32_u32_e32 v94, v92
	v_and_b32_e32 v104, 15, v104
	s_delay_alu instid0(VALU_DEP_2) | instskip(NEXT) | instid1(VALU_DEP_2)
	v_min_u32_e32 v94, 32, v94
	v_cmp_eq_u32_e32 vcc_lo, 0, v104
	s_delay_alu instid0(VALU_DEP_2) | instskip(SKIP_1) | instid1(VALU_DEP_1)
	v_subrev_nc_u32_e32 v95, 28, v94
	v_sub_nc_u32_e32 v94, 29, v94
	v_dual_cndmask_b32 v94, v104, v94 :: v_dual_lshlrev_b32 v95, v95, v36
	v_lshlrev_b32_e32 v36, 24, v36
	s_delay_alu instid0(VALU_DEP_2) | instskip(NEXT) | instid1(VALU_DEP_3)
	v_and_b32_e32 v95, 7, v95
	v_lshl_add_u32 v94, v94, 23, 0x3b800000
	s_delay_alu instid0(VALU_DEP_3) | instskip(NEXT) | instid1(VALU_DEP_3)
	v_and_b32_e32 v36, 0x80000000, v36
	v_cndmask_b32_e32 v92, v92, v95, vcc_lo
	s_delay_alu instid0(VALU_DEP_1) | instskip(NEXT) | instid1(VALU_DEP_1)
	v_lshlrev_b32_e32 v92, 20, v92
	v_or3_b32 v92, v36, v94, v92
.LBB6_8120:                             ;   in Loop: Header=BB6_8048 Depth=3
	s_or_b32 exec_lo, exec_lo, s17
	s_delay_alu instid0(VALU_DEP_1) | instskip(NEXT) | instid1(VALU_DEP_1)
	v_add_f32_e32 v92, v93, v92
	v_and_b32_e32 v36, 0x7f800000, v92
	s_delay_alu instid0(VALU_DEP_1)
	v_cmp_ne_u32_e32 vcc_lo, 0x7f800000, v36
	v_mov_b32_e32 v36, 0x80
	s_and_saveexec_b32 s17, vcc_lo
	s_cbranch_execz .LBB6_8128
; %bb.8121:                             ;   in Loop: Header=BB6_8048 Depth=3
	v_mov_b32_e32 v36, 0
	s_mov_b32 s30, exec_lo
	v_cmpx_ne_u32_e32 0, v92
	s_cbranch_execz .LBB6_8127
; %bb.8122:                             ;   in Loop: Header=BB6_8048 Depth=3
	v_bfe_u32 v36, v92, 23, 8
	s_delay_alu instid0(VALU_DEP_1) | instskip(SKIP_1) | instid1(VALU_DEP_2)
	v_sub_nc_u32_e32 v94, 0x78, v36
	v_cmp_gt_u32_e32 vcc_lo, 0x79, v36
	v_dual_cndmask_b32 v94, 0, v94 :: v_dual_and_b32 v93, 0x7fffff, v92
	s_delay_alu instid0(VALU_DEP_1) | instskip(SKIP_2) | instid1(VALU_DEP_4)
	v_or_b32_e32 v95, 0x800000, v93
	v_cmp_eq_u32_e32 vcc_lo, 0, v36
	v_add_nc_u32_e32 v36, 0xffffff89, v36
	v_cndmask_b32_e64 v94, v94, 0x77, vcc_lo
	s_delay_alu instid0(VALU_DEP_4) | instskip(NEXT) | instid1(VALU_DEP_3)
	v_cndmask_b32_e32 v93, v95, v93, vcc_lo
	v_cndmask_b32_e64 v36, v36, 0xffffff8a, vcc_lo
	s_delay_alu instid0(VALU_DEP_3) | instskip(NEXT) | instid1(VALU_DEP_3)
	v_lshl_add_u32 v95, 0x100000, v94, -1
	v_lshrrev_b32_e32 v104, v94, v93
	v_lshlrev_b32_e64 v106, v94, 0x80000
	s_delay_alu instid0(VALU_DEP_4) | instskip(NEXT) | instid1(VALU_DEP_4)
	v_add_nc_u32_e32 v94, v94, v36
	v_and_b32_e32 v93, v95, v93
	s_delay_alu instid0(VALU_DEP_4) | instskip(NEXT) | instid1(VALU_DEP_2)
	v_bfe_u32 v105, v104, 20, 1
	v_cmp_eq_u32_e64 s13, v93, v106
	s_delay_alu instid0(VALU_DEP_2) | instskip(NEXT) | instid1(VALU_DEP_1)
	v_add_nc_u32_e32 v95, -1, v105
	v_cndmask_b32_e64 v93, 0, v95, s13
	v_lshrrev_b32_e32 v95, 23, v104
	s_mov_b32 s13, exec_lo
	s_delay_alu instid0(VALU_DEP_2) | instskip(NEXT) | instid1(VALU_DEP_2)
	v_add_nc_u32_e32 v93, v93, v104
	v_xor_b32_e32 v95, 1, v95
	s_delay_alu instid0(VALU_DEP_2) | instskip(NEXT) | instid1(VALU_DEP_1)
	v_and_b32_e32 v36, 0xfffff, v93
	v_add_nc_u32_e32 v93, v36, v104
                                        ; implicit-def: $vgpr36
	s_delay_alu instid0(VALU_DEP_3)
	v_cmpx_ne_u32_e64 v94, v95
	s_xor_b32 s13, exec_lo, s13
; %bb.8123:                             ;   in Loop: Header=BB6_8048 Depth=3
	s_delay_alu instid0(VALU_DEP_2) | instskip(SKIP_2) | instid1(VALU_DEP_2)
	v_cmp_lt_u32_e32 vcc_lo, 0xffffff, v93
	v_sub_nc_u32_e32 v36, v94, v95
	v_cndmask_b32_e64 v94, 0, 1, vcc_lo
	v_add_co_ci_u32_e32 v36, vcc_lo, 0, v36, vcc_lo
	s_delay_alu instid0(VALU_DEP_2)
	v_lshrrev_b32_e32 v93, v94, v93
; %bb.8124:                             ;   in Loop: Header=BB6_8048 Depth=3
	s_and_not1_saveexec_b32 s13, s13
; %bb.8125:                             ;   in Loop: Header=BB6_8048 Depth=3
	s_delay_alu instid0(VALU_DEP_1)
	v_bfe_u32 v36, v93, 23, 1
; %bb.8126:                             ;   in Loop: Header=BB6_8048 Depth=3
	s_or_b32 exec_lo, exec_lo, s13
	v_lshrrev_b32_e32 v93, 20, v93
	s_delay_alu instid0(VALU_DEP_2) | instskip(SKIP_2) | instid1(VALU_DEP_2)
	v_cmp_gt_i32_e32 vcc_lo, 16, v36
	v_lshrrev_b32_e32 v92, 24, v92
	v_min_i32_e32 v94, 15, v36
	v_dual_cndmask_b32 v93, 7, v93 :: v_dual_and_b32 v92, 0x80, v92
	s_delay_alu instid0(VALU_DEP_2) | instskip(NEXT) | instid1(VALU_DEP_2)
	v_lshlrev_b32_e32 v94, 3, v94
	v_or_b32_e32 v36, v36, v93
	s_delay_alu instid0(VALU_DEP_1) | instskip(SKIP_1) | instid1(VALU_DEP_1)
	v_cmp_ne_u32_e32 vcc_lo, 0, v36
	v_and_b32_e32 v95, 7, v93
	v_or3_b32 v92, v94, v92, v95
	s_delay_alu instid0(VALU_DEP_1)
	v_cndmask_b32_e32 v36, 0, v92, vcc_lo
.LBB6_8127:                             ;   in Loop: Header=BB6_8048 Depth=3
	s_or_b32 exec_lo, exec_lo, s30
.LBB6_8128:                             ;   in Loop: Header=BB6_8048 Depth=3
	s_delay_alu instid0(SALU_CYCLE_1) | instskip(SKIP_3) | instid1(VALU_DEP_1)
	s_or_b32 exec_lo, exec_lo, s17
	v_and_b32_e32 v93, 0xff, v91
	s_mov_b32 s13, 0
	s_mov_b32 s30, exec_lo
                                        ; implicit-def: $sgpr17
	v_cmpx_lt_i16_e32 0x7f, v93
	s_xor_b32 s30, exec_lo, s30
	s_cbranch_execnz .LBB6_8598
; %bb.8129:                             ;   in Loop: Header=BB6_8048 Depth=3
	s_or_saveexec_b32 s30, s30
	v_mov_b32_e32 v92, s17
	s_xor_b32 exec_lo, exec_lo, s30
	s_cbranch_execnz .LBB6_8601
.LBB6_8130:                             ;   in Loop: Header=BB6_8048 Depth=3
	s_or_b32 exec_lo, exec_lo, s30
	s_and_saveexec_b32 s17, s13
	s_cbranch_execz .LBB6_8132
.LBB6_8131:                             ;   in Loop: Header=BB6_8048 Depth=3
	v_lshrrev_b16 v95, 3, v91
	s_delay_alu instid0(VALU_DEP_1) | instskip(NEXT) | instid1(VALU_DEP_1)
	v_and_b32_e32 v95, 15, v95
	v_cmp_eq_u32_e32 vcc_lo, 0, v95
	v_and_b32_e32 v92, 7, v91
	s_delay_alu instid0(VALU_DEP_1) | instskip(NEXT) | instid1(VALU_DEP_1)
	v_clz_i32_u32_e32 v93, v92
	v_min_u32_e32 v93, 32, v93
	s_delay_alu instid0(VALU_DEP_1) | instskip(SKIP_1) | instid1(VALU_DEP_1)
	v_subrev_nc_u32_e32 v94, 28, v93
	v_sub_nc_u32_e32 v93, 29, v93
	v_dual_cndmask_b32 v93, v95, v93 :: v_dual_lshlrev_b32 v94, v94, v91
	v_lshlrev_b32_e32 v91, 24, v91
	s_delay_alu instid0(VALU_DEP_2) | instskip(NEXT) | instid1(VALU_DEP_3)
	v_and_b32_e32 v94, 7, v94
	v_lshl_add_u32 v93, v93, 23, 0x3b800000
	s_delay_alu instid0(VALU_DEP_2) | instskip(NEXT) | instid1(VALU_DEP_1)
	v_dual_cndmask_b32 v92, v92, v94 :: v_dual_and_b32 v91, 0x80000000, v91
	v_lshlrev_b32_e32 v92, 20, v92
	s_delay_alu instid0(VALU_DEP_1)
	v_or3_b32 v92, v91, v93, v92
.LBB6_8132:                             ;   in Loop: Header=BB6_8048 Depth=3
	s_or_b32 exec_lo, exec_lo, s17
	s_waitcnt vmcnt(26) lgkmcnt(26)
	v_and_b32_e32 v93, 0xff, v39
	s_mov_b32 s13, 0
	s_mov_b32 s30, exec_lo
                                        ; implicit-def: $sgpr17
	s_delay_alu instid0(VALU_DEP_1)
	v_cmpx_lt_i16_e32 0x7f, v93
	s_xor_b32 s30, exec_lo, s30
	s_cbranch_execnz .LBB6_8602
; %bb.8133:                             ;   in Loop: Header=BB6_8048 Depth=3
	s_or_saveexec_b32 s30, s30
	v_mov_b32_e32 v91, s17
	s_xor_b32 exec_lo, exec_lo, s30
	s_cbranch_execnz .LBB6_8605
.LBB6_8134:                             ;   in Loop: Header=BB6_8048 Depth=3
	s_or_b32 exec_lo, exec_lo, s30
	s_and_saveexec_b32 s17, s13
	s_cbranch_execz .LBB6_8136
.LBB6_8135:                             ;   in Loop: Header=BB6_8048 Depth=3
	v_and_b32_e32 v91, 7, v39
	v_lshrrev_b16 v95, 3, v39
	s_delay_alu instid0(VALU_DEP_2) | instskip(NEXT) | instid1(VALU_DEP_2)
	v_clz_i32_u32_e32 v93, v91
	v_and_b32_e32 v95, 15, v95
	s_delay_alu instid0(VALU_DEP_2) | instskip(NEXT) | instid1(VALU_DEP_2)
	v_min_u32_e32 v93, 32, v93
	v_cmp_eq_u32_e32 vcc_lo, 0, v95
	s_delay_alu instid0(VALU_DEP_2) | instskip(SKIP_1) | instid1(VALU_DEP_1)
	v_subrev_nc_u32_e32 v94, 28, v93
	v_sub_nc_u32_e32 v93, 29, v93
	v_dual_cndmask_b32 v93, v95, v93 :: v_dual_lshlrev_b32 v94, v94, v39
	v_lshlrev_b32_e32 v39, 24, v39
	s_delay_alu instid0(VALU_DEP_2) | instskip(NEXT) | instid1(VALU_DEP_3)
	v_and_b32_e32 v94, 7, v94
	v_lshl_add_u32 v93, v93, 23, 0x3b800000
	s_delay_alu instid0(VALU_DEP_3) | instskip(NEXT) | instid1(VALU_DEP_3)
	v_and_b32_e32 v39, 0x80000000, v39
	v_cndmask_b32_e32 v91, v91, v94, vcc_lo
	s_delay_alu instid0(VALU_DEP_1) | instskip(NEXT) | instid1(VALU_DEP_1)
	v_lshlrev_b32_e32 v91, 20, v91
	v_or3_b32 v91, v39, v93, v91
.LBB6_8136:                             ;   in Loop: Header=BB6_8048 Depth=3
	s_or_b32 exec_lo, exec_lo, s17
	s_delay_alu instid0(VALU_DEP_1) | instskip(NEXT) | instid1(VALU_DEP_1)
	v_add_f32_e32 v91, v92, v91
	v_and_b32_e32 v39, 0x7f800000, v91
	s_delay_alu instid0(VALU_DEP_1)
	v_cmp_ne_u32_e32 vcc_lo, 0x7f800000, v39
	v_mov_b32_e32 v39, 0x80
	s_and_saveexec_b32 s17, vcc_lo
	s_cbranch_execz .LBB6_8144
; %bb.8137:                             ;   in Loop: Header=BB6_8048 Depth=3
	v_mov_b32_e32 v39, 0
	s_mov_b32 s30, exec_lo
	v_cmpx_ne_u32_e32 0, v91
	s_cbranch_execz .LBB6_8143
; %bb.8138:                             ;   in Loop: Header=BB6_8048 Depth=3
	v_bfe_u32 v39, v91, 23, 8
	s_delay_alu instid0(VALU_DEP_1) | instskip(SKIP_1) | instid1(VALU_DEP_2)
	v_sub_nc_u32_e32 v93, 0x78, v39
	v_cmp_gt_u32_e32 vcc_lo, 0x79, v39
	v_dual_cndmask_b32 v93, 0, v93 :: v_dual_and_b32 v92, 0x7fffff, v91
	s_delay_alu instid0(VALU_DEP_1) | instskip(SKIP_2) | instid1(VALU_DEP_4)
	v_or_b32_e32 v94, 0x800000, v92
	v_cmp_eq_u32_e32 vcc_lo, 0, v39
	v_add_nc_u32_e32 v39, 0xffffff89, v39
	v_cndmask_b32_e64 v93, v93, 0x77, vcc_lo
	s_delay_alu instid0(VALU_DEP_4) | instskip(NEXT) | instid1(VALU_DEP_3)
	v_cndmask_b32_e32 v92, v94, v92, vcc_lo
	v_cndmask_b32_e64 v39, v39, 0xffffff8a, vcc_lo
	s_delay_alu instid0(VALU_DEP_3) | instskip(NEXT) | instid1(VALU_DEP_3)
	v_lshl_add_u32 v94, 0x100000, v93, -1
	v_lshrrev_b32_e32 v95, v93, v92
	v_lshlrev_b32_e64 v105, v93, 0x80000
	s_delay_alu instid0(VALU_DEP_4) | instskip(NEXT) | instid1(VALU_DEP_4)
	v_add_nc_u32_e32 v93, v93, v39
	v_and_b32_e32 v92, v94, v92
	s_delay_alu instid0(VALU_DEP_4) | instskip(NEXT) | instid1(VALU_DEP_2)
	v_bfe_u32 v104, v95, 20, 1
	v_cmp_eq_u32_e64 s13, v92, v105
	s_delay_alu instid0(VALU_DEP_2) | instskip(NEXT) | instid1(VALU_DEP_1)
	v_add_nc_u32_e32 v94, -1, v104
	v_cndmask_b32_e64 v92, 0, v94, s13
	v_lshrrev_b32_e32 v94, 23, v95
	s_mov_b32 s13, exec_lo
	s_delay_alu instid0(VALU_DEP_2) | instskip(NEXT) | instid1(VALU_DEP_2)
	v_add_nc_u32_e32 v92, v92, v95
	v_xor_b32_e32 v94, 1, v94
	s_delay_alu instid0(VALU_DEP_2) | instskip(NEXT) | instid1(VALU_DEP_1)
	v_and_b32_e32 v39, 0xfffff, v92
	v_add_nc_u32_e32 v92, v39, v95
                                        ; implicit-def: $vgpr39
	s_delay_alu instid0(VALU_DEP_3)
	v_cmpx_ne_u32_e64 v93, v94
	s_xor_b32 s13, exec_lo, s13
; %bb.8139:                             ;   in Loop: Header=BB6_8048 Depth=3
	s_delay_alu instid0(VALU_DEP_2) | instskip(SKIP_2) | instid1(VALU_DEP_2)
	v_cmp_lt_u32_e32 vcc_lo, 0xffffff, v92
	v_sub_nc_u32_e32 v39, v93, v94
	v_cndmask_b32_e64 v93, 0, 1, vcc_lo
	v_add_co_ci_u32_e32 v39, vcc_lo, 0, v39, vcc_lo
	s_delay_alu instid0(VALU_DEP_2)
	v_lshrrev_b32_e32 v92, v93, v92
; %bb.8140:                             ;   in Loop: Header=BB6_8048 Depth=3
	s_and_not1_saveexec_b32 s13, s13
; %bb.8141:                             ;   in Loop: Header=BB6_8048 Depth=3
	s_delay_alu instid0(VALU_DEP_1)
	v_bfe_u32 v39, v92, 23, 1
; %bb.8142:                             ;   in Loop: Header=BB6_8048 Depth=3
	s_or_b32 exec_lo, exec_lo, s13
	v_lshrrev_b32_e32 v92, 20, v92
	s_delay_alu instid0(VALU_DEP_2) | instskip(SKIP_2) | instid1(VALU_DEP_2)
	v_cmp_gt_i32_e32 vcc_lo, 16, v39
	v_lshrrev_b32_e32 v91, 24, v91
	v_min_i32_e32 v93, 15, v39
	v_dual_cndmask_b32 v92, 7, v92 :: v_dual_and_b32 v91, 0x80, v91
	s_delay_alu instid0(VALU_DEP_2) | instskip(NEXT) | instid1(VALU_DEP_2)
	v_lshlrev_b32_e32 v93, 3, v93
	v_or_b32_e32 v39, v39, v92
	s_delay_alu instid0(VALU_DEP_1) | instskip(SKIP_1) | instid1(VALU_DEP_1)
	v_cmp_ne_u32_e32 vcc_lo, 0, v39
	v_and_b32_e32 v94, 7, v92
	v_or3_b32 v91, v93, v91, v94
	s_delay_alu instid0(VALU_DEP_1)
	v_cndmask_b32_e32 v39, 0, v91, vcc_lo
.LBB6_8143:                             ;   in Loop: Header=BB6_8048 Depth=3
	s_or_b32 exec_lo, exec_lo, s30
.LBB6_8144:                             ;   in Loop: Header=BB6_8048 Depth=3
	s_delay_alu instid0(SALU_CYCLE_1) | instskip(SKIP_3) | instid1(VALU_DEP_1)
	s_or_b32 exec_lo, exec_lo, s17
	v_and_b32_e32 v92, 0xff, v90
	s_mov_b32 s13, 0
	s_mov_b32 s30, exec_lo
                                        ; implicit-def: $sgpr17
	v_cmpx_lt_i16_e32 0x7f, v92
	s_xor_b32 s30, exec_lo, s30
	s_cbranch_execnz .LBB6_8606
; %bb.8145:                             ;   in Loop: Header=BB6_8048 Depth=3
	s_or_saveexec_b32 s30, s30
	v_mov_b32_e32 v91, s17
	s_xor_b32 exec_lo, exec_lo, s30
	s_cbranch_execnz .LBB6_8609
.LBB6_8146:                             ;   in Loop: Header=BB6_8048 Depth=3
	s_or_b32 exec_lo, exec_lo, s30
	s_and_saveexec_b32 s17, s13
	s_cbranch_execz .LBB6_8148
.LBB6_8147:                             ;   in Loop: Header=BB6_8048 Depth=3
	v_lshrrev_b16 v94, 3, v90
	s_delay_alu instid0(VALU_DEP_1) | instskip(NEXT) | instid1(VALU_DEP_1)
	v_and_b32_e32 v94, 15, v94
	v_cmp_eq_u32_e32 vcc_lo, 0, v94
	v_and_b32_e32 v91, 7, v90
	s_delay_alu instid0(VALU_DEP_1) | instskip(NEXT) | instid1(VALU_DEP_1)
	v_clz_i32_u32_e32 v92, v91
	v_min_u32_e32 v92, 32, v92
	s_delay_alu instid0(VALU_DEP_1) | instskip(SKIP_1) | instid1(VALU_DEP_1)
	v_subrev_nc_u32_e32 v93, 28, v92
	v_sub_nc_u32_e32 v92, 29, v92
	v_dual_cndmask_b32 v92, v94, v92 :: v_dual_lshlrev_b32 v93, v93, v90
	v_lshlrev_b32_e32 v90, 24, v90
	s_delay_alu instid0(VALU_DEP_2) | instskip(NEXT) | instid1(VALU_DEP_3)
	v_and_b32_e32 v93, 7, v93
	v_lshl_add_u32 v92, v92, 23, 0x3b800000
	s_delay_alu instid0(VALU_DEP_2) | instskip(NEXT) | instid1(VALU_DEP_1)
	v_dual_cndmask_b32 v91, v91, v93 :: v_dual_and_b32 v90, 0x80000000, v90
	v_lshlrev_b32_e32 v91, 20, v91
	s_delay_alu instid0(VALU_DEP_1)
	v_or3_b32 v91, v90, v92, v91
.LBB6_8148:                             ;   in Loop: Header=BB6_8048 Depth=3
	s_or_b32 exec_lo, exec_lo, s17
	s_waitcnt vmcnt(25) lgkmcnt(25)
	v_and_b32_e32 v92, 0xff, v50
	s_mov_b32 s13, 0
	s_mov_b32 s30, exec_lo
                                        ; implicit-def: $sgpr17
	s_delay_alu instid0(VALU_DEP_1)
	v_cmpx_lt_i16_e32 0x7f, v92
	s_xor_b32 s30, exec_lo, s30
	s_cbranch_execnz .LBB6_8610
; %bb.8149:                             ;   in Loop: Header=BB6_8048 Depth=3
	s_or_saveexec_b32 s30, s30
	v_mov_b32_e32 v90, s17
	s_xor_b32 exec_lo, exec_lo, s30
	s_cbranch_execnz .LBB6_8613
.LBB6_8150:                             ;   in Loop: Header=BB6_8048 Depth=3
	s_or_b32 exec_lo, exec_lo, s30
	s_and_saveexec_b32 s17, s13
	s_cbranch_execz .LBB6_8152
.LBB6_8151:                             ;   in Loop: Header=BB6_8048 Depth=3
	v_and_b32_e32 v90, 7, v50
	v_lshrrev_b16 v94, 3, v50
	s_delay_alu instid0(VALU_DEP_2) | instskip(NEXT) | instid1(VALU_DEP_2)
	v_clz_i32_u32_e32 v92, v90
	v_and_b32_e32 v94, 15, v94
	s_delay_alu instid0(VALU_DEP_2) | instskip(NEXT) | instid1(VALU_DEP_2)
	v_min_u32_e32 v92, 32, v92
	v_cmp_eq_u32_e32 vcc_lo, 0, v94
	s_delay_alu instid0(VALU_DEP_2) | instskip(SKIP_1) | instid1(VALU_DEP_1)
	v_subrev_nc_u32_e32 v93, 28, v92
	v_sub_nc_u32_e32 v92, 29, v92
	v_dual_cndmask_b32 v92, v94, v92 :: v_dual_lshlrev_b32 v93, v93, v50
	v_lshlrev_b32_e32 v50, 24, v50
	s_delay_alu instid0(VALU_DEP_2) | instskip(NEXT) | instid1(VALU_DEP_3)
	v_and_b32_e32 v93, 7, v93
	v_lshl_add_u32 v92, v92, 23, 0x3b800000
	s_delay_alu instid0(VALU_DEP_3) | instskip(NEXT) | instid1(VALU_DEP_3)
	v_and_b32_e32 v50, 0x80000000, v50
	v_cndmask_b32_e32 v90, v90, v93, vcc_lo
	s_delay_alu instid0(VALU_DEP_1) | instskip(NEXT) | instid1(VALU_DEP_1)
	v_lshlrev_b32_e32 v90, 20, v90
	v_or3_b32 v90, v50, v92, v90
.LBB6_8152:                             ;   in Loop: Header=BB6_8048 Depth=3
	s_or_b32 exec_lo, exec_lo, s17
	s_delay_alu instid0(VALU_DEP_1) | instskip(NEXT) | instid1(VALU_DEP_1)
	v_add_f32_e32 v90, v91, v90
	v_and_b32_e32 v50, 0x7f800000, v90
	s_delay_alu instid0(VALU_DEP_1)
	v_cmp_ne_u32_e32 vcc_lo, 0x7f800000, v50
	v_mov_b32_e32 v50, 0x80
	s_and_saveexec_b32 s17, vcc_lo
	s_cbranch_execz .LBB6_8160
; %bb.8153:                             ;   in Loop: Header=BB6_8048 Depth=3
	v_mov_b32_e32 v50, 0
	s_mov_b32 s30, exec_lo
	v_cmpx_ne_u32_e32 0, v90
	s_cbranch_execz .LBB6_8159
; %bb.8154:                             ;   in Loop: Header=BB6_8048 Depth=3
	v_bfe_u32 v50, v90, 23, 8
	s_delay_alu instid0(VALU_DEP_1) | instskip(SKIP_1) | instid1(VALU_DEP_2)
	v_sub_nc_u32_e32 v92, 0x78, v50
	v_cmp_gt_u32_e32 vcc_lo, 0x79, v50
	v_dual_cndmask_b32 v92, 0, v92 :: v_dual_and_b32 v91, 0x7fffff, v90
	s_delay_alu instid0(VALU_DEP_1) | instskip(SKIP_2) | instid1(VALU_DEP_4)
	v_or_b32_e32 v93, 0x800000, v91
	v_cmp_eq_u32_e32 vcc_lo, 0, v50
	v_add_nc_u32_e32 v50, 0xffffff89, v50
	v_cndmask_b32_e64 v92, v92, 0x77, vcc_lo
	s_delay_alu instid0(VALU_DEP_4) | instskip(NEXT) | instid1(VALU_DEP_3)
	v_cndmask_b32_e32 v91, v93, v91, vcc_lo
	v_cndmask_b32_e64 v50, v50, 0xffffff8a, vcc_lo
	s_delay_alu instid0(VALU_DEP_3) | instskip(NEXT) | instid1(VALU_DEP_3)
	v_lshl_add_u32 v93, 0x100000, v92, -1
	v_lshrrev_b32_e32 v94, v92, v91
	v_lshlrev_b32_e64 v104, v92, 0x80000
	s_delay_alu instid0(VALU_DEP_4) | instskip(NEXT) | instid1(VALU_DEP_4)
	v_add_nc_u32_e32 v92, v92, v50
	v_and_b32_e32 v91, v93, v91
	s_delay_alu instid0(VALU_DEP_4) | instskip(NEXT) | instid1(VALU_DEP_2)
	v_bfe_u32 v95, v94, 20, 1
	v_cmp_eq_u32_e64 s13, v91, v104
	s_delay_alu instid0(VALU_DEP_2) | instskip(NEXT) | instid1(VALU_DEP_1)
	v_add_nc_u32_e32 v93, -1, v95
	v_cndmask_b32_e64 v91, 0, v93, s13
	v_lshrrev_b32_e32 v93, 23, v94
	s_mov_b32 s13, exec_lo
	s_delay_alu instid0(VALU_DEP_2) | instskip(NEXT) | instid1(VALU_DEP_2)
	v_add_nc_u32_e32 v91, v91, v94
	v_xor_b32_e32 v93, 1, v93
	s_delay_alu instid0(VALU_DEP_2) | instskip(NEXT) | instid1(VALU_DEP_1)
	v_and_b32_e32 v50, 0xfffff, v91
	v_add_nc_u32_e32 v91, v50, v94
                                        ; implicit-def: $vgpr50
	s_delay_alu instid0(VALU_DEP_3)
	v_cmpx_ne_u32_e64 v92, v93
	s_xor_b32 s13, exec_lo, s13
; %bb.8155:                             ;   in Loop: Header=BB6_8048 Depth=3
	s_delay_alu instid0(VALU_DEP_2) | instskip(SKIP_2) | instid1(VALU_DEP_2)
	v_cmp_lt_u32_e32 vcc_lo, 0xffffff, v91
	v_sub_nc_u32_e32 v50, v92, v93
	v_cndmask_b32_e64 v92, 0, 1, vcc_lo
	v_add_co_ci_u32_e32 v50, vcc_lo, 0, v50, vcc_lo
	s_delay_alu instid0(VALU_DEP_2)
	v_lshrrev_b32_e32 v91, v92, v91
; %bb.8156:                             ;   in Loop: Header=BB6_8048 Depth=3
	s_and_not1_saveexec_b32 s13, s13
; %bb.8157:                             ;   in Loop: Header=BB6_8048 Depth=3
	s_delay_alu instid0(VALU_DEP_1)
	v_bfe_u32 v50, v91, 23, 1
; %bb.8158:                             ;   in Loop: Header=BB6_8048 Depth=3
	s_or_b32 exec_lo, exec_lo, s13
	v_lshrrev_b32_e32 v91, 20, v91
	s_delay_alu instid0(VALU_DEP_2) | instskip(SKIP_2) | instid1(VALU_DEP_2)
	v_cmp_gt_i32_e32 vcc_lo, 16, v50
	v_lshrrev_b32_e32 v90, 24, v90
	v_min_i32_e32 v92, 15, v50
	v_dual_cndmask_b32 v91, 7, v91 :: v_dual_and_b32 v90, 0x80, v90
	s_delay_alu instid0(VALU_DEP_2) | instskip(NEXT) | instid1(VALU_DEP_2)
	v_lshlrev_b32_e32 v92, 3, v92
	v_or_b32_e32 v50, v50, v91
	s_delay_alu instid0(VALU_DEP_1) | instskip(SKIP_1) | instid1(VALU_DEP_1)
	v_cmp_ne_u32_e32 vcc_lo, 0, v50
	v_and_b32_e32 v93, 7, v91
	v_or3_b32 v90, v92, v90, v93
	s_delay_alu instid0(VALU_DEP_1)
	v_cndmask_b32_e32 v50, 0, v90, vcc_lo
.LBB6_8159:                             ;   in Loop: Header=BB6_8048 Depth=3
	s_or_b32 exec_lo, exec_lo, s30
.LBB6_8160:                             ;   in Loop: Header=BB6_8048 Depth=3
	s_delay_alu instid0(SALU_CYCLE_1) | instskip(SKIP_3) | instid1(VALU_DEP_1)
	s_or_b32 exec_lo, exec_lo, s17
	v_and_b32_e32 v91, 0xff, v89
	s_mov_b32 s13, 0
	s_mov_b32 s30, exec_lo
                                        ; implicit-def: $sgpr17
	v_cmpx_lt_i16_e32 0x7f, v91
	s_xor_b32 s30, exec_lo, s30
	s_cbranch_execnz .LBB6_8614
; %bb.8161:                             ;   in Loop: Header=BB6_8048 Depth=3
	s_or_saveexec_b32 s30, s30
	v_mov_b32_e32 v90, s17
	s_xor_b32 exec_lo, exec_lo, s30
	s_cbranch_execnz .LBB6_8617
.LBB6_8162:                             ;   in Loop: Header=BB6_8048 Depth=3
	s_or_b32 exec_lo, exec_lo, s30
	s_and_saveexec_b32 s17, s13
	s_cbranch_execz .LBB6_8164
.LBB6_8163:                             ;   in Loop: Header=BB6_8048 Depth=3
	v_lshrrev_b16 v93, 3, v89
	s_delay_alu instid0(VALU_DEP_1) | instskip(NEXT) | instid1(VALU_DEP_1)
	v_and_b32_e32 v93, 15, v93
	v_cmp_eq_u32_e32 vcc_lo, 0, v93
	v_and_b32_e32 v90, 7, v89
	s_delay_alu instid0(VALU_DEP_1) | instskip(NEXT) | instid1(VALU_DEP_1)
	v_clz_i32_u32_e32 v91, v90
	v_min_u32_e32 v91, 32, v91
	s_delay_alu instid0(VALU_DEP_1) | instskip(SKIP_1) | instid1(VALU_DEP_1)
	v_subrev_nc_u32_e32 v92, 28, v91
	v_sub_nc_u32_e32 v91, 29, v91
	v_dual_cndmask_b32 v91, v93, v91 :: v_dual_lshlrev_b32 v92, v92, v89
	v_lshlrev_b32_e32 v89, 24, v89
	s_delay_alu instid0(VALU_DEP_2) | instskip(NEXT) | instid1(VALU_DEP_3)
	v_and_b32_e32 v92, 7, v92
	v_lshl_add_u32 v91, v91, 23, 0x3b800000
	s_delay_alu instid0(VALU_DEP_2) | instskip(NEXT) | instid1(VALU_DEP_1)
	v_dual_cndmask_b32 v90, v90, v92 :: v_dual_and_b32 v89, 0x80000000, v89
	v_lshlrev_b32_e32 v90, 20, v90
	s_delay_alu instid0(VALU_DEP_1)
	v_or3_b32 v90, v89, v91, v90
.LBB6_8164:                             ;   in Loop: Header=BB6_8048 Depth=3
	s_or_b32 exec_lo, exec_lo, s17
	s_waitcnt vmcnt(24) lgkmcnt(24)
	v_and_b32_e32 v91, 0xff, v102
	s_mov_b32 s13, 0
	s_mov_b32 s30, exec_lo
                                        ; implicit-def: $sgpr17
	s_delay_alu instid0(VALU_DEP_1)
	v_cmpx_lt_i16_e32 0x7f, v91
	s_xor_b32 s30, exec_lo, s30
	s_cbranch_execnz .LBB6_8618
; %bb.8165:                             ;   in Loop: Header=BB6_8048 Depth=3
	s_or_saveexec_b32 s30, s30
	v_mov_b32_e32 v89, s17
	s_xor_b32 exec_lo, exec_lo, s30
	s_cbranch_execnz .LBB6_8621
.LBB6_8166:                             ;   in Loop: Header=BB6_8048 Depth=3
	s_or_b32 exec_lo, exec_lo, s30
	s_and_saveexec_b32 s17, s13
	s_cbranch_execz .LBB6_8168
.LBB6_8167:                             ;   in Loop: Header=BB6_8048 Depth=3
	v_and_b32_e32 v89, 7, v102
	v_lshrrev_b16 v93, 3, v102
	s_delay_alu instid0(VALU_DEP_2) | instskip(NEXT) | instid1(VALU_DEP_2)
	v_clz_i32_u32_e32 v91, v89
	v_and_b32_e32 v93, 15, v93
	s_delay_alu instid0(VALU_DEP_2) | instskip(NEXT) | instid1(VALU_DEP_2)
	v_min_u32_e32 v91, 32, v91
	v_cmp_eq_u32_e32 vcc_lo, 0, v93
	s_delay_alu instid0(VALU_DEP_2) | instskip(SKIP_1) | instid1(VALU_DEP_1)
	v_subrev_nc_u32_e32 v92, 28, v91
	v_sub_nc_u32_e32 v91, 29, v91
	v_dual_cndmask_b32 v91, v93, v91 :: v_dual_lshlrev_b32 v92, v92, v102
	s_delay_alu instid0(VALU_DEP_1) | instskip(SKIP_1) | instid1(VALU_DEP_3)
	v_and_b32_e32 v92, 7, v92
	v_lshlrev_b32_e32 v102, 24, v102
	v_lshl_add_u32 v91, v91, 23, 0x3b800000
	s_delay_alu instid0(VALU_DEP_2) | instskip(NEXT) | instid1(VALU_DEP_1)
	v_dual_cndmask_b32 v89, v89, v92 :: v_dual_and_b32 v102, 0x80000000, v102
	v_lshlrev_b32_e32 v89, 20, v89
	s_delay_alu instid0(VALU_DEP_1)
	v_or3_b32 v89, v102, v91, v89
.LBB6_8168:                             ;   in Loop: Header=BB6_8048 Depth=3
	s_or_b32 exec_lo, exec_lo, s17
	s_delay_alu instid0(VALU_DEP_1) | instskip(NEXT) | instid1(VALU_DEP_1)
	v_add_f32_e32 v89, v90, v89
	v_and_b32_e32 v102, 0x7f800000, v89
	s_delay_alu instid0(VALU_DEP_1)
	v_cmp_ne_u32_e32 vcc_lo, 0x7f800000, v102
	v_mov_b32_e32 v102, 0x80
	s_and_saveexec_b32 s17, vcc_lo
	s_cbranch_execz .LBB6_8176
; %bb.8169:                             ;   in Loop: Header=BB6_8048 Depth=3
	v_mov_b32_e32 v102, 0
	s_mov_b32 s30, exec_lo
	v_cmpx_ne_u32_e32 0, v89
	s_cbranch_execz .LBB6_8175
; %bb.8170:                             ;   in Loop: Header=BB6_8048 Depth=3
	v_bfe_u32 v102, v89, 23, 8
	s_delay_alu instid0(VALU_DEP_1) | instskip(SKIP_1) | instid1(VALU_DEP_2)
	v_sub_nc_u32_e32 v91, 0x78, v102
	v_cmp_gt_u32_e32 vcc_lo, 0x79, v102
	v_dual_cndmask_b32 v91, 0, v91 :: v_dual_and_b32 v90, 0x7fffff, v89
	s_delay_alu instid0(VALU_DEP_1) | instskip(SKIP_2) | instid1(VALU_DEP_4)
	v_or_b32_e32 v92, 0x800000, v90
	v_cmp_eq_u32_e32 vcc_lo, 0, v102
	v_add_nc_u32_e32 v102, 0xffffff89, v102
	v_cndmask_b32_e64 v91, v91, 0x77, vcc_lo
	s_delay_alu instid0(VALU_DEP_4) | instskip(NEXT) | instid1(VALU_DEP_3)
	v_cndmask_b32_e32 v90, v92, v90, vcc_lo
	v_cndmask_b32_e64 v102, v102, 0xffffff8a, vcc_lo
	s_delay_alu instid0(VALU_DEP_3) | instskip(NEXT) | instid1(VALU_DEP_3)
	v_lshl_add_u32 v92, 0x100000, v91, -1
	v_lshrrev_b32_e32 v93, v91, v90
	v_lshlrev_b32_e64 v95, v91, 0x80000
	s_delay_alu instid0(VALU_DEP_4) | instskip(NEXT) | instid1(VALU_DEP_4)
	v_add_nc_u32_e32 v91, v91, v102
	v_and_b32_e32 v90, v92, v90
	s_delay_alu instid0(VALU_DEP_4) | instskip(NEXT) | instid1(VALU_DEP_2)
	v_bfe_u32 v94, v93, 20, 1
	v_cmp_eq_u32_e64 s13, v90, v95
	s_delay_alu instid0(VALU_DEP_2) | instskip(NEXT) | instid1(VALU_DEP_1)
	v_add_nc_u32_e32 v92, -1, v94
	v_cndmask_b32_e64 v90, 0, v92, s13
	v_lshrrev_b32_e32 v92, 23, v93
	s_mov_b32 s13, exec_lo
	s_delay_alu instid0(VALU_DEP_2) | instskip(NEXT) | instid1(VALU_DEP_2)
	v_add_nc_u32_e32 v90, v90, v93
	v_xor_b32_e32 v92, 1, v92
	s_delay_alu instid0(VALU_DEP_2) | instskip(NEXT) | instid1(VALU_DEP_1)
	v_and_b32_e32 v102, 0xfffff, v90
	v_add_nc_u32_e32 v90, v102, v93
                                        ; implicit-def: $vgpr102
	s_delay_alu instid0(VALU_DEP_3)
	v_cmpx_ne_u32_e64 v91, v92
	s_xor_b32 s13, exec_lo, s13
; %bb.8171:                             ;   in Loop: Header=BB6_8048 Depth=3
	s_delay_alu instid0(VALU_DEP_2) | instskip(SKIP_2) | instid1(VALU_DEP_2)
	v_cmp_lt_u32_e32 vcc_lo, 0xffffff, v90
	v_sub_nc_u32_e32 v102, v91, v92
	v_cndmask_b32_e64 v91, 0, 1, vcc_lo
	v_add_co_ci_u32_e32 v102, vcc_lo, 0, v102, vcc_lo
	s_delay_alu instid0(VALU_DEP_2)
	v_lshrrev_b32_e32 v90, v91, v90
; %bb.8172:                             ;   in Loop: Header=BB6_8048 Depth=3
	s_and_not1_saveexec_b32 s13, s13
; %bb.8173:                             ;   in Loop: Header=BB6_8048 Depth=3
	s_delay_alu instid0(VALU_DEP_1)
	v_bfe_u32 v102, v90, 23, 1
; %bb.8174:                             ;   in Loop: Header=BB6_8048 Depth=3
	s_or_b32 exec_lo, exec_lo, s13
	v_lshrrev_b32_e32 v90, 20, v90
	s_delay_alu instid0(VALU_DEP_2) | instskip(SKIP_2) | instid1(VALU_DEP_2)
	v_cmp_gt_i32_e32 vcc_lo, 16, v102
	v_lshrrev_b32_e32 v89, 24, v89
	v_min_i32_e32 v91, 15, v102
	v_dual_cndmask_b32 v90, 7, v90 :: v_dual_and_b32 v89, 0x80, v89
	s_delay_alu instid0(VALU_DEP_1) | instskip(SKIP_1) | instid1(VALU_DEP_2)
	v_or_b32_e32 v102, v102, v90
	v_and_b32_e32 v92, 7, v90
	v_cmp_ne_u32_e32 vcc_lo, 0, v102
	v_lshlrev_b32_e32 v91, 3, v91
	s_delay_alu instid0(VALU_DEP_1) | instskip(NEXT) | instid1(VALU_DEP_1)
	v_or3_b32 v89, v91, v89, v92
	v_cndmask_b32_e32 v102, 0, v89, vcc_lo
.LBB6_8175:                             ;   in Loop: Header=BB6_8048 Depth=3
	s_or_b32 exec_lo, exec_lo, s30
.LBB6_8176:                             ;   in Loop: Header=BB6_8048 Depth=3
	s_delay_alu instid0(SALU_CYCLE_1) | instskip(SKIP_3) | instid1(VALU_DEP_1)
	s_or_b32 exec_lo, exec_lo, s17
	v_and_b32_e32 v90, 0xff, v88
	s_mov_b32 s13, 0
	s_mov_b32 s30, exec_lo
                                        ; implicit-def: $sgpr17
	v_cmpx_lt_i16_e32 0x7f, v90
	s_xor_b32 s30, exec_lo, s30
	s_cbranch_execnz .LBB6_8622
; %bb.8177:                             ;   in Loop: Header=BB6_8048 Depth=3
	s_or_saveexec_b32 s30, s30
	v_mov_b32_e32 v89, s17
	s_xor_b32 exec_lo, exec_lo, s30
	s_cbranch_execnz .LBB6_8625
.LBB6_8178:                             ;   in Loop: Header=BB6_8048 Depth=3
	s_or_b32 exec_lo, exec_lo, s30
	s_and_saveexec_b32 s17, s13
	s_cbranch_execz .LBB6_8180
.LBB6_8179:                             ;   in Loop: Header=BB6_8048 Depth=3
	v_lshrrev_b16 v92, 3, v88
	s_delay_alu instid0(VALU_DEP_1) | instskip(NEXT) | instid1(VALU_DEP_1)
	v_and_b32_e32 v92, 15, v92
	v_cmp_eq_u32_e32 vcc_lo, 0, v92
	v_and_b32_e32 v89, 7, v88
	s_delay_alu instid0(VALU_DEP_1) | instskip(NEXT) | instid1(VALU_DEP_1)
	v_clz_i32_u32_e32 v90, v89
	v_min_u32_e32 v90, 32, v90
	s_delay_alu instid0(VALU_DEP_1) | instskip(SKIP_1) | instid1(VALU_DEP_1)
	v_subrev_nc_u32_e32 v91, 28, v90
	v_sub_nc_u32_e32 v90, 29, v90
	v_dual_cndmask_b32 v90, v92, v90 :: v_dual_lshlrev_b32 v91, v91, v88
	v_lshlrev_b32_e32 v88, 24, v88
	s_delay_alu instid0(VALU_DEP_2) | instskip(NEXT) | instid1(VALU_DEP_3)
	v_and_b32_e32 v91, 7, v91
	v_lshl_add_u32 v90, v90, 23, 0x3b800000
	s_delay_alu instid0(VALU_DEP_2) | instskip(NEXT) | instid1(VALU_DEP_1)
	v_dual_cndmask_b32 v89, v89, v91 :: v_dual_and_b32 v88, 0x80000000, v88
	v_lshlrev_b32_e32 v89, 20, v89
	s_delay_alu instid0(VALU_DEP_1)
	v_or3_b32 v89, v88, v90, v89
.LBB6_8180:                             ;   in Loop: Header=BB6_8048 Depth=3
	s_or_b32 exec_lo, exec_lo, s17
	s_waitcnt vmcnt(23) lgkmcnt(23)
	v_and_b32_e32 v90, 0xff, v114
	s_mov_b32 s13, 0
	s_mov_b32 s30, exec_lo
                                        ; implicit-def: $sgpr17
	s_delay_alu instid0(VALU_DEP_1)
	v_cmpx_lt_i16_e32 0x7f, v90
	s_xor_b32 s30, exec_lo, s30
	s_cbranch_execnz .LBB6_8626
; %bb.8181:                             ;   in Loop: Header=BB6_8048 Depth=3
	s_or_saveexec_b32 s30, s30
	v_mov_b32_e32 v88, s17
	s_xor_b32 exec_lo, exec_lo, s30
	s_cbranch_execnz .LBB6_8629
.LBB6_8182:                             ;   in Loop: Header=BB6_8048 Depth=3
	s_or_b32 exec_lo, exec_lo, s30
	s_and_saveexec_b32 s17, s13
	s_cbranch_execz .LBB6_8184
.LBB6_8183:                             ;   in Loop: Header=BB6_8048 Depth=3
	v_and_b32_e32 v88, 7, v114
	v_lshrrev_b16 v92, 3, v114
	s_delay_alu instid0(VALU_DEP_2) | instskip(NEXT) | instid1(VALU_DEP_2)
	v_clz_i32_u32_e32 v90, v88
	v_and_b32_e32 v92, 15, v92
	s_delay_alu instid0(VALU_DEP_2) | instskip(NEXT) | instid1(VALU_DEP_2)
	v_min_u32_e32 v90, 32, v90
	v_cmp_eq_u32_e32 vcc_lo, 0, v92
	s_delay_alu instid0(VALU_DEP_2) | instskip(SKIP_1) | instid1(VALU_DEP_2)
	v_subrev_nc_u32_e32 v91, 28, v90
	v_sub_nc_u32_e32 v90, 29, v90
	v_lshlrev_b32_e32 v91, v91, v114
	v_lshlrev_b32_e32 v114, 24, v114
	s_delay_alu instid0(VALU_DEP_2) | instskip(NEXT) | instid1(VALU_DEP_2)
	v_dual_cndmask_b32 v90, v92, v90 :: v_dual_and_b32 v91, 7, v91
	v_and_b32_e32 v114, 0x80000000, v114
	s_delay_alu instid0(VALU_DEP_2) | instskip(NEXT) | instid1(VALU_DEP_3)
	v_lshl_add_u32 v90, v90, 23, 0x3b800000
	v_cndmask_b32_e32 v88, v88, v91, vcc_lo
	s_delay_alu instid0(VALU_DEP_1) | instskip(NEXT) | instid1(VALU_DEP_1)
	v_lshlrev_b32_e32 v88, 20, v88
	v_or3_b32 v88, v114, v90, v88
.LBB6_8184:                             ;   in Loop: Header=BB6_8048 Depth=3
	s_or_b32 exec_lo, exec_lo, s17
	s_delay_alu instid0(VALU_DEP_1) | instskip(NEXT) | instid1(VALU_DEP_1)
	v_add_f32_e32 v88, v89, v88
	v_and_b32_e32 v114, 0x7f800000, v88
	s_delay_alu instid0(VALU_DEP_1)
	v_cmp_ne_u32_e32 vcc_lo, 0x7f800000, v114
	v_mov_b32_e32 v114, 0x80
	s_and_saveexec_b32 s17, vcc_lo
	s_cbranch_execz .LBB6_8192
; %bb.8185:                             ;   in Loop: Header=BB6_8048 Depth=3
	v_mov_b32_e32 v114, 0
	s_mov_b32 s30, exec_lo
	v_cmpx_ne_u32_e32 0, v88
	s_cbranch_execz .LBB6_8191
; %bb.8186:                             ;   in Loop: Header=BB6_8048 Depth=3
	v_bfe_u32 v114, v88, 23, 8
	s_delay_alu instid0(VALU_DEP_1) | instskip(SKIP_1) | instid1(VALU_DEP_2)
	v_sub_nc_u32_e32 v90, 0x78, v114
	v_cmp_gt_u32_e32 vcc_lo, 0x79, v114
	v_dual_cndmask_b32 v90, 0, v90 :: v_dual_and_b32 v89, 0x7fffff, v88
	s_delay_alu instid0(VALU_DEP_1) | instskip(SKIP_2) | instid1(VALU_DEP_4)
	v_or_b32_e32 v91, 0x800000, v89
	v_cmp_eq_u32_e32 vcc_lo, 0, v114
	v_add_nc_u32_e32 v114, 0xffffff89, v114
	v_cndmask_b32_e64 v90, v90, 0x77, vcc_lo
	s_delay_alu instid0(VALU_DEP_4) | instskip(NEXT) | instid1(VALU_DEP_3)
	v_cndmask_b32_e32 v89, v91, v89, vcc_lo
	v_cndmask_b32_e64 v114, v114, 0xffffff8a, vcc_lo
	s_delay_alu instid0(VALU_DEP_3) | instskip(NEXT) | instid1(VALU_DEP_3)
	v_lshl_add_u32 v91, 0x100000, v90, -1
	v_lshrrev_b32_e32 v92, v90, v89
	v_lshlrev_b32_e64 v94, v90, 0x80000
	s_delay_alu instid0(VALU_DEP_4) | instskip(NEXT) | instid1(VALU_DEP_4)
	v_add_nc_u32_e32 v90, v90, v114
	v_and_b32_e32 v89, v91, v89
	s_delay_alu instid0(VALU_DEP_4) | instskip(NEXT) | instid1(VALU_DEP_2)
	v_bfe_u32 v93, v92, 20, 1
	v_cmp_eq_u32_e64 s13, v89, v94
	s_delay_alu instid0(VALU_DEP_2) | instskip(NEXT) | instid1(VALU_DEP_1)
	v_add_nc_u32_e32 v91, -1, v93
	v_cndmask_b32_e64 v89, 0, v91, s13
	v_lshrrev_b32_e32 v91, 23, v92
	s_mov_b32 s13, exec_lo
	s_delay_alu instid0(VALU_DEP_2) | instskip(NEXT) | instid1(VALU_DEP_2)
	v_add_nc_u32_e32 v89, v89, v92
	v_xor_b32_e32 v91, 1, v91
	s_delay_alu instid0(VALU_DEP_2) | instskip(NEXT) | instid1(VALU_DEP_1)
	v_and_b32_e32 v114, 0xfffff, v89
	v_add_nc_u32_e32 v89, v114, v92
                                        ; implicit-def: $vgpr114
	s_delay_alu instid0(VALU_DEP_3)
	v_cmpx_ne_u32_e64 v90, v91
	s_xor_b32 s13, exec_lo, s13
; %bb.8187:                             ;   in Loop: Header=BB6_8048 Depth=3
	s_delay_alu instid0(VALU_DEP_2) | instskip(SKIP_2) | instid1(VALU_DEP_2)
	v_cmp_lt_u32_e32 vcc_lo, 0xffffff, v89
	v_sub_nc_u32_e32 v114, v90, v91
	v_cndmask_b32_e64 v90, 0, 1, vcc_lo
	v_add_co_ci_u32_e32 v114, vcc_lo, 0, v114, vcc_lo
	s_delay_alu instid0(VALU_DEP_2)
	v_lshrrev_b32_e32 v89, v90, v89
; %bb.8188:                             ;   in Loop: Header=BB6_8048 Depth=3
	s_and_not1_saveexec_b32 s13, s13
; %bb.8189:                             ;   in Loop: Header=BB6_8048 Depth=3
	s_delay_alu instid0(VALU_DEP_1)
	v_bfe_u32 v114, v89, 23, 1
; %bb.8190:                             ;   in Loop: Header=BB6_8048 Depth=3
	s_or_b32 exec_lo, exec_lo, s13
	v_lshrrev_b32_e32 v89, 20, v89
	s_delay_alu instid0(VALU_DEP_2) | instskip(SKIP_2) | instid1(VALU_DEP_2)
	v_cmp_gt_i32_e32 vcc_lo, 16, v114
	v_lshrrev_b32_e32 v88, 24, v88
	v_min_i32_e32 v90, 15, v114
	v_dual_cndmask_b32 v89, 7, v89 :: v_dual_and_b32 v88, 0x80, v88
	s_delay_alu instid0(VALU_DEP_2) | instskip(NEXT) | instid1(VALU_DEP_2)
	v_lshlrev_b32_e32 v90, 3, v90
	v_or_b32_e32 v114, v114, v89
	s_delay_alu instid0(VALU_DEP_1) | instskip(SKIP_1) | instid1(VALU_DEP_1)
	v_cmp_ne_u32_e32 vcc_lo, 0, v114
	v_and_b32_e32 v91, 7, v89
	v_or3_b32 v88, v90, v88, v91
	s_delay_alu instid0(VALU_DEP_1)
	v_cndmask_b32_e32 v114, 0, v88, vcc_lo
.LBB6_8191:                             ;   in Loop: Header=BB6_8048 Depth=3
	s_or_b32 exec_lo, exec_lo, s30
.LBB6_8192:                             ;   in Loop: Header=BB6_8048 Depth=3
	s_delay_alu instid0(SALU_CYCLE_1) | instskip(SKIP_3) | instid1(VALU_DEP_1)
	s_or_b32 exec_lo, exec_lo, s17
	v_and_b32_e32 v89, 0xff, v79
	s_mov_b32 s13, 0
	s_mov_b32 s30, exec_lo
                                        ; implicit-def: $sgpr17
	v_cmpx_lt_i16_e32 0x7f, v89
	s_xor_b32 s30, exec_lo, s30
	s_cbranch_execnz .LBB6_8630
; %bb.8193:                             ;   in Loop: Header=BB6_8048 Depth=3
	s_or_saveexec_b32 s30, s30
	v_mov_b32_e32 v88, s17
	s_xor_b32 exec_lo, exec_lo, s30
	s_cbranch_execnz .LBB6_8633
.LBB6_8194:                             ;   in Loop: Header=BB6_8048 Depth=3
	s_or_b32 exec_lo, exec_lo, s30
	s_and_saveexec_b32 s17, s13
	s_cbranch_execz .LBB6_8196
.LBB6_8195:                             ;   in Loop: Header=BB6_8048 Depth=3
	v_lshrrev_b16 v91, 3, v79
	s_delay_alu instid0(VALU_DEP_1) | instskip(NEXT) | instid1(VALU_DEP_1)
	v_and_b32_e32 v91, 15, v91
	v_cmp_eq_u32_e32 vcc_lo, 0, v91
	v_and_b32_e32 v88, 7, v79
	s_delay_alu instid0(VALU_DEP_1) | instskip(NEXT) | instid1(VALU_DEP_1)
	v_clz_i32_u32_e32 v89, v88
	v_min_u32_e32 v89, 32, v89
	s_delay_alu instid0(VALU_DEP_1) | instskip(SKIP_1) | instid1(VALU_DEP_1)
	v_subrev_nc_u32_e32 v90, 28, v89
	v_sub_nc_u32_e32 v89, 29, v89
	v_dual_cndmask_b32 v89, v91, v89 :: v_dual_lshlrev_b32 v90, v90, v79
	v_lshlrev_b32_e32 v79, 24, v79
	s_delay_alu instid0(VALU_DEP_2) | instskip(NEXT) | instid1(VALU_DEP_3)
	v_and_b32_e32 v90, 7, v90
	v_lshl_add_u32 v89, v89, 23, 0x3b800000
	s_delay_alu instid0(VALU_DEP_2) | instskip(NEXT) | instid1(VALU_DEP_1)
	v_dual_cndmask_b32 v88, v88, v90 :: v_dual_and_b32 v79, 0x80000000, v79
	v_lshlrev_b32_e32 v88, 20, v88
	s_delay_alu instid0(VALU_DEP_1)
	v_or3_b32 v88, v79, v89, v88
.LBB6_8196:                             ;   in Loop: Header=BB6_8048 Depth=3
	s_or_b32 exec_lo, exec_lo, s17
	s_waitcnt vmcnt(22) lgkmcnt(22)
	v_and_b32_e32 v89, 0xff, v117
	s_mov_b32 s13, 0
	s_mov_b32 s30, exec_lo
                                        ; implicit-def: $sgpr17
	s_delay_alu instid0(VALU_DEP_1)
	v_cmpx_lt_i16_e32 0x7f, v89
	s_xor_b32 s30, exec_lo, s30
	s_cbranch_execnz .LBB6_8634
; %bb.8197:                             ;   in Loop: Header=BB6_8048 Depth=3
	s_or_saveexec_b32 s30, s30
	v_mov_b32_e32 v79, s17
	s_xor_b32 exec_lo, exec_lo, s30
	s_cbranch_execnz .LBB6_8637
.LBB6_8198:                             ;   in Loop: Header=BB6_8048 Depth=3
	s_or_b32 exec_lo, exec_lo, s30
	s_and_saveexec_b32 s17, s13
	s_cbranch_execz .LBB6_8200
.LBB6_8199:                             ;   in Loop: Header=BB6_8048 Depth=3
	v_and_b32_e32 v79, 7, v117
	v_lshrrev_b16 v91, 3, v117
	s_delay_alu instid0(VALU_DEP_2) | instskip(NEXT) | instid1(VALU_DEP_2)
	v_clz_i32_u32_e32 v89, v79
	v_and_b32_e32 v91, 15, v91
	s_delay_alu instid0(VALU_DEP_2) | instskip(NEXT) | instid1(VALU_DEP_2)
	v_min_u32_e32 v89, 32, v89
	v_cmp_eq_u32_e32 vcc_lo, 0, v91
	s_delay_alu instid0(VALU_DEP_2) | instskip(SKIP_1) | instid1(VALU_DEP_2)
	v_subrev_nc_u32_e32 v90, 28, v89
	v_sub_nc_u32_e32 v89, 29, v89
	v_lshlrev_b32_e32 v90, v90, v117
	v_lshlrev_b32_e32 v117, 24, v117
	s_delay_alu instid0(VALU_DEP_2) | instskip(NEXT) | instid1(VALU_DEP_2)
	v_dual_cndmask_b32 v89, v91, v89 :: v_dual_and_b32 v90, 7, v90
	v_and_b32_e32 v117, 0x80000000, v117
	s_delay_alu instid0(VALU_DEP_2) | instskip(NEXT) | instid1(VALU_DEP_3)
	v_lshl_add_u32 v89, v89, 23, 0x3b800000
	v_cndmask_b32_e32 v79, v79, v90, vcc_lo
	s_delay_alu instid0(VALU_DEP_1) | instskip(NEXT) | instid1(VALU_DEP_1)
	v_lshlrev_b32_e32 v79, 20, v79
	v_or3_b32 v79, v117, v89, v79
.LBB6_8200:                             ;   in Loop: Header=BB6_8048 Depth=3
	s_or_b32 exec_lo, exec_lo, s17
	s_delay_alu instid0(VALU_DEP_1) | instskip(NEXT) | instid1(VALU_DEP_1)
	v_add_f32_e32 v79, v88, v79
	v_and_b32_e32 v117, 0x7f800000, v79
	s_delay_alu instid0(VALU_DEP_1)
	v_cmp_ne_u32_e32 vcc_lo, 0x7f800000, v117
	v_mov_b32_e32 v117, 0x80
	s_and_saveexec_b32 s17, vcc_lo
	s_cbranch_execz .LBB6_8208
; %bb.8201:                             ;   in Loop: Header=BB6_8048 Depth=3
	v_mov_b32_e32 v117, 0
	s_mov_b32 s30, exec_lo
	v_cmpx_ne_u32_e32 0, v79
	s_cbranch_execz .LBB6_8207
; %bb.8202:                             ;   in Loop: Header=BB6_8048 Depth=3
	v_bfe_u32 v117, v79, 23, 8
	s_delay_alu instid0(VALU_DEP_1) | instskip(SKIP_1) | instid1(VALU_DEP_2)
	v_sub_nc_u32_e32 v89, 0x78, v117
	v_cmp_gt_u32_e32 vcc_lo, 0x79, v117
	v_dual_cndmask_b32 v89, 0, v89 :: v_dual_and_b32 v88, 0x7fffff, v79
	s_delay_alu instid0(VALU_DEP_1) | instskip(SKIP_2) | instid1(VALU_DEP_4)
	v_or_b32_e32 v90, 0x800000, v88
	v_cmp_eq_u32_e32 vcc_lo, 0, v117
	v_add_nc_u32_e32 v117, 0xffffff89, v117
	v_cndmask_b32_e64 v89, v89, 0x77, vcc_lo
	s_delay_alu instid0(VALU_DEP_4) | instskip(NEXT) | instid1(VALU_DEP_3)
	v_cndmask_b32_e32 v88, v90, v88, vcc_lo
	v_cndmask_b32_e64 v117, v117, 0xffffff8a, vcc_lo
	s_delay_alu instid0(VALU_DEP_3) | instskip(NEXT) | instid1(VALU_DEP_3)
	v_lshl_add_u32 v90, 0x100000, v89, -1
	v_lshrrev_b32_e32 v91, v89, v88
	v_lshlrev_b32_e64 v93, v89, 0x80000
	s_delay_alu instid0(VALU_DEP_4) | instskip(NEXT) | instid1(VALU_DEP_4)
	v_add_nc_u32_e32 v89, v89, v117
	v_and_b32_e32 v88, v90, v88
	s_delay_alu instid0(VALU_DEP_4) | instskip(NEXT) | instid1(VALU_DEP_2)
	v_bfe_u32 v92, v91, 20, 1
	v_cmp_eq_u32_e64 s13, v88, v93
	s_delay_alu instid0(VALU_DEP_2) | instskip(NEXT) | instid1(VALU_DEP_1)
	v_add_nc_u32_e32 v90, -1, v92
	v_cndmask_b32_e64 v88, 0, v90, s13
	v_lshrrev_b32_e32 v90, 23, v91
	s_mov_b32 s13, exec_lo
	s_delay_alu instid0(VALU_DEP_2) | instskip(NEXT) | instid1(VALU_DEP_2)
	v_add_nc_u32_e32 v88, v88, v91
	v_xor_b32_e32 v90, 1, v90
	s_delay_alu instid0(VALU_DEP_2) | instskip(NEXT) | instid1(VALU_DEP_1)
	v_and_b32_e32 v117, 0xfffff, v88
	v_add_nc_u32_e32 v88, v117, v91
                                        ; implicit-def: $vgpr117
	s_delay_alu instid0(VALU_DEP_3)
	v_cmpx_ne_u32_e64 v89, v90
	s_xor_b32 s13, exec_lo, s13
; %bb.8203:                             ;   in Loop: Header=BB6_8048 Depth=3
	s_delay_alu instid0(VALU_DEP_2) | instskip(SKIP_2) | instid1(VALU_DEP_2)
	v_cmp_lt_u32_e32 vcc_lo, 0xffffff, v88
	v_sub_nc_u32_e32 v117, v89, v90
	v_cndmask_b32_e64 v89, 0, 1, vcc_lo
	v_add_co_ci_u32_e32 v117, vcc_lo, 0, v117, vcc_lo
	s_delay_alu instid0(VALU_DEP_2)
	v_lshrrev_b32_e32 v88, v89, v88
; %bb.8204:                             ;   in Loop: Header=BB6_8048 Depth=3
	s_and_not1_saveexec_b32 s13, s13
; %bb.8205:                             ;   in Loop: Header=BB6_8048 Depth=3
	s_delay_alu instid0(VALU_DEP_1)
	v_bfe_u32 v117, v88, 23, 1
; %bb.8206:                             ;   in Loop: Header=BB6_8048 Depth=3
	s_or_b32 exec_lo, exec_lo, s13
	v_lshrrev_b32_e32 v88, 20, v88
	s_delay_alu instid0(VALU_DEP_2) | instskip(SKIP_2) | instid1(VALU_DEP_2)
	v_cmp_gt_i32_e32 vcc_lo, 16, v117
	v_lshrrev_b32_e32 v79, 24, v79
	v_min_i32_e32 v89, 15, v117
	v_dual_cndmask_b32 v88, 7, v88 :: v_dual_and_b32 v79, 0x80, v79
	s_delay_alu instid0(VALU_DEP_2) | instskip(NEXT) | instid1(VALU_DEP_2)
	v_lshlrev_b32_e32 v89, 3, v89
	v_or_b32_e32 v117, v117, v88
	s_delay_alu instid0(VALU_DEP_1) | instskip(SKIP_1) | instid1(VALU_DEP_1)
	v_cmp_ne_u32_e32 vcc_lo, 0, v117
	v_and_b32_e32 v90, 7, v88
	v_or3_b32 v79, v89, v79, v90
	s_delay_alu instid0(VALU_DEP_1)
	v_cndmask_b32_e32 v117, 0, v79, vcc_lo
.LBB6_8207:                             ;   in Loop: Header=BB6_8048 Depth=3
	s_or_b32 exec_lo, exec_lo, s30
.LBB6_8208:                             ;   in Loop: Header=BB6_8048 Depth=3
	s_delay_alu instid0(SALU_CYCLE_1) | instskip(SKIP_3) | instid1(VALU_DEP_1)
	s_or_b32 exec_lo, exec_lo, s17
	v_and_b32_e32 v88, 0xff, v78
	s_mov_b32 s13, 0
	s_mov_b32 s30, exec_lo
                                        ; implicit-def: $sgpr17
	v_cmpx_lt_i16_e32 0x7f, v88
	s_xor_b32 s30, exec_lo, s30
	s_cbranch_execnz .LBB6_8638
; %bb.8209:                             ;   in Loop: Header=BB6_8048 Depth=3
	s_or_saveexec_b32 s30, s30
	v_mov_b32_e32 v79, s17
	s_xor_b32 exec_lo, exec_lo, s30
	s_cbranch_execnz .LBB6_8641
.LBB6_8210:                             ;   in Loop: Header=BB6_8048 Depth=3
	s_or_b32 exec_lo, exec_lo, s30
	s_and_saveexec_b32 s17, s13
	s_cbranch_execz .LBB6_8212
.LBB6_8211:                             ;   in Loop: Header=BB6_8048 Depth=3
	v_lshrrev_b16 v90, 3, v78
	s_delay_alu instid0(VALU_DEP_1) | instskip(NEXT) | instid1(VALU_DEP_1)
	v_and_b32_e32 v90, 15, v90
	v_cmp_eq_u32_e32 vcc_lo, 0, v90
	v_and_b32_e32 v79, 7, v78
	s_delay_alu instid0(VALU_DEP_1) | instskip(NEXT) | instid1(VALU_DEP_1)
	v_clz_i32_u32_e32 v88, v79
	v_min_u32_e32 v88, 32, v88
	s_delay_alu instid0(VALU_DEP_1) | instskip(SKIP_1) | instid1(VALU_DEP_1)
	v_subrev_nc_u32_e32 v89, 28, v88
	v_sub_nc_u32_e32 v88, 29, v88
	v_dual_cndmask_b32 v88, v90, v88 :: v_dual_lshlrev_b32 v89, v89, v78
	v_lshlrev_b32_e32 v78, 24, v78
	s_delay_alu instid0(VALU_DEP_2) | instskip(NEXT) | instid1(VALU_DEP_3)
	v_and_b32_e32 v89, 7, v89
	v_lshl_add_u32 v88, v88, 23, 0x3b800000
	s_delay_alu instid0(VALU_DEP_2) | instskip(NEXT) | instid1(VALU_DEP_1)
	v_dual_cndmask_b32 v79, v79, v89 :: v_dual_and_b32 v78, 0x80000000, v78
	v_lshlrev_b32_e32 v79, 20, v79
	s_delay_alu instid0(VALU_DEP_1)
	v_or3_b32 v79, v78, v88, v79
.LBB6_8212:                             ;   in Loop: Header=BB6_8048 Depth=3
	s_or_b32 exec_lo, exec_lo, s17
	s_waitcnt vmcnt(21) lgkmcnt(21)
	v_and_b32_e32 v88, 0xff, v41
	s_mov_b32 s13, 0
	s_mov_b32 s30, exec_lo
                                        ; implicit-def: $sgpr17
	s_delay_alu instid0(VALU_DEP_1)
	v_cmpx_lt_i16_e32 0x7f, v88
	s_xor_b32 s30, exec_lo, s30
	s_cbranch_execnz .LBB6_8642
; %bb.8213:                             ;   in Loop: Header=BB6_8048 Depth=3
	s_or_saveexec_b32 s30, s30
	v_mov_b32_e32 v78, s17
	s_xor_b32 exec_lo, exec_lo, s30
	s_cbranch_execnz .LBB6_8645
.LBB6_8214:                             ;   in Loop: Header=BB6_8048 Depth=3
	s_or_b32 exec_lo, exec_lo, s30
	s_and_saveexec_b32 s17, s13
	s_cbranch_execz .LBB6_8216
.LBB6_8215:                             ;   in Loop: Header=BB6_8048 Depth=3
	v_and_b32_e32 v78, 7, v41
	v_lshrrev_b16 v90, 3, v41
	s_delay_alu instid0(VALU_DEP_2) | instskip(NEXT) | instid1(VALU_DEP_2)
	v_clz_i32_u32_e32 v88, v78
	v_and_b32_e32 v90, 15, v90
	s_delay_alu instid0(VALU_DEP_2) | instskip(NEXT) | instid1(VALU_DEP_2)
	v_min_u32_e32 v88, 32, v88
	v_cmp_eq_u32_e32 vcc_lo, 0, v90
	s_delay_alu instid0(VALU_DEP_2) | instskip(SKIP_1) | instid1(VALU_DEP_1)
	v_subrev_nc_u32_e32 v89, 28, v88
	v_sub_nc_u32_e32 v88, 29, v88
	v_dual_cndmask_b32 v88, v90, v88 :: v_dual_lshlrev_b32 v89, v89, v41
	v_lshlrev_b32_e32 v41, 24, v41
	s_delay_alu instid0(VALU_DEP_2) | instskip(NEXT) | instid1(VALU_DEP_3)
	v_and_b32_e32 v89, 7, v89
	v_lshl_add_u32 v88, v88, 23, 0x3b800000
	s_delay_alu instid0(VALU_DEP_3) | instskip(NEXT) | instid1(VALU_DEP_3)
	v_and_b32_e32 v41, 0x80000000, v41
	v_cndmask_b32_e32 v78, v78, v89, vcc_lo
	s_delay_alu instid0(VALU_DEP_1) | instskip(NEXT) | instid1(VALU_DEP_1)
	v_lshlrev_b32_e32 v78, 20, v78
	v_or3_b32 v78, v41, v88, v78
.LBB6_8216:                             ;   in Loop: Header=BB6_8048 Depth=3
	s_or_b32 exec_lo, exec_lo, s17
	s_delay_alu instid0(VALU_DEP_1) | instskip(NEXT) | instid1(VALU_DEP_1)
	v_add_f32_e32 v78, v79, v78
	v_and_b32_e32 v41, 0x7f800000, v78
	s_delay_alu instid0(VALU_DEP_1)
	v_cmp_ne_u32_e32 vcc_lo, 0x7f800000, v41
	v_mov_b32_e32 v41, 0x80
	s_and_saveexec_b32 s17, vcc_lo
	s_cbranch_execz .LBB6_8224
; %bb.8217:                             ;   in Loop: Header=BB6_8048 Depth=3
	v_mov_b32_e32 v41, 0
	s_mov_b32 s30, exec_lo
	v_cmpx_ne_u32_e32 0, v78
	s_cbranch_execz .LBB6_8223
; %bb.8218:                             ;   in Loop: Header=BB6_8048 Depth=3
	v_bfe_u32 v41, v78, 23, 8
	s_delay_alu instid0(VALU_DEP_1) | instskip(SKIP_1) | instid1(VALU_DEP_2)
	v_sub_nc_u32_e32 v88, 0x78, v41
	v_cmp_gt_u32_e32 vcc_lo, 0x79, v41
	v_dual_cndmask_b32 v88, 0, v88 :: v_dual_and_b32 v79, 0x7fffff, v78
	s_delay_alu instid0(VALU_DEP_1) | instskip(SKIP_2) | instid1(VALU_DEP_4)
	v_or_b32_e32 v89, 0x800000, v79
	v_cmp_eq_u32_e32 vcc_lo, 0, v41
	v_add_nc_u32_e32 v41, 0xffffff89, v41
	v_cndmask_b32_e64 v88, v88, 0x77, vcc_lo
	s_delay_alu instid0(VALU_DEP_2) | instskip(SKIP_1) | instid1(VALU_DEP_3)
	v_cndmask_b32_e64 v41, v41, 0xffffff8a, vcc_lo
	v_cndmask_b32_e32 v79, v89, v79, vcc_lo
	v_lshl_add_u32 v89, 0x100000, v88, -1
	v_lshlrev_b32_e64 v92, v88, 0x80000
	s_delay_alu instid0(VALU_DEP_3) | instskip(SKIP_1) | instid1(VALU_DEP_4)
	v_lshrrev_b32_e32 v90, v88, v79
	v_add_nc_u32_e32 v88, v88, v41
	v_and_b32_e32 v79, v89, v79
	s_delay_alu instid0(VALU_DEP_3) | instskip(NEXT) | instid1(VALU_DEP_2)
	v_bfe_u32 v91, v90, 20, 1
	v_cmp_eq_u32_e64 s13, v79, v92
	s_delay_alu instid0(VALU_DEP_2) | instskip(NEXT) | instid1(VALU_DEP_1)
	v_add_nc_u32_e32 v89, -1, v91
	v_cndmask_b32_e64 v79, 0, v89, s13
	v_lshrrev_b32_e32 v89, 23, v90
	s_mov_b32 s13, exec_lo
	s_delay_alu instid0(VALU_DEP_2) | instskip(NEXT) | instid1(VALU_DEP_2)
	v_add_nc_u32_e32 v79, v79, v90
	v_xor_b32_e32 v89, 1, v89
	s_delay_alu instid0(VALU_DEP_2) | instskip(NEXT) | instid1(VALU_DEP_1)
	v_and_b32_e32 v41, 0xfffff, v79
	v_add_nc_u32_e32 v79, v41, v90
                                        ; implicit-def: $vgpr41
	s_delay_alu instid0(VALU_DEP_3)
	v_cmpx_ne_u32_e64 v88, v89
	s_xor_b32 s13, exec_lo, s13
; %bb.8219:                             ;   in Loop: Header=BB6_8048 Depth=3
	s_delay_alu instid0(VALU_DEP_2) | instskip(SKIP_2) | instid1(VALU_DEP_2)
	v_cmp_lt_u32_e32 vcc_lo, 0xffffff, v79
	v_sub_nc_u32_e32 v41, v88, v89
	v_cndmask_b32_e64 v88, 0, 1, vcc_lo
	v_add_co_ci_u32_e32 v41, vcc_lo, 0, v41, vcc_lo
	s_delay_alu instid0(VALU_DEP_2)
	v_lshrrev_b32_e32 v79, v88, v79
; %bb.8220:                             ;   in Loop: Header=BB6_8048 Depth=3
	s_and_not1_saveexec_b32 s13, s13
; %bb.8221:                             ;   in Loop: Header=BB6_8048 Depth=3
	s_delay_alu instid0(VALU_DEP_1)
	v_bfe_u32 v41, v79, 23, 1
; %bb.8222:                             ;   in Loop: Header=BB6_8048 Depth=3
	s_or_b32 exec_lo, exec_lo, s13
	v_lshrrev_b32_e32 v79, 20, v79
	s_delay_alu instid0(VALU_DEP_2) | instskip(SKIP_2) | instid1(VALU_DEP_2)
	v_cmp_gt_i32_e32 vcc_lo, 16, v41
	v_lshrrev_b32_e32 v78, 24, v78
	v_min_i32_e32 v88, 15, v41
	v_dual_cndmask_b32 v79, 7, v79 :: v_dual_and_b32 v78, 0x80, v78
	s_delay_alu instid0(VALU_DEP_1) | instskip(SKIP_1) | instid1(VALU_DEP_2)
	v_or_b32_e32 v41, v41, v79
	v_and_b32_e32 v89, 7, v79
	v_cmp_ne_u32_e32 vcc_lo, 0, v41
	v_lshlrev_b32_e32 v88, 3, v88
	s_delay_alu instid0(VALU_DEP_1) | instskip(NEXT) | instid1(VALU_DEP_1)
	v_or3_b32 v78, v88, v78, v89
	v_cndmask_b32_e32 v41, 0, v78, vcc_lo
.LBB6_8223:                             ;   in Loop: Header=BB6_8048 Depth=3
	s_or_b32 exec_lo, exec_lo, s30
.LBB6_8224:                             ;   in Loop: Header=BB6_8048 Depth=3
	s_delay_alu instid0(SALU_CYCLE_1) | instskip(SKIP_3) | instid1(VALU_DEP_1)
	s_or_b32 exec_lo, exec_lo, s17
	v_and_b32_e32 v79, 0xff, v77
	s_mov_b32 s13, 0
	s_mov_b32 s30, exec_lo
                                        ; implicit-def: $sgpr17
	v_cmpx_lt_i16_e32 0x7f, v79
	s_xor_b32 s30, exec_lo, s30
	s_cbranch_execnz .LBB6_8646
; %bb.8225:                             ;   in Loop: Header=BB6_8048 Depth=3
	s_or_saveexec_b32 s30, s30
	v_mov_b32_e32 v78, s17
	s_xor_b32 exec_lo, exec_lo, s30
	s_cbranch_execnz .LBB6_8649
.LBB6_8226:                             ;   in Loop: Header=BB6_8048 Depth=3
	s_or_b32 exec_lo, exec_lo, s30
	s_and_saveexec_b32 s17, s13
	s_cbranch_execz .LBB6_8228
.LBB6_8227:                             ;   in Loop: Header=BB6_8048 Depth=3
	v_lshrrev_b16 v89, 3, v77
	s_delay_alu instid0(VALU_DEP_1) | instskip(NEXT) | instid1(VALU_DEP_1)
	v_and_b32_e32 v89, 15, v89
	v_cmp_eq_u32_e32 vcc_lo, 0, v89
	v_and_b32_e32 v78, 7, v77
	s_delay_alu instid0(VALU_DEP_1) | instskip(NEXT) | instid1(VALU_DEP_1)
	v_clz_i32_u32_e32 v79, v78
	v_min_u32_e32 v79, 32, v79
	s_delay_alu instid0(VALU_DEP_1) | instskip(SKIP_1) | instid1(VALU_DEP_1)
	v_subrev_nc_u32_e32 v88, 28, v79
	v_sub_nc_u32_e32 v79, 29, v79
	v_dual_cndmask_b32 v79, v89, v79 :: v_dual_lshlrev_b32 v88, v88, v77
	v_lshlrev_b32_e32 v77, 24, v77
	s_delay_alu instid0(VALU_DEP_2) | instskip(NEXT) | instid1(VALU_DEP_3)
	v_and_b32_e32 v88, 7, v88
	v_lshl_add_u32 v79, v79, 23, 0x3b800000
	s_delay_alu instid0(VALU_DEP_2) | instskip(NEXT) | instid1(VALU_DEP_1)
	v_dual_cndmask_b32 v78, v78, v88 :: v_dual_and_b32 v77, 0x80000000, v77
	v_lshlrev_b32_e32 v78, 20, v78
	s_delay_alu instid0(VALU_DEP_1)
	v_or3_b32 v78, v77, v79, v78
.LBB6_8228:                             ;   in Loop: Header=BB6_8048 Depth=3
	s_or_b32 exec_lo, exec_lo, s17
	s_waitcnt vmcnt(20) lgkmcnt(20)
	v_and_b32_e32 v79, 0xff, v44
	s_mov_b32 s13, 0
	s_mov_b32 s30, exec_lo
                                        ; implicit-def: $sgpr17
	s_delay_alu instid0(VALU_DEP_1)
	v_cmpx_lt_i16_e32 0x7f, v79
	s_xor_b32 s30, exec_lo, s30
	s_cbranch_execnz .LBB6_8650
; %bb.8229:                             ;   in Loop: Header=BB6_8048 Depth=3
	s_or_saveexec_b32 s30, s30
	v_mov_b32_e32 v77, s17
	s_xor_b32 exec_lo, exec_lo, s30
	s_cbranch_execnz .LBB6_8653
.LBB6_8230:                             ;   in Loop: Header=BB6_8048 Depth=3
	s_or_b32 exec_lo, exec_lo, s30
	s_and_saveexec_b32 s17, s13
	s_cbranch_execz .LBB6_8232
.LBB6_8231:                             ;   in Loop: Header=BB6_8048 Depth=3
	v_and_b32_e32 v77, 7, v44
	v_lshrrev_b16 v89, 3, v44
	s_delay_alu instid0(VALU_DEP_2) | instskip(NEXT) | instid1(VALU_DEP_2)
	v_clz_i32_u32_e32 v79, v77
	v_and_b32_e32 v89, 15, v89
	s_delay_alu instid0(VALU_DEP_2) | instskip(NEXT) | instid1(VALU_DEP_2)
	v_min_u32_e32 v79, 32, v79
	v_cmp_eq_u32_e32 vcc_lo, 0, v89
	s_delay_alu instid0(VALU_DEP_2) | instskip(SKIP_1) | instid1(VALU_DEP_1)
	v_subrev_nc_u32_e32 v88, 28, v79
	v_sub_nc_u32_e32 v79, 29, v79
	v_dual_cndmask_b32 v79, v89, v79 :: v_dual_lshlrev_b32 v88, v88, v44
	v_lshlrev_b32_e32 v44, 24, v44
	s_delay_alu instid0(VALU_DEP_2) | instskip(NEXT) | instid1(VALU_DEP_3)
	v_and_b32_e32 v88, 7, v88
	v_lshl_add_u32 v79, v79, 23, 0x3b800000
	s_delay_alu instid0(VALU_DEP_3) | instskip(NEXT) | instid1(VALU_DEP_3)
	v_and_b32_e32 v44, 0x80000000, v44
	v_cndmask_b32_e32 v77, v77, v88, vcc_lo
	s_delay_alu instid0(VALU_DEP_1) | instskip(NEXT) | instid1(VALU_DEP_1)
	v_lshlrev_b32_e32 v77, 20, v77
	v_or3_b32 v77, v44, v79, v77
.LBB6_8232:                             ;   in Loop: Header=BB6_8048 Depth=3
	s_or_b32 exec_lo, exec_lo, s17
	s_delay_alu instid0(VALU_DEP_1) | instskip(NEXT) | instid1(VALU_DEP_1)
	v_add_f32_e32 v77, v78, v77
	v_and_b32_e32 v44, 0x7f800000, v77
	s_delay_alu instid0(VALU_DEP_1)
	v_cmp_ne_u32_e32 vcc_lo, 0x7f800000, v44
	v_mov_b32_e32 v44, 0x80
	s_and_saveexec_b32 s17, vcc_lo
	s_cbranch_execz .LBB6_8240
; %bb.8233:                             ;   in Loop: Header=BB6_8048 Depth=3
	v_mov_b32_e32 v44, 0
	s_mov_b32 s30, exec_lo
	v_cmpx_ne_u32_e32 0, v77
	s_cbranch_execz .LBB6_8239
; %bb.8234:                             ;   in Loop: Header=BB6_8048 Depth=3
	v_bfe_u32 v44, v77, 23, 8
	s_delay_alu instid0(VALU_DEP_1) | instskip(SKIP_1) | instid1(VALU_DEP_2)
	v_sub_nc_u32_e32 v79, 0x78, v44
	v_cmp_gt_u32_e32 vcc_lo, 0x79, v44
	v_dual_cndmask_b32 v79, 0, v79 :: v_dual_and_b32 v78, 0x7fffff, v77
	s_delay_alu instid0(VALU_DEP_1) | instskip(SKIP_2) | instid1(VALU_DEP_4)
	v_or_b32_e32 v88, 0x800000, v78
	v_cmp_eq_u32_e32 vcc_lo, 0, v44
	v_add_nc_u32_e32 v44, 0xffffff89, v44
	v_cndmask_b32_e64 v79, v79, 0x77, vcc_lo
	s_delay_alu instid0(VALU_DEP_2) | instskip(SKIP_1) | instid1(VALU_DEP_3)
	v_cndmask_b32_e64 v44, v44, 0xffffff8a, vcc_lo
	v_cndmask_b32_e32 v78, v88, v78, vcc_lo
	v_lshl_add_u32 v88, 0x100000, v79, -1
	v_lshlrev_b32_e64 v91, v79, 0x80000
	s_delay_alu instid0(VALU_DEP_3) | instskip(SKIP_1) | instid1(VALU_DEP_4)
	v_lshrrev_b32_e32 v89, v79, v78
	v_add_nc_u32_e32 v79, v79, v44
	v_and_b32_e32 v78, v88, v78
	s_delay_alu instid0(VALU_DEP_3) | instskip(NEXT) | instid1(VALU_DEP_2)
	v_bfe_u32 v90, v89, 20, 1
	v_cmp_eq_u32_e64 s13, v78, v91
	s_delay_alu instid0(VALU_DEP_2) | instskip(NEXT) | instid1(VALU_DEP_1)
	v_add_nc_u32_e32 v88, -1, v90
	v_cndmask_b32_e64 v78, 0, v88, s13
	v_lshrrev_b32_e32 v88, 23, v89
	s_mov_b32 s13, exec_lo
	s_delay_alu instid0(VALU_DEP_2) | instskip(NEXT) | instid1(VALU_DEP_2)
	v_add_nc_u32_e32 v78, v78, v89
	v_xor_b32_e32 v88, 1, v88
	s_delay_alu instid0(VALU_DEP_2) | instskip(NEXT) | instid1(VALU_DEP_1)
	v_and_b32_e32 v44, 0xfffff, v78
	v_add_nc_u32_e32 v78, v44, v89
                                        ; implicit-def: $vgpr44
	s_delay_alu instid0(VALU_DEP_3)
	v_cmpx_ne_u32_e64 v79, v88
	s_xor_b32 s13, exec_lo, s13
; %bb.8235:                             ;   in Loop: Header=BB6_8048 Depth=3
	s_delay_alu instid0(VALU_DEP_2) | instskip(SKIP_2) | instid1(VALU_DEP_2)
	v_cmp_lt_u32_e32 vcc_lo, 0xffffff, v78
	v_sub_nc_u32_e32 v44, v79, v88
	v_cndmask_b32_e64 v79, 0, 1, vcc_lo
	v_add_co_ci_u32_e32 v44, vcc_lo, 0, v44, vcc_lo
	s_delay_alu instid0(VALU_DEP_2)
	v_lshrrev_b32_e32 v78, v79, v78
; %bb.8236:                             ;   in Loop: Header=BB6_8048 Depth=3
	s_and_not1_saveexec_b32 s13, s13
; %bb.8237:                             ;   in Loop: Header=BB6_8048 Depth=3
	s_delay_alu instid0(VALU_DEP_1)
	v_bfe_u32 v44, v78, 23, 1
; %bb.8238:                             ;   in Loop: Header=BB6_8048 Depth=3
	s_or_b32 exec_lo, exec_lo, s13
	v_lshrrev_b32_e32 v78, 20, v78
	s_delay_alu instid0(VALU_DEP_2) | instskip(SKIP_2) | instid1(VALU_DEP_2)
	v_cmp_gt_i32_e32 vcc_lo, 16, v44
	v_lshrrev_b32_e32 v77, 24, v77
	v_min_i32_e32 v79, 15, v44
	v_dual_cndmask_b32 v78, 7, v78 :: v_dual_and_b32 v77, 0x80, v77
	s_delay_alu instid0(VALU_DEP_1) | instskip(SKIP_1) | instid1(VALU_DEP_2)
	v_or_b32_e32 v44, v44, v78
	v_and_b32_e32 v88, 7, v78
	v_cmp_ne_u32_e32 vcc_lo, 0, v44
	v_lshlrev_b32_e32 v79, 3, v79
	s_delay_alu instid0(VALU_DEP_1) | instskip(NEXT) | instid1(VALU_DEP_1)
	v_or3_b32 v77, v79, v77, v88
	v_cndmask_b32_e32 v44, 0, v77, vcc_lo
.LBB6_8239:                             ;   in Loop: Header=BB6_8048 Depth=3
	s_or_b32 exec_lo, exec_lo, s30
.LBB6_8240:                             ;   in Loop: Header=BB6_8048 Depth=3
	s_delay_alu instid0(SALU_CYCLE_1) | instskip(SKIP_3) | instid1(VALU_DEP_1)
	s_or_b32 exec_lo, exec_lo, s17
	v_and_b32_e32 v78, 0xff, v76
	s_mov_b32 s13, 0
	s_mov_b32 s30, exec_lo
                                        ; implicit-def: $sgpr17
	v_cmpx_lt_i16_e32 0x7f, v78
	s_xor_b32 s30, exec_lo, s30
	s_cbranch_execnz .LBB6_8654
; %bb.8241:                             ;   in Loop: Header=BB6_8048 Depth=3
	s_or_saveexec_b32 s30, s30
	v_mov_b32_e32 v77, s17
	s_xor_b32 exec_lo, exec_lo, s30
	s_cbranch_execnz .LBB6_8657
.LBB6_8242:                             ;   in Loop: Header=BB6_8048 Depth=3
	s_or_b32 exec_lo, exec_lo, s30
	s_and_saveexec_b32 s17, s13
	s_cbranch_execz .LBB6_8244
.LBB6_8243:                             ;   in Loop: Header=BB6_8048 Depth=3
	v_lshrrev_b16 v88, 3, v76
	s_delay_alu instid0(VALU_DEP_1) | instskip(NEXT) | instid1(VALU_DEP_1)
	v_and_b32_e32 v88, 15, v88
	v_cmp_eq_u32_e32 vcc_lo, 0, v88
	v_and_b32_e32 v77, 7, v76
	s_delay_alu instid0(VALU_DEP_1) | instskip(NEXT) | instid1(VALU_DEP_1)
	v_clz_i32_u32_e32 v78, v77
	v_min_u32_e32 v78, 32, v78
	s_delay_alu instid0(VALU_DEP_1) | instskip(SKIP_1) | instid1(VALU_DEP_1)
	v_subrev_nc_u32_e32 v79, 28, v78
	v_sub_nc_u32_e32 v78, 29, v78
	v_dual_cndmask_b32 v78, v88, v78 :: v_dual_lshlrev_b32 v79, v79, v76
	v_lshlrev_b32_e32 v76, 24, v76
	s_delay_alu instid0(VALU_DEP_2) | instskip(NEXT) | instid1(VALU_DEP_3)
	v_and_b32_e32 v79, 7, v79
	v_lshl_add_u32 v78, v78, 23, 0x3b800000
	s_delay_alu instid0(VALU_DEP_2) | instskip(NEXT) | instid1(VALU_DEP_1)
	v_dual_cndmask_b32 v77, v77, v79 :: v_dual_and_b32 v76, 0x80000000, v76
	v_lshlrev_b32_e32 v77, 20, v77
	s_delay_alu instid0(VALU_DEP_1)
	v_or3_b32 v77, v76, v78, v77
.LBB6_8244:                             ;   in Loop: Header=BB6_8048 Depth=3
	s_or_b32 exec_lo, exec_lo, s17
	s_waitcnt vmcnt(19) lgkmcnt(19)
	v_and_b32_e32 v78, 0xff, v47
	s_mov_b32 s13, 0
	s_mov_b32 s30, exec_lo
                                        ; implicit-def: $sgpr17
	s_delay_alu instid0(VALU_DEP_1)
	v_cmpx_lt_i16_e32 0x7f, v78
	s_xor_b32 s30, exec_lo, s30
	s_cbranch_execnz .LBB6_8658
; %bb.8245:                             ;   in Loop: Header=BB6_8048 Depth=3
	s_or_saveexec_b32 s30, s30
	v_mov_b32_e32 v76, s17
	s_xor_b32 exec_lo, exec_lo, s30
	s_cbranch_execnz .LBB6_8661
.LBB6_8246:                             ;   in Loop: Header=BB6_8048 Depth=3
	s_or_b32 exec_lo, exec_lo, s30
	s_and_saveexec_b32 s17, s13
	s_cbranch_execz .LBB6_8248
.LBB6_8247:                             ;   in Loop: Header=BB6_8048 Depth=3
	v_and_b32_e32 v76, 7, v47
	v_lshrrev_b16 v88, 3, v47
	s_delay_alu instid0(VALU_DEP_2) | instskip(NEXT) | instid1(VALU_DEP_2)
	v_clz_i32_u32_e32 v78, v76
	v_and_b32_e32 v88, 15, v88
	s_delay_alu instid0(VALU_DEP_2) | instskip(NEXT) | instid1(VALU_DEP_2)
	v_min_u32_e32 v78, 32, v78
	v_cmp_eq_u32_e32 vcc_lo, 0, v88
	s_delay_alu instid0(VALU_DEP_2) | instskip(SKIP_1) | instid1(VALU_DEP_1)
	v_subrev_nc_u32_e32 v79, 28, v78
	v_sub_nc_u32_e32 v78, 29, v78
	v_dual_cndmask_b32 v78, v88, v78 :: v_dual_lshlrev_b32 v79, v79, v47
	v_lshlrev_b32_e32 v47, 24, v47
	s_delay_alu instid0(VALU_DEP_2) | instskip(NEXT) | instid1(VALU_DEP_3)
	v_and_b32_e32 v79, 7, v79
	v_lshl_add_u32 v78, v78, 23, 0x3b800000
	s_delay_alu instid0(VALU_DEP_3) | instskip(NEXT) | instid1(VALU_DEP_3)
	v_and_b32_e32 v47, 0x80000000, v47
	v_cndmask_b32_e32 v76, v76, v79, vcc_lo
	s_delay_alu instid0(VALU_DEP_1) | instskip(NEXT) | instid1(VALU_DEP_1)
	v_lshlrev_b32_e32 v76, 20, v76
	v_or3_b32 v76, v47, v78, v76
.LBB6_8248:                             ;   in Loop: Header=BB6_8048 Depth=3
	s_or_b32 exec_lo, exec_lo, s17
	s_delay_alu instid0(VALU_DEP_1) | instskip(NEXT) | instid1(VALU_DEP_1)
	v_add_f32_e32 v76, v77, v76
	v_and_b32_e32 v47, 0x7f800000, v76
	s_delay_alu instid0(VALU_DEP_1)
	v_cmp_ne_u32_e32 vcc_lo, 0x7f800000, v47
	v_mov_b32_e32 v47, 0x80
	s_and_saveexec_b32 s17, vcc_lo
	s_cbranch_execz .LBB6_8256
; %bb.8249:                             ;   in Loop: Header=BB6_8048 Depth=3
	v_mov_b32_e32 v47, 0
	s_mov_b32 s30, exec_lo
	v_cmpx_ne_u32_e32 0, v76
	s_cbranch_execz .LBB6_8255
; %bb.8250:                             ;   in Loop: Header=BB6_8048 Depth=3
	v_bfe_u32 v47, v76, 23, 8
	s_delay_alu instid0(VALU_DEP_1) | instskip(SKIP_1) | instid1(VALU_DEP_2)
	v_sub_nc_u32_e32 v78, 0x78, v47
	v_cmp_gt_u32_e32 vcc_lo, 0x79, v47
	v_dual_cndmask_b32 v78, 0, v78 :: v_dual_and_b32 v77, 0x7fffff, v76
	s_delay_alu instid0(VALU_DEP_1) | instskip(SKIP_2) | instid1(VALU_DEP_4)
	v_or_b32_e32 v79, 0x800000, v77
	v_cmp_eq_u32_e32 vcc_lo, 0, v47
	v_add_nc_u32_e32 v47, 0xffffff89, v47
	v_cndmask_b32_e64 v78, v78, 0x77, vcc_lo
	s_delay_alu instid0(VALU_DEP_2) | instskip(SKIP_1) | instid1(VALU_DEP_3)
	v_cndmask_b32_e64 v47, v47, 0xffffff8a, vcc_lo
	v_cndmask_b32_e32 v77, v79, v77, vcc_lo
	v_lshl_add_u32 v79, 0x100000, v78, -1
	v_lshlrev_b32_e64 v90, v78, 0x80000
	s_delay_alu instid0(VALU_DEP_3) | instskip(SKIP_1) | instid1(VALU_DEP_4)
	v_lshrrev_b32_e32 v88, v78, v77
	v_add_nc_u32_e32 v78, v78, v47
	v_and_b32_e32 v77, v79, v77
	s_delay_alu instid0(VALU_DEP_3) | instskip(NEXT) | instid1(VALU_DEP_2)
	v_bfe_u32 v89, v88, 20, 1
	v_cmp_eq_u32_e64 s13, v77, v90
	s_delay_alu instid0(VALU_DEP_2) | instskip(NEXT) | instid1(VALU_DEP_1)
	v_add_nc_u32_e32 v79, -1, v89
	v_cndmask_b32_e64 v77, 0, v79, s13
	v_lshrrev_b32_e32 v79, 23, v88
	s_mov_b32 s13, exec_lo
	s_delay_alu instid0(VALU_DEP_2) | instskip(NEXT) | instid1(VALU_DEP_2)
	v_add_nc_u32_e32 v77, v77, v88
	v_xor_b32_e32 v79, 1, v79
	s_delay_alu instid0(VALU_DEP_2) | instskip(NEXT) | instid1(VALU_DEP_1)
	v_and_b32_e32 v47, 0xfffff, v77
	v_add_nc_u32_e32 v77, v47, v88
                                        ; implicit-def: $vgpr47
	s_delay_alu instid0(VALU_DEP_3)
	v_cmpx_ne_u32_e64 v78, v79
	s_xor_b32 s13, exec_lo, s13
; %bb.8251:                             ;   in Loop: Header=BB6_8048 Depth=3
	s_delay_alu instid0(VALU_DEP_2) | instskip(SKIP_2) | instid1(VALU_DEP_2)
	v_cmp_lt_u32_e32 vcc_lo, 0xffffff, v77
	v_sub_nc_u32_e32 v47, v78, v79
	v_cndmask_b32_e64 v78, 0, 1, vcc_lo
	v_add_co_ci_u32_e32 v47, vcc_lo, 0, v47, vcc_lo
	s_delay_alu instid0(VALU_DEP_2)
	v_lshrrev_b32_e32 v77, v78, v77
; %bb.8252:                             ;   in Loop: Header=BB6_8048 Depth=3
	s_and_not1_saveexec_b32 s13, s13
; %bb.8253:                             ;   in Loop: Header=BB6_8048 Depth=3
	s_delay_alu instid0(VALU_DEP_1)
	v_bfe_u32 v47, v77, 23, 1
; %bb.8254:                             ;   in Loop: Header=BB6_8048 Depth=3
	s_or_b32 exec_lo, exec_lo, s13
	v_lshrrev_b32_e32 v77, 20, v77
	s_delay_alu instid0(VALU_DEP_2) | instskip(SKIP_2) | instid1(VALU_DEP_2)
	v_cmp_gt_i32_e32 vcc_lo, 16, v47
	v_lshrrev_b32_e32 v76, 24, v76
	v_min_i32_e32 v78, 15, v47
	v_dual_cndmask_b32 v77, 7, v77 :: v_dual_and_b32 v76, 0x80, v76
	s_delay_alu instid0(VALU_DEP_1) | instskip(SKIP_1) | instid1(VALU_DEP_2)
	v_or_b32_e32 v47, v47, v77
	v_and_b32_e32 v79, 7, v77
	v_cmp_ne_u32_e32 vcc_lo, 0, v47
	v_lshlrev_b32_e32 v78, 3, v78
	s_delay_alu instid0(VALU_DEP_1) | instskip(NEXT) | instid1(VALU_DEP_1)
	v_or3_b32 v76, v78, v76, v79
	v_cndmask_b32_e32 v47, 0, v76, vcc_lo
.LBB6_8255:                             ;   in Loop: Header=BB6_8048 Depth=3
	s_or_b32 exec_lo, exec_lo, s30
.LBB6_8256:                             ;   in Loop: Header=BB6_8048 Depth=3
	s_delay_alu instid0(SALU_CYCLE_1) | instskip(SKIP_3) | instid1(VALU_DEP_1)
	s_or_b32 exec_lo, exec_lo, s17
	v_and_b32_e32 v77, 0xff, v75
	s_mov_b32 s13, 0
	s_mov_b32 s30, exec_lo
                                        ; implicit-def: $sgpr17
	v_cmpx_lt_i16_e32 0x7f, v77
	s_xor_b32 s30, exec_lo, s30
	s_cbranch_execnz .LBB6_8662
; %bb.8257:                             ;   in Loop: Header=BB6_8048 Depth=3
	s_or_saveexec_b32 s30, s30
	v_mov_b32_e32 v76, s17
	s_xor_b32 exec_lo, exec_lo, s30
	s_cbranch_execnz .LBB6_8665
.LBB6_8258:                             ;   in Loop: Header=BB6_8048 Depth=3
	s_or_b32 exec_lo, exec_lo, s30
	s_and_saveexec_b32 s17, s13
	s_cbranch_execz .LBB6_8260
.LBB6_8259:                             ;   in Loop: Header=BB6_8048 Depth=3
	v_lshrrev_b16 v79, 3, v75
	s_delay_alu instid0(VALU_DEP_1) | instskip(NEXT) | instid1(VALU_DEP_1)
	v_and_b32_e32 v79, 15, v79
	v_cmp_eq_u32_e32 vcc_lo, 0, v79
	v_and_b32_e32 v76, 7, v75
	s_delay_alu instid0(VALU_DEP_1) | instskip(NEXT) | instid1(VALU_DEP_1)
	v_clz_i32_u32_e32 v77, v76
	v_min_u32_e32 v77, 32, v77
	s_delay_alu instid0(VALU_DEP_1) | instskip(SKIP_1) | instid1(VALU_DEP_1)
	v_subrev_nc_u32_e32 v78, 28, v77
	v_sub_nc_u32_e32 v77, 29, v77
	v_dual_cndmask_b32 v77, v79, v77 :: v_dual_lshlrev_b32 v78, v78, v75
	v_lshlrev_b32_e32 v75, 24, v75
	s_delay_alu instid0(VALU_DEP_2) | instskip(NEXT) | instid1(VALU_DEP_3)
	v_and_b32_e32 v78, 7, v78
	v_lshl_add_u32 v77, v77, 23, 0x3b800000
	s_delay_alu instid0(VALU_DEP_2) | instskip(NEXT) | instid1(VALU_DEP_1)
	v_dual_cndmask_b32 v76, v76, v78 :: v_dual_and_b32 v75, 0x80000000, v75
	v_lshlrev_b32_e32 v76, 20, v76
	s_delay_alu instid0(VALU_DEP_1)
	v_or3_b32 v76, v75, v77, v76
.LBB6_8260:                             ;   in Loop: Header=BB6_8048 Depth=3
	s_or_b32 exec_lo, exec_lo, s17
	s_waitcnt vmcnt(18) lgkmcnt(18)
	v_and_b32_e32 v77, 0xff, v58
	s_mov_b32 s13, 0
	s_mov_b32 s30, exec_lo
                                        ; implicit-def: $sgpr17
	s_delay_alu instid0(VALU_DEP_1)
	v_cmpx_lt_i16_e32 0x7f, v77
	s_xor_b32 s30, exec_lo, s30
	s_cbranch_execnz .LBB6_8666
; %bb.8261:                             ;   in Loop: Header=BB6_8048 Depth=3
	s_or_saveexec_b32 s30, s30
	v_mov_b32_e32 v75, s17
	s_xor_b32 exec_lo, exec_lo, s30
	s_cbranch_execnz .LBB6_8669
.LBB6_8262:                             ;   in Loop: Header=BB6_8048 Depth=3
	s_or_b32 exec_lo, exec_lo, s30
	s_and_saveexec_b32 s17, s13
	s_cbranch_execz .LBB6_8264
.LBB6_8263:                             ;   in Loop: Header=BB6_8048 Depth=3
	v_and_b32_e32 v75, 7, v58
	v_lshrrev_b16 v79, 3, v58
	s_delay_alu instid0(VALU_DEP_2) | instskip(NEXT) | instid1(VALU_DEP_2)
	v_clz_i32_u32_e32 v77, v75
	v_and_b32_e32 v79, 15, v79
	s_delay_alu instid0(VALU_DEP_2) | instskip(NEXT) | instid1(VALU_DEP_2)
	v_min_u32_e32 v77, 32, v77
	v_cmp_eq_u32_e32 vcc_lo, 0, v79
	s_delay_alu instid0(VALU_DEP_2) | instskip(SKIP_1) | instid1(VALU_DEP_1)
	v_subrev_nc_u32_e32 v78, 28, v77
	v_sub_nc_u32_e32 v77, 29, v77
	v_dual_cndmask_b32 v77, v79, v77 :: v_dual_lshlrev_b32 v78, v78, v58
	v_lshlrev_b32_e32 v58, 24, v58
	s_delay_alu instid0(VALU_DEP_2) | instskip(NEXT) | instid1(VALU_DEP_3)
	v_and_b32_e32 v78, 7, v78
	v_lshl_add_u32 v77, v77, 23, 0x3b800000
	s_delay_alu instid0(VALU_DEP_3) | instskip(NEXT) | instid1(VALU_DEP_3)
	v_and_b32_e32 v58, 0x80000000, v58
	v_cndmask_b32_e32 v75, v75, v78, vcc_lo
	s_delay_alu instid0(VALU_DEP_1) | instskip(NEXT) | instid1(VALU_DEP_1)
	v_lshlrev_b32_e32 v75, 20, v75
	v_or3_b32 v75, v58, v77, v75
.LBB6_8264:                             ;   in Loop: Header=BB6_8048 Depth=3
	s_or_b32 exec_lo, exec_lo, s17
	s_delay_alu instid0(VALU_DEP_1) | instskip(NEXT) | instid1(VALU_DEP_1)
	v_add_f32_e32 v75, v76, v75
	v_and_b32_e32 v58, 0x7f800000, v75
	s_delay_alu instid0(VALU_DEP_1)
	v_cmp_ne_u32_e32 vcc_lo, 0x7f800000, v58
	v_mov_b32_e32 v58, 0x80
	s_and_saveexec_b32 s17, vcc_lo
	s_cbranch_execz .LBB6_8272
; %bb.8265:                             ;   in Loop: Header=BB6_8048 Depth=3
	v_mov_b32_e32 v58, 0
	s_mov_b32 s30, exec_lo
	v_cmpx_ne_u32_e32 0, v75
	s_cbranch_execz .LBB6_8271
; %bb.8266:                             ;   in Loop: Header=BB6_8048 Depth=3
	v_bfe_u32 v58, v75, 23, 8
	s_delay_alu instid0(VALU_DEP_1) | instskip(SKIP_1) | instid1(VALU_DEP_2)
	v_sub_nc_u32_e32 v77, 0x78, v58
	v_cmp_gt_u32_e32 vcc_lo, 0x79, v58
	v_dual_cndmask_b32 v77, 0, v77 :: v_dual_and_b32 v76, 0x7fffff, v75
	s_delay_alu instid0(VALU_DEP_1) | instskip(SKIP_2) | instid1(VALU_DEP_4)
	v_or_b32_e32 v78, 0x800000, v76
	v_cmp_eq_u32_e32 vcc_lo, 0, v58
	v_add_nc_u32_e32 v58, 0xffffff89, v58
	v_cndmask_b32_e64 v77, v77, 0x77, vcc_lo
	s_delay_alu instid0(VALU_DEP_2) | instskip(SKIP_1) | instid1(VALU_DEP_3)
	v_cndmask_b32_e64 v58, v58, 0xffffff8a, vcc_lo
	v_cndmask_b32_e32 v76, v78, v76, vcc_lo
	v_lshl_add_u32 v78, 0x100000, v77, -1
	v_lshlrev_b32_e64 v89, v77, 0x80000
	s_delay_alu instid0(VALU_DEP_3) | instskip(SKIP_1) | instid1(VALU_DEP_4)
	v_lshrrev_b32_e32 v79, v77, v76
	v_add_nc_u32_e32 v77, v77, v58
	v_and_b32_e32 v76, v78, v76
	s_delay_alu instid0(VALU_DEP_3) | instskip(NEXT) | instid1(VALU_DEP_2)
	v_bfe_u32 v88, v79, 20, 1
	v_cmp_eq_u32_e64 s13, v76, v89
	s_delay_alu instid0(VALU_DEP_2) | instskip(NEXT) | instid1(VALU_DEP_1)
	v_add_nc_u32_e32 v78, -1, v88
	v_cndmask_b32_e64 v76, 0, v78, s13
	v_lshrrev_b32_e32 v78, 23, v79
	s_mov_b32 s13, exec_lo
	s_delay_alu instid0(VALU_DEP_2) | instskip(NEXT) | instid1(VALU_DEP_2)
	v_add_nc_u32_e32 v76, v76, v79
	v_xor_b32_e32 v78, 1, v78
	s_delay_alu instid0(VALU_DEP_2) | instskip(NEXT) | instid1(VALU_DEP_1)
	v_and_b32_e32 v58, 0xfffff, v76
	v_add_nc_u32_e32 v76, v58, v79
                                        ; implicit-def: $vgpr58
	s_delay_alu instid0(VALU_DEP_3)
	v_cmpx_ne_u32_e64 v77, v78
	s_xor_b32 s13, exec_lo, s13
; %bb.8267:                             ;   in Loop: Header=BB6_8048 Depth=3
	s_delay_alu instid0(VALU_DEP_2) | instskip(SKIP_2) | instid1(VALU_DEP_2)
	v_cmp_lt_u32_e32 vcc_lo, 0xffffff, v76
	v_sub_nc_u32_e32 v58, v77, v78
	v_cndmask_b32_e64 v77, 0, 1, vcc_lo
	v_add_co_ci_u32_e32 v58, vcc_lo, 0, v58, vcc_lo
	s_delay_alu instid0(VALU_DEP_2)
	v_lshrrev_b32_e32 v76, v77, v76
; %bb.8268:                             ;   in Loop: Header=BB6_8048 Depth=3
	s_and_not1_saveexec_b32 s13, s13
; %bb.8269:                             ;   in Loop: Header=BB6_8048 Depth=3
	s_delay_alu instid0(VALU_DEP_1)
	v_bfe_u32 v58, v76, 23, 1
; %bb.8270:                             ;   in Loop: Header=BB6_8048 Depth=3
	s_or_b32 exec_lo, exec_lo, s13
	v_lshrrev_b32_e32 v76, 20, v76
	s_delay_alu instid0(VALU_DEP_2) | instskip(SKIP_2) | instid1(VALU_DEP_2)
	v_cmp_gt_i32_e32 vcc_lo, 16, v58
	v_lshrrev_b32_e32 v75, 24, v75
	v_min_i32_e32 v77, 15, v58
	v_dual_cndmask_b32 v76, 7, v76 :: v_dual_and_b32 v75, 0x80, v75
	s_delay_alu instid0(VALU_DEP_1) | instskip(SKIP_1) | instid1(VALU_DEP_2)
	v_or_b32_e32 v58, v58, v76
	v_and_b32_e32 v78, 7, v76
	v_cmp_ne_u32_e32 vcc_lo, 0, v58
	v_lshlrev_b32_e32 v77, 3, v77
	s_delay_alu instid0(VALU_DEP_1) | instskip(NEXT) | instid1(VALU_DEP_1)
	v_or3_b32 v75, v77, v75, v78
	v_cndmask_b32_e32 v58, 0, v75, vcc_lo
.LBB6_8271:                             ;   in Loop: Header=BB6_8048 Depth=3
	s_or_b32 exec_lo, exec_lo, s30
.LBB6_8272:                             ;   in Loop: Header=BB6_8048 Depth=3
	s_delay_alu instid0(SALU_CYCLE_1) | instskip(SKIP_3) | instid1(VALU_DEP_1)
	s_or_b32 exec_lo, exec_lo, s17
	v_and_b32_e32 v76, 0xff, v74
	s_mov_b32 s13, 0
	s_mov_b32 s30, exec_lo
                                        ; implicit-def: $sgpr17
	v_cmpx_lt_i16_e32 0x7f, v76
	s_xor_b32 s30, exec_lo, s30
	s_cbranch_execnz .LBB6_8670
; %bb.8273:                             ;   in Loop: Header=BB6_8048 Depth=3
	s_or_saveexec_b32 s30, s30
	v_mov_b32_e32 v75, s17
	s_xor_b32 exec_lo, exec_lo, s30
	s_cbranch_execnz .LBB6_8673
.LBB6_8274:                             ;   in Loop: Header=BB6_8048 Depth=3
	s_or_b32 exec_lo, exec_lo, s30
	s_and_saveexec_b32 s17, s13
	s_cbranch_execz .LBB6_8276
.LBB6_8275:                             ;   in Loop: Header=BB6_8048 Depth=3
	v_lshrrev_b16 v78, 3, v74
	s_delay_alu instid0(VALU_DEP_1) | instskip(NEXT) | instid1(VALU_DEP_1)
	v_and_b32_e32 v78, 15, v78
	v_cmp_eq_u32_e32 vcc_lo, 0, v78
	v_and_b32_e32 v75, 7, v74
	s_delay_alu instid0(VALU_DEP_1) | instskip(NEXT) | instid1(VALU_DEP_1)
	v_clz_i32_u32_e32 v76, v75
	v_min_u32_e32 v76, 32, v76
	s_delay_alu instid0(VALU_DEP_1) | instskip(SKIP_1) | instid1(VALU_DEP_1)
	v_subrev_nc_u32_e32 v77, 28, v76
	v_sub_nc_u32_e32 v76, 29, v76
	v_dual_cndmask_b32 v76, v78, v76 :: v_dual_lshlrev_b32 v77, v77, v74
	v_lshlrev_b32_e32 v74, 24, v74
	s_delay_alu instid0(VALU_DEP_2) | instskip(NEXT) | instid1(VALU_DEP_3)
	v_and_b32_e32 v77, 7, v77
	v_lshl_add_u32 v76, v76, 23, 0x3b800000
	s_delay_alu instid0(VALU_DEP_2) | instskip(NEXT) | instid1(VALU_DEP_1)
	v_dual_cndmask_b32 v75, v75, v77 :: v_dual_and_b32 v74, 0x80000000, v74
	v_lshlrev_b32_e32 v75, 20, v75
	s_delay_alu instid0(VALU_DEP_1)
	v_or3_b32 v75, v74, v76, v75
.LBB6_8276:                             ;   in Loop: Header=BB6_8048 Depth=3
	s_or_b32 exec_lo, exec_lo, s17
	s_waitcnt vmcnt(17) lgkmcnt(17)
	v_and_b32_e32 v76, 0xff, v61
	s_mov_b32 s13, 0
	s_mov_b32 s30, exec_lo
                                        ; implicit-def: $sgpr17
	s_delay_alu instid0(VALU_DEP_1)
	v_cmpx_lt_i16_e32 0x7f, v76
	s_xor_b32 s30, exec_lo, s30
	s_cbranch_execnz .LBB6_8674
; %bb.8277:                             ;   in Loop: Header=BB6_8048 Depth=3
	s_or_saveexec_b32 s30, s30
	v_mov_b32_e32 v74, s17
	s_xor_b32 exec_lo, exec_lo, s30
	s_cbranch_execnz .LBB6_8677
.LBB6_8278:                             ;   in Loop: Header=BB6_8048 Depth=3
	s_or_b32 exec_lo, exec_lo, s30
	s_and_saveexec_b32 s17, s13
	s_cbranch_execz .LBB6_8280
.LBB6_8279:                             ;   in Loop: Header=BB6_8048 Depth=3
	v_and_b32_e32 v74, 7, v61
	v_lshrrev_b16 v78, 3, v61
	s_delay_alu instid0(VALU_DEP_2) | instskip(NEXT) | instid1(VALU_DEP_2)
	v_clz_i32_u32_e32 v76, v74
	v_and_b32_e32 v78, 15, v78
	s_delay_alu instid0(VALU_DEP_2) | instskip(NEXT) | instid1(VALU_DEP_2)
	v_min_u32_e32 v76, 32, v76
	v_cmp_eq_u32_e32 vcc_lo, 0, v78
	s_delay_alu instid0(VALU_DEP_2) | instskip(SKIP_1) | instid1(VALU_DEP_1)
	v_subrev_nc_u32_e32 v77, 28, v76
	v_sub_nc_u32_e32 v76, 29, v76
	v_dual_cndmask_b32 v76, v78, v76 :: v_dual_lshlrev_b32 v77, v77, v61
	v_lshlrev_b32_e32 v61, 24, v61
	s_delay_alu instid0(VALU_DEP_2) | instskip(NEXT) | instid1(VALU_DEP_3)
	v_and_b32_e32 v77, 7, v77
	v_lshl_add_u32 v76, v76, 23, 0x3b800000
	s_delay_alu instid0(VALU_DEP_3) | instskip(NEXT) | instid1(VALU_DEP_3)
	v_and_b32_e32 v61, 0x80000000, v61
	v_cndmask_b32_e32 v74, v74, v77, vcc_lo
	s_delay_alu instid0(VALU_DEP_1) | instskip(NEXT) | instid1(VALU_DEP_1)
	v_lshlrev_b32_e32 v74, 20, v74
	v_or3_b32 v74, v61, v76, v74
.LBB6_8280:                             ;   in Loop: Header=BB6_8048 Depth=3
	s_or_b32 exec_lo, exec_lo, s17
	s_delay_alu instid0(VALU_DEP_1) | instskip(NEXT) | instid1(VALU_DEP_1)
	v_add_f32_e32 v74, v75, v74
	v_and_b32_e32 v61, 0x7f800000, v74
	s_delay_alu instid0(VALU_DEP_1)
	v_cmp_ne_u32_e32 vcc_lo, 0x7f800000, v61
	v_mov_b32_e32 v61, 0x80
	s_and_saveexec_b32 s17, vcc_lo
	s_cbranch_execz .LBB6_8288
; %bb.8281:                             ;   in Loop: Header=BB6_8048 Depth=3
	v_mov_b32_e32 v61, 0
	s_mov_b32 s30, exec_lo
	v_cmpx_ne_u32_e32 0, v74
	s_cbranch_execz .LBB6_8287
; %bb.8282:                             ;   in Loop: Header=BB6_8048 Depth=3
	v_bfe_u32 v61, v74, 23, 8
	s_delay_alu instid0(VALU_DEP_1) | instskip(SKIP_1) | instid1(VALU_DEP_2)
	v_sub_nc_u32_e32 v76, 0x78, v61
	v_cmp_gt_u32_e32 vcc_lo, 0x79, v61
	v_dual_cndmask_b32 v76, 0, v76 :: v_dual_and_b32 v75, 0x7fffff, v74
	s_delay_alu instid0(VALU_DEP_1) | instskip(SKIP_2) | instid1(VALU_DEP_4)
	v_or_b32_e32 v77, 0x800000, v75
	v_cmp_eq_u32_e32 vcc_lo, 0, v61
	v_add_nc_u32_e32 v61, 0xffffff89, v61
	v_cndmask_b32_e64 v76, v76, 0x77, vcc_lo
	s_delay_alu instid0(VALU_DEP_2) | instskip(SKIP_1) | instid1(VALU_DEP_3)
	v_cndmask_b32_e64 v61, v61, 0xffffff8a, vcc_lo
	v_cndmask_b32_e32 v75, v77, v75, vcc_lo
	v_lshl_add_u32 v77, 0x100000, v76, -1
	v_lshlrev_b32_e64 v88, v76, 0x80000
	s_delay_alu instid0(VALU_DEP_3) | instskip(SKIP_1) | instid1(VALU_DEP_4)
	v_lshrrev_b32_e32 v78, v76, v75
	v_add_nc_u32_e32 v76, v76, v61
	v_and_b32_e32 v75, v77, v75
	s_delay_alu instid0(VALU_DEP_3) | instskip(NEXT) | instid1(VALU_DEP_2)
	v_bfe_u32 v79, v78, 20, 1
	v_cmp_eq_u32_e64 s13, v75, v88
	s_delay_alu instid0(VALU_DEP_2) | instskip(NEXT) | instid1(VALU_DEP_1)
	v_add_nc_u32_e32 v77, -1, v79
	v_cndmask_b32_e64 v75, 0, v77, s13
	v_lshrrev_b32_e32 v77, 23, v78
	s_mov_b32 s13, exec_lo
	s_delay_alu instid0(VALU_DEP_2) | instskip(NEXT) | instid1(VALU_DEP_2)
	v_add_nc_u32_e32 v75, v75, v78
	v_xor_b32_e32 v77, 1, v77
	s_delay_alu instid0(VALU_DEP_2) | instskip(NEXT) | instid1(VALU_DEP_1)
	v_and_b32_e32 v61, 0xfffff, v75
	v_add_nc_u32_e32 v75, v61, v78
                                        ; implicit-def: $vgpr61
	s_delay_alu instid0(VALU_DEP_3)
	v_cmpx_ne_u32_e64 v76, v77
	s_xor_b32 s13, exec_lo, s13
; %bb.8283:                             ;   in Loop: Header=BB6_8048 Depth=3
	s_delay_alu instid0(VALU_DEP_2) | instskip(SKIP_2) | instid1(VALU_DEP_2)
	v_cmp_lt_u32_e32 vcc_lo, 0xffffff, v75
	v_sub_nc_u32_e32 v61, v76, v77
	v_cndmask_b32_e64 v76, 0, 1, vcc_lo
	v_add_co_ci_u32_e32 v61, vcc_lo, 0, v61, vcc_lo
	s_delay_alu instid0(VALU_DEP_2)
	v_lshrrev_b32_e32 v75, v76, v75
; %bb.8284:                             ;   in Loop: Header=BB6_8048 Depth=3
	s_and_not1_saveexec_b32 s13, s13
; %bb.8285:                             ;   in Loop: Header=BB6_8048 Depth=3
	s_delay_alu instid0(VALU_DEP_1)
	v_bfe_u32 v61, v75, 23, 1
; %bb.8286:                             ;   in Loop: Header=BB6_8048 Depth=3
	s_or_b32 exec_lo, exec_lo, s13
	v_lshrrev_b32_e32 v75, 20, v75
	s_delay_alu instid0(VALU_DEP_2) | instskip(SKIP_2) | instid1(VALU_DEP_2)
	v_cmp_gt_i32_e32 vcc_lo, 16, v61
	v_lshrrev_b32_e32 v74, 24, v74
	v_min_i32_e32 v76, 15, v61
	v_dual_cndmask_b32 v75, 7, v75 :: v_dual_and_b32 v74, 0x80, v74
	s_delay_alu instid0(VALU_DEP_1) | instskip(SKIP_1) | instid1(VALU_DEP_2)
	v_or_b32_e32 v61, v61, v75
	v_and_b32_e32 v77, 7, v75
	v_cmp_ne_u32_e32 vcc_lo, 0, v61
	v_lshlrev_b32_e32 v76, 3, v76
	s_delay_alu instid0(VALU_DEP_1) | instskip(NEXT) | instid1(VALU_DEP_1)
	v_or3_b32 v74, v76, v74, v77
	v_cndmask_b32_e32 v61, 0, v74, vcc_lo
.LBB6_8287:                             ;   in Loop: Header=BB6_8048 Depth=3
	s_or_b32 exec_lo, exec_lo, s30
.LBB6_8288:                             ;   in Loop: Header=BB6_8048 Depth=3
	s_delay_alu instid0(SALU_CYCLE_1) | instskip(SKIP_3) | instid1(VALU_DEP_1)
	s_or_b32 exec_lo, exec_lo, s17
	v_and_b32_e32 v75, 0xff, v73
	s_mov_b32 s13, 0
	s_mov_b32 s30, exec_lo
                                        ; implicit-def: $sgpr17
	v_cmpx_lt_i16_e32 0x7f, v75
	s_xor_b32 s30, exec_lo, s30
	s_cbranch_execnz .LBB6_8678
; %bb.8289:                             ;   in Loop: Header=BB6_8048 Depth=3
	s_or_saveexec_b32 s30, s30
	v_mov_b32_e32 v74, s17
	s_xor_b32 exec_lo, exec_lo, s30
	s_cbranch_execnz .LBB6_8681
.LBB6_8290:                             ;   in Loop: Header=BB6_8048 Depth=3
	s_or_b32 exec_lo, exec_lo, s30
	s_and_saveexec_b32 s17, s13
	s_cbranch_execz .LBB6_8292
.LBB6_8291:                             ;   in Loop: Header=BB6_8048 Depth=3
	v_lshrrev_b16 v77, 3, v73
	s_delay_alu instid0(VALU_DEP_1) | instskip(NEXT) | instid1(VALU_DEP_1)
	v_and_b32_e32 v77, 15, v77
	v_cmp_eq_u32_e32 vcc_lo, 0, v77
	v_and_b32_e32 v74, 7, v73
	s_delay_alu instid0(VALU_DEP_1) | instskip(NEXT) | instid1(VALU_DEP_1)
	v_clz_i32_u32_e32 v75, v74
	v_min_u32_e32 v75, 32, v75
	s_delay_alu instid0(VALU_DEP_1) | instskip(SKIP_1) | instid1(VALU_DEP_1)
	v_subrev_nc_u32_e32 v76, 28, v75
	v_sub_nc_u32_e32 v75, 29, v75
	v_dual_cndmask_b32 v75, v77, v75 :: v_dual_lshlrev_b32 v76, v76, v73
	v_lshlrev_b32_e32 v73, 24, v73
	s_delay_alu instid0(VALU_DEP_2) | instskip(NEXT) | instid1(VALU_DEP_3)
	v_and_b32_e32 v76, 7, v76
	v_lshl_add_u32 v75, v75, 23, 0x3b800000
	s_delay_alu instid0(VALU_DEP_2) | instskip(NEXT) | instid1(VALU_DEP_1)
	v_dual_cndmask_b32 v74, v74, v76 :: v_dual_and_b32 v73, 0x80000000, v73
	v_lshlrev_b32_e32 v74, 20, v74
	s_delay_alu instid0(VALU_DEP_1)
	v_or3_b32 v74, v73, v75, v74
.LBB6_8292:                             ;   in Loop: Header=BB6_8048 Depth=3
	s_or_b32 exec_lo, exec_lo, s17
	s_waitcnt vmcnt(16) lgkmcnt(16)
	v_and_b32_e32 v75, 0xff, v72
	s_mov_b32 s13, 0
	s_mov_b32 s30, exec_lo
                                        ; implicit-def: $sgpr17
	s_delay_alu instid0(VALU_DEP_1)
	v_cmpx_lt_i16_e32 0x7f, v75
	s_xor_b32 s30, exec_lo, s30
	s_cbranch_execnz .LBB6_8682
; %bb.8293:                             ;   in Loop: Header=BB6_8048 Depth=3
	s_or_saveexec_b32 s30, s30
	v_mov_b32_e32 v73, s17
	s_xor_b32 exec_lo, exec_lo, s30
	s_cbranch_execnz .LBB6_8685
.LBB6_8294:                             ;   in Loop: Header=BB6_8048 Depth=3
	s_or_b32 exec_lo, exec_lo, s30
	s_and_saveexec_b32 s17, s13
	s_cbranch_execz .LBB6_8296
.LBB6_8295:                             ;   in Loop: Header=BB6_8048 Depth=3
	v_and_b32_e32 v73, 7, v72
	v_lshrrev_b16 v77, 3, v72
	s_delay_alu instid0(VALU_DEP_2) | instskip(NEXT) | instid1(VALU_DEP_2)
	v_clz_i32_u32_e32 v75, v73
	v_and_b32_e32 v77, 15, v77
	s_delay_alu instid0(VALU_DEP_2) | instskip(NEXT) | instid1(VALU_DEP_2)
	v_min_u32_e32 v75, 32, v75
	v_cmp_eq_u32_e32 vcc_lo, 0, v77
	s_delay_alu instid0(VALU_DEP_2) | instskip(SKIP_1) | instid1(VALU_DEP_1)
	v_subrev_nc_u32_e32 v76, 28, v75
	v_sub_nc_u32_e32 v75, 29, v75
	v_dual_cndmask_b32 v75, v77, v75 :: v_dual_lshlrev_b32 v76, v76, v72
	v_lshlrev_b32_e32 v72, 24, v72
	s_delay_alu instid0(VALU_DEP_2) | instskip(NEXT) | instid1(VALU_DEP_3)
	v_and_b32_e32 v76, 7, v76
	v_lshl_add_u32 v75, v75, 23, 0x3b800000
	s_delay_alu instid0(VALU_DEP_3) | instskip(NEXT) | instid1(VALU_DEP_3)
	v_and_b32_e32 v72, 0x80000000, v72
	v_cndmask_b32_e32 v73, v73, v76, vcc_lo
	s_delay_alu instid0(VALU_DEP_1) | instskip(NEXT) | instid1(VALU_DEP_1)
	v_lshlrev_b32_e32 v73, 20, v73
	v_or3_b32 v73, v72, v75, v73
.LBB6_8296:                             ;   in Loop: Header=BB6_8048 Depth=3
	s_or_b32 exec_lo, exec_lo, s17
	s_delay_alu instid0(VALU_DEP_1) | instskip(NEXT) | instid1(VALU_DEP_1)
	v_add_f32_e32 v73, v74, v73
	v_and_b32_e32 v72, 0x7f800000, v73
	s_delay_alu instid0(VALU_DEP_1)
	v_cmp_ne_u32_e32 vcc_lo, 0x7f800000, v72
	v_mov_b32_e32 v72, 0x80
	s_and_saveexec_b32 s17, vcc_lo
	s_cbranch_execz .LBB6_8304
; %bb.8297:                             ;   in Loop: Header=BB6_8048 Depth=3
	v_mov_b32_e32 v72, 0
	s_mov_b32 s30, exec_lo
	v_cmpx_ne_u32_e32 0, v73
	s_cbranch_execz .LBB6_8303
; %bb.8298:                             ;   in Loop: Header=BB6_8048 Depth=3
	v_bfe_u32 v72, v73, 23, 8
	s_delay_alu instid0(VALU_DEP_1) | instskip(SKIP_1) | instid1(VALU_DEP_2)
	v_sub_nc_u32_e32 v75, 0x78, v72
	v_cmp_gt_u32_e32 vcc_lo, 0x79, v72
	v_dual_cndmask_b32 v75, 0, v75 :: v_dual_and_b32 v74, 0x7fffff, v73
	s_delay_alu instid0(VALU_DEP_1) | instskip(SKIP_2) | instid1(VALU_DEP_4)
	v_or_b32_e32 v76, 0x800000, v74
	v_cmp_eq_u32_e32 vcc_lo, 0, v72
	v_add_nc_u32_e32 v72, 0xffffff89, v72
	v_cndmask_b32_e64 v75, v75, 0x77, vcc_lo
	s_delay_alu instid0(VALU_DEP_2) | instskip(SKIP_1) | instid1(VALU_DEP_3)
	v_cndmask_b32_e64 v72, v72, 0xffffff8a, vcc_lo
	v_cndmask_b32_e32 v74, v76, v74, vcc_lo
	v_lshl_add_u32 v76, 0x100000, v75, -1
	v_lshlrev_b32_e64 v79, v75, 0x80000
	s_delay_alu instid0(VALU_DEP_3) | instskip(SKIP_1) | instid1(VALU_DEP_4)
	v_lshrrev_b32_e32 v77, v75, v74
	v_add_nc_u32_e32 v75, v75, v72
	v_and_b32_e32 v74, v76, v74
	s_delay_alu instid0(VALU_DEP_3) | instskip(NEXT) | instid1(VALU_DEP_2)
	v_bfe_u32 v78, v77, 20, 1
	v_cmp_eq_u32_e64 s13, v74, v79
	s_delay_alu instid0(VALU_DEP_2) | instskip(NEXT) | instid1(VALU_DEP_1)
	v_add_nc_u32_e32 v76, -1, v78
	v_cndmask_b32_e64 v74, 0, v76, s13
	v_lshrrev_b32_e32 v76, 23, v77
	s_mov_b32 s13, exec_lo
	s_delay_alu instid0(VALU_DEP_2) | instskip(NEXT) | instid1(VALU_DEP_2)
	v_add_nc_u32_e32 v74, v74, v77
	v_xor_b32_e32 v76, 1, v76
	s_delay_alu instid0(VALU_DEP_2) | instskip(NEXT) | instid1(VALU_DEP_1)
	v_and_b32_e32 v72, 0xfffff, v74
	v_add_nc_u32_e32 v74, v72, v77
                                        ; implicit-def: $vgpr72
	s_delay_alu instid0(VALU_DEP_3)
	v_cmpx_ne_u32_e64 v75, v76
	s_xor_b32 s13, exec_lo, s13
; %bb.8299:                             ;   in Loop: Header=BB6_8048 Depth=3
	s_delay_alu instid0(VALU_DEP_2) | instskip(SKIP_2) | instid1(VALU_DEP_2)
	v_cmp_lt_u32_e32 vcc_lo, 0xffffff, v74
	v_sub_nc_u32_e32 v72, v75, v76
	v_cndmask_b32_e64 v75, 0, 1, vcc_lo
	v_add_co_ci_u32_e32 v72, vcc_lo, 0, v72, vcc_lo
	s_delay_alu instid0(VALU_DEP_2)
	v_lshrrev_b32_e32 v74, v75, v74
; %bb.8300:                             ;   in Loop: Header=BB6_8048 Depth=3
	s_and_not1_saveexec_b32 s13, s13
; %bb.8301:                             ;   in Loop: Header=BB6_8048 Depth=3
	s_delay_alu instid0(VALU_DEP_1)
	v_bfe_u32 v72, v74, 23, 1
; %bb.8302:                             ;   in Loop: Header=BB6_8048 Depth=3
	s_or_b32 exec_lo, exec_lo, s13
	v_lshrrev_b32_e32 v74, 20, v74
	s_delay_alu instid0(VALU_DEP_2) | instskip(SKIP_2) | instid1(VALU_DEP_2)
	v_cmp_gt_i32_e32 vcc_lo, 16, v72
	v_lshrrev_b32_e32 v73, 24, v73
	v_min_i32_e32 v75, 15, v72
	v_dual_cndmask_b32 v74, 7, v74 :: v_dual_and_b32 v73, 0x80, v73
	s_delay_alu instid0(VALU_DEP_1) | instskip(SKIP_1) | instid1(VALU_DEP_2)
	v_or_b32_e32 v72, v72, v74
	v_and_b32_e32 v76, 7, v74
	v_cmp_ne_u32_e32 vcc_lo, 0, v72
	v_lshlrev_b32_e32 v75, 3, v75
	s_delay_alu instid0(VALU_DEP_1) | instskip(NEXT) | instid1(VALU_DEP_1)
	v_or3_b32 v73, v75, v73, v76
	v_cndmask_b32_e32 v72, 0, v73, vcc_lo
.LBB6_8303:                             ;   in Loop: Header=BB6_8048 Depth=3
	s_or_b32 exec_lo, exec_lo, s30
.LBB6_8304:                             ;   in Loop: Header=BB6_8048 Depth=3
	s_delay_alu instid0(SALU_CYCLE_1) | instskip(SKIP_3) | instid1(VALU_DEP_1)
	s_or_b32 exec_lo, exec_lo, s17
	v_and_b32_e32 v74, 0xff, v63
	s_mov_b32 s13, 0
	s_mov_b32 s30, exec_lo
                                        ; implicit-def: $sgpr17
	v_cmpx_lt_i16_e32 0x7f, v74
	s_xor_b32 s30, exec_lo, s30
	s_cbranch_execnz .LBB6_8686
; %bb.8305:                             ;   in Loop: Header=BB6_8048 Depth=3
	s_or_saveexec_b32 s30, s30
	v_mov_b32_e32 v73, s17
	s_xor_b32 exec_lo, exec_lo, s30
	s_cbranch_execnz .LBB6_8689
.LBB6_8306:                             ;   in Loop: Header=BB6_8048 Depth=3
	s_or_b32 exec_lo, exec_lo, s30
	s_and_saveexec_b32 s17, s13
	s_cbranch_execz .LBB6_8308
.LBB6_8307:                             ;   in Loop: Header=BB6_8048 Depth=3
	v_lshrrev_b16 v76, 3, v63
	s_delay_alu instid0(VALU_DEP_1) | instskip(NEXT) | instid1(VALU_DEP_1)
	v_and_b32_e32 v76, 15, v76
	v_cmp_eq_u32_e32 vcc_lo, 0, v76
	v_and_b32_e32 v73, 7, v63
	s_delay_alu instid0(VALU_DEP_1) | instskip(NEXT) | instid1(VALU_DEP_1)
	v_clz_i32_u32_e32 v74, v73
	v_min_u32_e32 v74, 32, v74
	s_delay_alu instid0(VALU_DEP_1) | instskip(SKIP_1) | instid1(VALU_DEP_1)
	v_subrev_nc_u32_e32 v75, 28, v74
	v_sub_nc_u32_e32 v74, 29, v74
	v_dual_cndmask_b32 v74, v76, v74 :: v_dual_lshlrev_b32 v75, v75, v63
	v_lshlrev_b32_e32 v63, 24, v63
	s_delay_alu instid0(VALU_DEP_2) | instskip(NEXT) | instid1(VALU_DEP_3)
	v_and_b32_e32 v75, 7, v75
	v_lshl_add_u32 v74, v74, 23, 0x3b800000
	s_delay_alu instid0(VALU_DEP_3) | instskip(NEXT) | instid1(VALU_DEP_3)
	v_and_b32_e32 v63, 0x80000000, v63
	v_cndmask_b32_e32 v73, v73, v75, vcc_lo
	s_delay_alu instid0(VALU_DEP_1) | instskip(NEXT) | instid1(VALU_DEP_1)
	v_lshlrev_b32_e32 v73, 20, v73
	v_or3_b32 v73, v63, v74, v73
.LBB6_8308:                             ;   in Loop: Header=BB6_8048 Depth=3
	s_or_b32 exec_lo, exec_lo, s17
	s_waitcnt vmcnt(15) lgkmcnt(15)
	v_and_b32_e32 v74, 0xff, v62
	s_mov_b32 s13, 0
	s_mov_b32 s30, exec_lo
                                        ; implicit-def: $sgpr17
	s_delay_alu instid0(VALU_DEP_1)
	v_cmpx_lt_i16_e32 0x7f, v74
	s_xor_b32 s30, exec_lo, s30
	s_cbranch_execnz .LBB6_8690
; %bb.8309:                             ;   in Loop: Header=BB6_8048 Depth=3
	s_or_saveexec_b32 s30, s30
	v_mov_b32_e32 v63, s17
	s_xor_b32 exec_lo, exec_lo, s30
	s_cbranch_execnz .LBB6_8693
.LBB6_8310:                             ;   in Loop: Header=BB6_8048 Depth=3
	s_or_b32 exec_lo, exec_lo, s30
	s_and_saveexec_b32 s17, s13
	s_cbranch_execz .LBB6_8312
.LBB6_8311:                             ;   in Loop: Header=BB6_8048 Depth=3
	v_and_b32_e32 v63, 7, v62
	v_lshrrev_b16 v76, 3, v62
	s_delay_alu instid0(VALU_DEP_2) | instskip(NEXT) | instid1(VALU_DEP_1)
	v_clz_i32_u32_e32 v74, v63
	v_min_u32_e32 v74, 32, v74
	s_delay_alu instid0(VALU_DEP_1) | instskip(SKIP_1) | instid1(VALU_DEP_2)
	v_subrev_nc_u32_e32 v75, 28, v74
	v_sub_nc_u32_e32 v74, 29, v74
	v_lshlrev_b32_e32 v75, v75, v62
	v_lshlrev_b32_e32 v62, 24, v62
	s_delay_alu instid0(VALU_DEP_2) | instskip(SKIP_1) | instid1(VALU_DEP_3)
	v_and_b32_e32 v75, 7, v75
	v_and_b32_e32 v76, 15, v76
	;; [unrolled: 1-line block ×3, first 2 shown]
	s_delay_alu instid0(VALU_DEP_2) | instskip(NEXT) | instid1(VALU_DEP_4)
	v_cmp_eq_u32_e32 vcc_lo, 0, v76
	v_dual_cndmask_b32 v63, v63, v75 :: v_dual_cndmask_b32 v74, v76, v74
	s_delay_alu instid0(VALU_DEP_1) | instskip(NEXT) | instid1(VALU_DEP_2)
	v_lshlrev_b32_e32 v63, 20, v63
	v_lshl_add_u32 v74, v74, 23, 0x3b800000
	s_delay_alu instid0(VALU_DEP_1)
	v_or3_b32 v63, v62, v74, v63
.LBB6_8312:                             ;   in Loop: Header=BB6_8048 Depth=3
	s_or_b32 exec_lo, exec_lo, s17
	s_delay_alu instid0(VALU_DEP_1) | instskip(NEXT) | instid1(VALU_DEP_1)
	v_add_f32_e32 v63, v73, v63
	v_and_b32_e32 v62, 0x7f800000, v63
	s_delay_alu instid0(VALU_DEP_1)
	v_cmp_ne_u32_e32 vcc_lo, 0x7f800000, v62
	v_mov_b32_e32 v62, 0x80
	s_and_saveexec_b32 s17, vcc_lo
	s_cbranch_execz .LBB6_8320
; %bb.8313:                             ;   in Loop: Header=BB6_8048 Depth=3
	v_mov_b32_e32 v62, 0
	s_mov_b32 s30, exec_lo
	v_cmpx_ne_u32_e32 0, v63
	s_cbranch_execz .LBB6_8319
; %bb.8314:                             ;   in Loop: Header=BB6_8048 Depth=3
	v_bfe_u32 v62, v63, 23, 8
	s_delay_alu instid0(VALU_DEP_1) | instskip(SKIP_1) | instid1(VALU_DEP_2)
	v_sub_nc_u32_e32 v74, 0x78, v62
	v_cmp_gt_u32_e32 vcc_lo, 0x79, v62
	v_dual_cndmask_b32 v74, 0, v74 :: v_dual_and_b32 v73, 0x7fffff, v63
	s_delay_alu instid0(VALU_DEP_1) | instskip(SKIP_2) | instid1(VALU_DEP_4)
	v_or_b32_e32 v75, 0x800000, v73
	v_cmp_eq_u32_e32 vcc_lo, 0, v62
	v_add_nc_u32_e32 v62, 0xffffff89, v62
	v_cndmask_b32_e64 v74, v74, 0x77, vcc_lo
	s_delay_alu instid0(VALU_DEP_4) | instskip(NEXT) | instid1(VALU_DEP_3)
	v_cndmask_b32_e32 v73, v75, v73, vcc_lo
	v_cndmask_b32_e64 v62, v62, 0xffffff8a, vcc_lo
	s_delay_alu instid0(VALU_DEP_3) | instskip(NEXT) | instid1(VALU_DEP_3)
	v_lshl_add_u32 v75, 0x100000, v74, -1
	v_lshrrev_b32_e32 v76, v74, v73
	v_lshlrev_b32_e64 v78, v74, 0x80000
	s_delay_alu instid0(VALU_DEP_4) | instskip(NEXT) | instid1(VALU_DEP_4)
	v_add_nc_u32_e32 v74, v74, v62
	v_and_b32_e32 v73, v75, v73
	s_delay_alu instid0(VALU_DEP_4) | instskip(NEXT) | instid1(VALU_DEP_2)
	v_bfe_u32 v77, v76, 20, 1
	v_cmp_eq_u32_e64 s13, v73, v78
	s_delay_alu instid0(VALU_DEP_2) | instskip(NEXT) | instid1(VALU_DEP_1)
	v_add_nc_u32_e32 v75, -1, v77
	v_cndmask_b32_e64 v73, 0, v75, s13
	v_lshrrev_b32_e32 v75, 23, v76
	s_mov_b32 s13, exec_lo
	s_delay_alu instid0(VALU_DEP_2) | instskip(NEXT) | instid1(VALU_DEP_2)
	v_add_nc_u32_e32 v73, v73, v76
	v_xor_b32_e32 v75, 1, v75
	s_delay_alu instid0(VALU_DEP_2) | instskip(NEXT) | instid1(VALU_DEP_1)
	v_and_b32_e32 v62, 0xfffff, v73
	v_add_nc_u32_e32 v73, v62, v76
                                        ; implicit-def: $vgpr62
	s_delay_alu instid0(VALU_DEP_3)
	v_cmpx_ne_u32_e64 v74, v75
	s_xor_b32 s13, exec_lo, s13
; %bb.8315:                             ;   in Loop: Header=BB6_8048 Depth=3
	s_delay_alu instid0(VALU_DEP_2) | instskip(SKIP_2) | instid1(VALU_DEP_2)
	v_cmp_lt_u32_e32 vcc_lo, 0xffffff, v73
	v_sub_nc_u32_e32 v62, v74, v75
	v_cndmask_b32_e64 v74, 0, 1, vcc_lo
	v_add_co_ci_u32_e32 v62, vcc_lo, 0, v62, vcc_lo
	s_delay_alu instid0(VALU_DEP_2)
	v_lshrrev_b32_e32 v73, v74, v73
; %bb.8316:                             ;   in Loop: Header=BB6_8048 Depth=3
	s_and_not1_saveexec_b32 s13, s13
; %bb.8317:                             ;   in Loop: Header=BB6_8048 Depth=3
	s_delay_alu instid0(VALU_DEP_1)
	v_bfe_u32 v62, v73, 23, 1
; %bb.8318:                             ;   in Loop: Header=BB6_8048 Depth=3
	s_or_b32 exec_lo, exec_lo, s13
	v_lshrrev_b32_e32 v73, 20, v73
	s_delay_alu instid0(VALU_DEP_2) | instskip(SKIP_2) | instid1(VALU_DEP_2)
	v_cmp_gt_i32_e32 vcc_lo, 16, v62
	v_min_i32_e32 v74, 15, v62
	v_lshrrev_b32_e32 v63, 24, v63
	v_dual_cndmask_b32 v73, 7, v73 :: v_dual_lshlrev_b32 v74, 3, v74
	s_delay_alu instid0(VALU_DEP_2) | instskip(NEXT) | instid1(VALU_DEP_2)
	v_and_b32_e32 v63, 0x80, v63
	v_or_b32_e32 v62, v62, v73
	s_delay_alu instid0(VALU_DEP_1) | instskip(SKIP_1) | instid1(VALU_DEP_1)
	v_cmp_ne_u32_e32 vcc_lo, 0, v62
	v_and_b32_e32 v75, 7, v73
	v_or3_b32 v63, v74, v63, v75
	s_delay_alu instid0(VALU_DEP_1)
	v_cndmask_b32_e32 v62, 0, v63, vcc_lo
.LBB6_8319:                             ;   in Loop: Header=BB6_8048 Depth=3
	s_or_b32 exec_lo, exec_lo, s30
.LBB6_8320:                             ;   in Loop: Header=BB6_8048 Depth=3
	s_delay_alu instid0(SALU_CYCLE_1) | instskip(SKIP_3) | instid1(VALU_DEP_1)
	s_or_b32 exec_lo, exec_lo, s17
	v_and_b32_e32 v73, 0xff, v60
	s_mov_b32 s13, 0
	s_mov_b32 s30, exec_lo
                                        ; implicit-def: $sgpr17
	v_cmpx_lt_i16_e32 0x7f, v73
	s_xor_b32 s30, exec_lo, s30
	s_cbranch_execnz .LBB6_8694
; %bb.8321:                             ;   in Loop: Header=BB6_8048 Depth=3
	s_or_saveexec_b32 s30, s30
	v_mov_b32_e32 v63, s17
	s_xor_b32 exec_lo, exec_lo, s30
	s_cbranch_execnz .LBB6_8697
.LBB6_8322:                             ;   in Loop: Header=BB6_8048 Depth=3
	s_or_b32 exec_lo, exec_lo, s30
	s_and_saveexec_b32 s17, s13
	s_cbranch_execz .LBB6_8324
.LBB6_8323:                             ;   in Loop: Header=BB6_8048 Depth=3
	v_and_b32_e32 v63, 7, v60
	v_lshrrev_b16 v75, 3, v60
	s_delay_alu instid0(VALU_DEP_2) | instskip(NEXT) | instid1(VALU_DEP_2)
	v_clz_i32_u32_e32 v73, v63
	v_and_b32_e32 v75, 15, v75
	s_delay_alu instid0(VALU_DEP_2) | instskip(NEXT) | instid1(VALU_DEP_2)
	v_min_u32_e32 v73, 32, v73
	v_cmp_eq_u32_e32 vcc_lo, 0, v75
	s_delay_alu instid0(VALU_DEP_2) | instskip(SKIP_1) | instid1(VALU_DEP_1)
	v_subrev_nc_u32_e32 v74, 28, v73
	v_sub_nc_u32_e32 v73, 29, v73
	v_dual_cndmask_b32 v73, v75, v73 :: v_dual_lshlrev_b32 v74, v74, v60
	s_delay_alu instid0(VALU_DEP_1) | instskip(SKIP_1) | instid1(VALU_DEP_3)
	v_and_b32_e32 v74, 7, v74
	v_lshlrev_b32_e32 v60, 24, v60
	v_lshl_add_u32 v73, v73, 23, 0x3b800000
	s_delay_alu instid0(VALU_DEP_2) | instskip(NEXT) | instid1(VALU_DEP_1)
	v_dual_cndmask_b32 v63, v63, v74 :: v_dual_and_b32 v60, 0x80000000, v60
	v_lshlrev_b32_e32 v63, 20, v63
	s_delay_alu instid0(VALU_DEP_1)
	v_or3_b32 v63, v60, v73, v63
.LBB6_8324:                             ;   in Loop: Header=BB6_8048 Depth=3
	s_or_b32 exec_lo, exec_lo, s17
	s_waitcnt vmcnt(14) lgkmcnt(14)
	v_and_b32_e32 v73, 0xff, v59
	s_mov_b32 s13, 0
	s_mov_b32 s30, exec_lo
                                        ; implicit-def: $sgpr17
	s_delay_alu instid0(VALU_DEP_1)
	v_cmpx_lt_i16_e32 0x7f, v73
	s_xor_b32 s30, exec_lo, s30
	s_cbranch_execnz .LBB6_8698
; %bb.8325:                             ;   in Loop: Header=BB6_8048 Depth=3
	s_or_saveexec_b32 s30, s30
	v_mov_b32_e32 v60, s17
	s_xor_b32 exec_lo, exec_lo, s30
	s_cbranch_execnz .LBB6_8701
.LBB6_8326:                             ;   in Loop: Header=BB6_8048 Depth=3
	s_or_b32 exec_lo, exec_lo, s30
	s_and_saveexec_b32 s17, s13
	s_cbranch_execz .LBB6_8328
.LBB6_8327:                             ;   in Loop: Header=BB6_8048 Depth=3
	v_lshrrev_b16 v75, 3, v59
	s_delay_alu instid0(VALU_DEP_1) | instskip(NEXT) | instid1(VALU_DEP_1)
	v_and_b32_e32 v75, 15, v75
	v_cmp_eq_u32_e32 vcc_lo, 0, v75
	v_and_b32_e32 v60, 7, v59
	s_delay_alu instid0(VALU_DEP_1) | instskip(NEXT) | instid1(VALU_DEP_1)
	v_clz_i32_u32_e32 v73, v60
	v_min_u32_e32 v73, 32, v73
	s_delay_alu instid0(VALU_DEP_1) | instskip(SKIP_1) | instid1(VALU_DEP_1)
	v_subrev_nc_u32_e32 v74, 28, v73
	v_sub_nc_u32_e32 v73, 29, v73
	v_dual_cndmask_b32 v73, v75, v73 :: v_dual_lshlrev_b32 v74, v74, v59
	v_lshlrev_b32_e32 v59, 24, v59
	s_delay_alu instid0(VALU_DEP_2) | instskip(NEXT) | instid1(VALU_DEP_3)
	v_and_b32_e32 v74, 7, v74
	v_lshl_add_u32 v73, v73, 23, 0x3b800000
	s_delay_alu instid0(VALU_DEP_2) | instskip(NEXT) | instid1(VALU_DEP_1)
	v_dual_cndmask_b32 v60, v60, v74 :: v_dual_and_b32 v59, 0x80000000, v59
	v_lshlrev_b32_e32 v60, 20, v60
	s_delay_alu instid0(VALU_DEP_1)
	v_or3_b32 v60, v59, v73, v60
.LBB6_8328:                             ;   in Loop: Header=BB6_8048 Depth=3
	s_or_b32 exec_lo, exec_lo, s17
	s_delay_alu instid0(VALU_DEP_1) | instskip(NEXT) | instid1(VALU_DEP_1)
	v_add_f32_e32 v60, v63, v60
	v_and_b32_e32 v59, 0x7f800000, v60
	s_delay_alu instid0(VALU_DEP_1)
	v_cmp_ne_u32_e32 vcc_lo, 0x7f800000, v59
	v_mov_b32_e32 v59, 0x80
	s_and_saveexec_b32 s17, vcc_lo
	s_cbranch_execz .LBB6_8336
; %bb.8329:                             ;   in Loop: Header=BB6_8048 Depth=3
	v_mov_b32_e32 v59, 0
	s_mov_b32 s30, exec_lo
	v_cmpx_ne_u32_e32 0, v60
	s_cbranch_execz .LBB6_8335
; %bb.8330:                             ;   in Loop: Header=BB6_8048 Depth=3
	v_bfe_u32 v59, v60, 23, 8
	v_and_b32_e32 v63, 0x7fffff, v60
	s_delay_alu instid0(VALU_DEP_2) | instskip(SKIP_1) | instid1(VALU_DEP_3)
	v_sub_nc_u32_e32 v73, 0x78, v59
	v_cmp_gt_u32_e32 vcc_lo, 0x79, v59
	v_or_b32_e32 v74, 0x800000, v63
	s_delay_alu instid0(VALU_DEP_3) | instskip(SKIP_2) | instid1(VALU_DEP_3)
	v_cndmask_b32_e32 v73, 0, v73, vcc_lo
	v_cmp_eq_u32_e32 vcc_lo, 0, v59
	v_add_nc_u32_e32 v59, 0xffffff89, v59
	v_cndmask_b32_e64 v73, v73, 0x77, vcc_lo
	v_cndmask_b32_e32 v63, v74, v63, vcc_lo
	s_delay_alu instid0(VALU_DEP_3) | instskip(NEXT) | instid1(VALU_DEP_3)
	v_cndmask_b32_e64 v59, v59, 0xffffff8a, vcc_lo
	v_lshl_add_u32 v74, 0x100000, v73, -1
	s_delay_alu instid0(VALU_DEP_3) | instskip(SKIP_1) | instid1(VALU_DEP_4)
	v_lshrrev_b32_e32 v75, v73, v63
	v_lshlrev_b32_e64 v77, v73, 0x80000
	v_add_nc_u32_e32 v73, v73, v59
	s_delay_alu instid0(VALU_DEP_4) | instskip(NEXT) | instid1(VALU_DEP_4)
	v_and_b32_e32 v63, v74, v63
	v_bfe_u32 v76, v75, 20, 1
	s_delay_alu instid0(VALU_DEP_2) | instskip(NEXT) | instid1(VALU_DEP_2)
	v_cmp_eq_u32_e64 s13, v63, v77
	v_add_nc_u32_e32 v74, -1, v76
	s_delay_alu instid0(VALU_DEP_1) | instskip(SKIP_2) | instid1(VALU_DEP_2)
	v_cndmask_b32_e64 v63, 0, v74, s13
	v_lshrrev_b32_e32 v74, 23, v75
	s_mov_b32 s13, exec_lo
	v_add_nc_u32_e32 v63, v63, v75
	s_delay_alu instid0(VALU_DEP_2) | instskip(NEXT) | instid1(VALU_DEP_2)
	v_xor_b32_e32 v74, 1, v74
	v_and_b32_e32 v59, 0xfffff, v63
	s_delay_alu instid0(VALU_DEP_1) | instskip(NEXT) | instid1(VALU_DEP_3)
	v_add_nc_u32_e32 v63, v59, v75
                                        ; implicit-def: $vgpr59
	v_cmpx_ne_u32_e64 v73, v74
	s_xor_b32 s13, exec_lo, s13
; %bb.8331:                             ;   in Loop: Header=BB6_8048 Depth=3
	s_delay_alu instid0(VALU_DEP_2) | instskip(SKIP_2) | instid1(VALU_DEP_2)
	v_cmp_lt_u32_e32 vcc_lo, 0xffffff, v63
	v_sub_nc_u32_e32 v59, v73, v74
	v_cndmask_b32_e64 v73, 0, 1, vcc_lo
	v_add_co_ci_u32_e32 v59, vcc_lo, 0, v59, vcc_lo
	s_delay_alu instid0(VALU_DEP_2)
	v_lshrrev_b32_e32 v63, v73, v63
; %bb.8332:                             ;   in Loop: Header=BB6_8048 Depth=3
	s_and_not1_saveexec_b32 s13, s13
; %bb.8333:                             ;   in Loop: Header=BB6_8048 Depth=3
	s_delay_alu instid0(VALU_DEP_1)
	v_bfe_u32 v59, v63, 23, 1
; %bb.8334:                             ;   in Loop: Header=BB6_8048 Depth=3
	s_or_b32 exec_lo, exec_lo, s13
	v_lshrrev_b32_e32 v63, 20, v63
	s_delay_alu instid0(VALU_DEP_2) | instskip(SKIP_2) | instid1(VALU_DEP_2)
	v_cmp_gt_i32_e32 vcc_lo, 16, v59
	v_lshrrev_b32_e32 v60, 24, v60
	v_min_i32_e32 v73, 15, v59
	v_dual_cndmask_b32 v63, 7, v63 :: v_dual_and_b32 v60, 0x80, v60
	s_delay_alu instid0(VALU_DEP_2) | instskip(NEXT) | instid1(VALU_DEP_2)
	v_lshlrev_b32_e32 v73, 3, v73
	v_or_b32_e32 v59, v59, v63
	s_delay_alu instid0(VALU_DEP_1) | instskip(SKIP_1) | instid1(VALU_DEP_1)
	v_cmp_ne_u32_e32 vcc_lo, 0, v59
	v_and_b32_e32 v74, 7, v63
	v_or3_b32 v60, v73, v60, v74
	s_delay_alu instid0(VALU_DEP_1)
	v_cndmask_b32_e32 v59, 0, v60, vcc_lo
.LBB6_8335:                             ;   in Loop: Header=BB6_8048 Depth=3
	s_or_b32 exec_lo, exec_lo, s30
.LBB6_8336:                             ;   in Loop: Header=BB6_8048 Depth=3
	s_delay_alu instid0(SALU_CYCLE_1) | instskip(SKIP_3) | instid1(VALU_DEP_1)
	s_or_b32 exec_lo, exec_lo, s17
	v_and_b32_e32 v63, 0xff, v57
	s_mov_b32 s13, 0
	s_mov_b32 s30, exec_lo
                                        ; implicit-def: $sgpr17
	v_cmpx_lt_i16_e32 0x7f, v63
	s_xor_b32 s30, exec_lo, s30
	s_cbranch_execnz .LBB6_8702
; %bb.8337:                             ;   in Loop: Header=BB6_8048 Depth=3
	s_or_saveexec_b32 s30, s30
	v_mov_b32_e32 v60, s17
	s_xor_b32 exec_lo, exec_lo, s30
	s_cbranch_execnz .LBB6_8705
.LBB6_8338:                             ;   in Loop: Header=BB6_8048 Depth=3
	s_or_b32 exec_lo, exec_lo, s30
	s_and_saveexec_b32 s17, s13
	s_cbranch_execz .LBB6_8340
.LBB6_8339:                             ;   in Loop: Header=BB6_8048 Depth=3
	v_lshrrev_b16 v74, 3, v57
	s_delay_alu instid0(VALU_DEP_1) | instskip(NEXT) | instid1(VALU_DEP_1)
	v_and_b32_e32 v74, 15, v74
	v_cmp_eq_u32_e32 vcc_lo, 0, v74
	v_and_b32_e32 v60, 7, v57
	s_delay_alu instid0(VALU_DEP_1) | instskip(NEXT) | instid1(VALU_DEP_1)
	v_clz_i32_u32_e32 v63, v60
	v_min_u32_e32 v63, 32, v63
	s_delay_alu instid0(VALU_DEP_1) | instskip(SKIP_1) | instid1(VALU_DEP_2)
	v_subrev_nc_u32_e32 v73, 28, v63
	v_sub_nc_u32_e32 v63, 29, v63
	v_lshlrev_b32_e32 v73, v73, v57
	s_delay_alu instid0(VALU_DEP_2) | instskip(SKIP_1) | instid1(VALU_DEP_3)
	v_cndmask_b32_e32 v63, v74, v63, vcc_lo
	v_lshlrev_b32_e32 v57, 24, v57
	v_and_b32_e32 v73, 7, v73
	s_delay_alu instid0(VALU_DEP_3) | instskip(NEXT) | instid1(VALU_DEP_3)
	v_lshl_add_u32 v63, v63, 23, 0x3b800000
	v_and_b32_e32 v57, 0x80000000, v57
	s_delay_alu instid0(VALU_DEP_3) | instskip(NEXT) | instid1(VALU_DEP_1)
	v_cndmask_b32_e32 v60, v60, v73, vcc_lo
	v_lshlrev_b32_e32 v60, 20, v60
	s_delay_alu instid0(VALU_DEP_1)
	v_or3_b32 v60, v57, v63, v60
.LBB6_8340:                             ;   in Loop: Header=BB6_8048 Depth=3
	s_or_b32 exec_lo, exec_lo, s17
	s_waitcnt vmcnt(13) lgkmcnt(13)
	v_and_b32_e32 v63, 0xff, v56
	s_mov_b32 s13, 0
	s_mov_b32 s30, exec_lo
                                        ; implicit-def: $sgpr17
	s_delay_alu instid0(VALU_DEP_1)
	v_cmpx_lt_i16_e32 0x7f, v63
	s_xor_b32 s30, exec_lo, s30
	s_cbranch_execnz .LBB6_8706
; %bb.8341:                             ;   in Loop: Header=BB6_8048 Depth=3
	s_or_saveexec_b32 s30, s30
	v_mov_b32_e32 v57, s17
	s_xor_b32 exec_lo, exec_lo, s30
	s_cbranch_execnz .LBB6_8709
.LBB6_8342:                             ;   in Loop: Header=BB6_8048 Depth=3
	s_or_b32 exec_lo, exec_lo, s30
	s_and_saveexec_b32 s17, s13
	s_cbranch_execz .LBB6_8344
.LBB6_8343:                             ;   in Loop: Header=BB6_8048 Depth=3
	v_and_b32_e32 v57, 7, v56
	v_lshrrev_b16 v74, 3, v56
	s_delay_alu instid0(VALU_DEP_2) | instskip(NEXT) | instid1(VALU_DEP_1)
	v_clz_i32_u32_e32 v63, v57
	v_min_u32_e32 v63, 32, v63
	s_delay_alu instid0(VALU_DEP_1) | instskip(SKIP_1) | instid1(VALU_DEP_2)
	v_subrev_nc_u32_e32 v73, 28, v63
	v_sub_nc_u32_e32 v63, 29, v63
	v_lshlrev_b32_e32 v73, v73, v56
	s_delay_alu instid0(VALU_DEP_1) | instskip(SKIP_1) | instid1(VALU_DEP_1)
	v_and_b32_e32 v73, 7, v73
	v_and_b32_e32 v74, 15, v74
	v_cmp_eq_u32_e32 vcc_lo, 0, v74
	s_delay_alu instid0(VALU_DEP_3) | instskip(SKIP_1) | instid1(VALU_DEP_2)
	v_dual_cndmask_b32 v57, v57, v73 :: v_dual_lshlrev_b32 v56, 24, v56
	v_cndmask_b32_e32 v63, v74, v63, vcc_lo
	v_lshlrev_b32_e32 v57, 20, v57
	s_delay_alu instid0(VALU_DEP_3) | instskip(NEXT) | instid1(VALU_DEP_3)
	v_and_b32_e32 v56, 0x80000000, v56
	v_lshl_add_u32 v63, v63, 23, 0x3b800000
	s_delay_alu instid0(VALU_DEP_1)
	v_or3_b32 v57, v56, v63, v57
.LBB6_8344:                             ;   in Loop: Header=BB6_8048 Depth=3
	s_or_b32 exec_lo, exec_lo, s17
	s_delay_alu instid0(VALU_DEP_1) | instskip(NEXT) | instid1(VALU_DEP_1)
	v_add_f32_e32 v57, v60, v57
	v_and_b32_e32 v56, 0x7f800000, v57
	s_delay_alu instid0(VALU_DEP_1)
	v_cmp_ne_u32_e32 vcc_lo, 0x7f800000, v56
	v_mov_b32_e32 v56, 0x80
	s_and_saveexec_b32 s17, vcc_lo
	s_cbranch_execz .LBB6_8352
; %bb.8345:                             ;   in Loop: Header=BB6_8048 Depth=3
	v_mov_b32_e32 v56, 0
	s_mov_b32 s30, exec_lo
	v_cmpx_ne_u32_e32 0, v57
	s_cbranch_execz .LBB6_8351
; %bb.8346:                             ;   in Loop: Header=BB6_8048 Depth=3
	v_bfe_u32 v56, v57, 23, 8
	s_delay_alu instid0(VALU_DEP_1) | instskip(SKIP_1) | instid1(VALU_DEP_2)
	v_sub_nc_u32_e32 v63, 0x78, v56
	v_cmp_gt_u32_e32 vcc_lo, 0x79, v56
	v_dual_cndmask_b32 v63, 0, v63 :: v_dual_and_b32 v60, 0x7fffff, v57
	s_delay_alu instid0(VALU_DEP_1) | instskip(SKIP_2) | instid1(VALU_DEP_4)
	v_or_b32_e32 v73, 0x800000, v60
	v_cmp_eq_u32_e32 vcc_lo, 0, v56
	v_add_nc_u32_e32 v56, 0xffffff89, v56
	v_cndmask_b32_e64 v63, v63, 0x77, vcc_lo
	s_delay_alu instid0(VALU_DEP_4) | instskip(NEXT) | instid1(VALU_DEP_3)
	v_cndmask_b32_e32 v60, v73, v60, vcc_lo
	v_cndmask_b32_e64 v56, v56, 0xffffff8a, vcc_lo
	s_delay_alu instid0(VALU_DEP_3) | instskip(NEXT) | instid1(VALU_DEP_3)
	v_lshl_add_u32 v73, 0x100000, v63, -1
	v_lshrrev_b32_e32 v74, v63, v60
	v_lshlrev_b32_e64 v76, v63, 0x80000
	s_delay_alu instid0(VALU_DEP_4) | instskip(NEXT) | instid1(VALU_DEP_4)
	v_add_nc_u32_e32 v63, v63, v56
	v_and_b32_e32 v60, v73, v60
	s_delay_alu instid0(VALU_DEP_4) | instskip(NEXT) | instid1(VALU_DEP_2)
	v_bfe_u32 v75, v74, 20, 1
	v_cmp_eq_u32_e64 s13, v60, v76
	s_delay_alu instid0(VALU_DEP_2) | instskip(NEXT) | instid1(VALU_DEP_1)
	v_add_nc_u32_e32 v73, -1, v75
	v_cndmask_b32_e64 v60, 0, v73, s13
	v_lshrrev_b32_e32 v73, 23, v74
	s_mov_b32 s13, exec_lo
	s_delay_alu instid0(VALU_DEP_2) | instskip(NEXT) | instid1(VALU_DEP_2)
	v_add_nc_u32_e32 v60, v60, v74
	v_xor_b32_e32 v73, 1, v73
	s_delay_alu instid0(VALU_DEP_2) | instskip(NEXT) | instid1(VALU_DEP_1)
	v_and_b32_e32 v56, 0xfffff, v60
	v_add_nc_u32_e32 v60, v56, v74
                                        ; implicit-def: $vgpr56
	s_delay_alu instid0(VALU_DEP_3)
	v_cmpx_ne_u32_e64 v63, v73
	s_xor_b32 s13, exec_lo, s13
; %bb.8347:                             ;   in Loop: Header=BB6_8048 Depth=3
	s_delay_alu instid0(VALU_DEP_2) | instskip(SKIP_2) | instid1(VALU_DEP_2)
	v_cmp_lt_u32_e32 vcc_lo, 0xffffff, v60
	v_sub_nc_u32_e32 v56, v63, v73
	v_cndmask_b32_e64 v63, 0, 1, vcc_lo
	v_add_co_ci_u32_e32 v56, vcc_lo, 0, v56, vcc_lo
	s_delay_alu instid0(VALU_DEP_2)
	v_lshrrev_b32_e32 v60, v63, v60
; %bb.8348:                             ;   in Loop: Header=BB6_8048 Depth=3
	s_and_not1_saveexec_b32 s13, s13
; %bb.8349:                             ;   in Loop: Header=BB6_8048 Depth=3
	s_delay_alu instid0(VALU_DEP_1)
	v_bfe_u32 v56, v60, 23, 1
; %bb.8350:                             ;   in Loop: Header=BB6_8048 Depth=3
	s_or_b32 exec_lo, exec_lo, s13
	v_lshrrev_b32_e32 v60, 20, v60
	s_delay_alu instid0(VALU_DEP_2) | instskip(SKIP_2) | instid1(VALU_DEP_2)
	v_cmp_gt_i32_e32 vcc_lo, 16, v56
	v_lshrrev_b32_e32 v57, 24, v57
	v_min_i32_e32 v63, 15, v56
	v_dual_cndmask_b32 v60, 7, v60 :: v_dual_and_b32 v57, 0x80, v57
	s_delay_alu instid0(VALU_DEP_2) | instskip(NEXT) | instid1(VALU_DEP_2)
	v_lshlrev_b32_e32 v63, 3, v63
	v_or_b32_e32 v56, v56, v60
	s_delay_alu instid0(VALU_DEP_1) | instskip(SKIP_1) | instid1(VALU_DEP_1)
	v_cmp_ne_u32_e32 vcc_lo, 0, v56
	v_and_b32_e32 v73, 7, v60
	v_or3_b32 v57, v63, v57, v73
	s_delay_alu instid0(VALU_DEP_1)
	v_cndmask_b32_e32 v56, 0, v57, vcc_lo
.LBB6_8351:                             ;   in Loop: Header=BB6_8048 Depth=3
	s_or_b32 exec_lo, exec_lo, s30
.LBB6_8352:                             ;   in Loop: Header=BB6_8048 Depth=3
	s_delay_alu instid0(SALU_CYCLE_1) | instskip(SKIP_3) | instid1(VALU_DEP_1)
	s_or_b32 exec_lo, exec_lo, s17
	v_and_b32_e32 v60, 0xff, v46
	s_mov_b32 s13, 0
	s_mov_b32 s30, exec_lo
                                        ; implicit-def: $sgpr17
	v_cmpx_lt_i16_e32 0x7f, v60
	s_xor_b32 s30, exec_lo, s30
	s_cbranch_execnz .LBB6_8710
; %bb.8353:                             ;   in Loop: Header=BB6_8048 Depth=3
	s_or_saveexec_b32 s30, s30
	v_mov_b32_e32 v57, s17
	s_xor_b32 exec_lo, exec_lo, s30
	s_cbranch_execnz .LBB6_8713
.LBB6_8354:                             ;   in Loop: Header=BB6_8048 Depth=3
	s_or_b32 exec_lo, exec_lo, s30
	s_and_saveexec_b32 s17, s13
	s_cbranch_execz .LBB6_8356
.LBB6_8355:                             ;   in Loop: Header=BB6_8048 Depth=3
	v_lshrrev_b16 v73, 3, v46
	s_delay_alu instid0(VALU_DEP_1) | instskip(NEXT) | instid1(VALU_DEP_1)
	v_and_b32_e32 v73, 15, v73
	v_cmp_eq_u32_e32 vcc_lo, 0, v73
	v_and_b32_e32 v57, 7, v46
	s_delay_alu instid0(VALU_DEP_1) | instskip(NEXT) | instid1(VALU_DEP_1)
	v_clz_i32_u32_e32 v60, v57
	v_min_u32_e32 v60, 32, v60
	s_delay_alu instid0(VALU_DEP_1) | instskip(SKIP_1) | instid1(VALU_DEP_1)
	v_subrev_nc_u32_e32 v63, 28, v60
	v_sub_nc_u32_e32 v60, 29, v60
	v_dual_cndmask_b32 v60, v73, v60 :: v_dual_lshlrev_b32 v63, v63, v46
	s_delay_alu instid0(VALU_DEP_1) | instskip(SKIP_1) | instid1(VALU_DEP_3)
	v_and_b32_e32 v63, 7, v63
	v_lshlrev_b32_e32 v46, 24, v46
	v_lshl_add_u32 v60, v60, 23, 0x3b800000
	s_delay_alu instid0(VALU_DEP_2) | instskip(NEXT) | instid1(VALU_DEP_1)
	v_dual_cndmask_b32 v57, v57, v63 :: v_dual_and_b32 v46, 0x80000000, v46
	v_lshlrev_b32_e32 v57, 20, v57
	s_delay_alu instid0(VALU_DEP_1)
	v_or3_b32 v57, v46, v60, v57
.LBB6_8356:                             ;   in Loop: Header=BB6_8048 Depth=3
	s_or_b32 exec_lo, exec_lo, s17
	s_waitcnt vmcnt(12) lgkmcnt(12)
	v_and_b32_e32 v60, 0xff, v45
	s_mov_b32 s13, 0
	s_mov_b32 s30, exec_lo
                                        ; implicit-def: $sgpr17
	s_delay_alu instid0(VALU_DEP_1)
	v_cmpx_lt_i16_e32 0x7f, v60
	s_xor_b32 s30, exec_lo, s30
	s_cbranch_execnz .LBB6_8714
; %bb.8357:                             ;   in Loop: Header=BB6_8048 Depth=3
	s_or_saveexec_b32 s30, s30
	v_mov_b32_e32 v46, s17
	s_xor_b32 exec_lo, exec_lo, s30
	s_cbranch_execnz .LBB6_8717
.LBB6_8358:                             ;   in Loop: Header=BB6_8048 Depth=3
	s_or_b32 exec_lo, exec_lo, s30
	s_and_saveexec_b32 s17, s13
	s_cbranch_execz .LBB6_8360
.LBB6_8359:                             ;   in Loop: Header=BB6_8048 Depth=3
	v_and_b32_e32 v46, 7, v45
	v_lshrrev_b16 v73, 3, v45
	s_delay_alu instid0(VALU_DEP_2) | instskip(NEXT) | instid1(VALU_DEP_2)
	v_clz_i32_u32_e32 v60, v46
	v_and_b32_e32 v73, 15, v73
	s_delay_alu instid0(VALU_DEP_2) | instskip(NEXT) | instid1(VALU_DEP_2)
	v_min_u32_e32 v60, 32, v60
	v_cmp_eq_u32_e32 vcc_lo, 0, v73
	s_delay_alu instid0(VALU_DEP_2) | instskip(SKIP_1) | instid1(VALU_DEP_1)
	v_subrev_nc_u32_e32 v63, 28, v60
	v_sub_nc_u32_e32 v60, 29, v60
	v_dual_cndmask_b32 v60, v73, v60 :: v_dual_lshlrev_b32 v63, v63, v45
	v_lshlrev_b32_e32 v45, 24, v45
	s_delay_alu instid0(VALU_DEP_2) | instskip(NEXT) | instid1(VALU_DEP_3)
	v_and_b32_e32 v63, 7, v63
	v_lshl_add_u32 v60, v60, 23, 0x3b800000
	s_delay_alu instid0(VALU_DEP_2) | instskip(NEXT) | instid1(VALU_DEP_1)
	v_dual_cndmask_b32 v46, v46, v63 :: v_dual_and_b32 v45, 0x80000000, v45
	v_lshlrev_b32_e32 v46, 20, v46
	s_delay_alu instid0(VALU_DEP_1)
	v_or3_b32 v46, v45, v60, v46
.LBB6_8360:                             ;   in Loop: Header=BB6_8048 Depth=3
	s_or_b32 exec_lo, exec_lo, s17
	s_delay_alu instid0(VALU_DEP_1) | instskip(NEXT) | instid1(VALU_DEP_1)
	v_add_f32_e32 v46, v57, v46
	v_and_b32_e32 v45, 0x7f800000, v46
	s_delay_alu instid0(VALU_DEP_1)
	v_cmp_ne_u32_e32 vcc_lo, 0x7f800000, v45
	v_mov_b32_e32 v45, 0x80
	s_and_saveexec_b32 s17, vcc_lo
	s_cbranch_execz .LBB6_8368
; %bb.8361:                             ;   in Loop: Header=BB6_8048 Depth=3
	v_mov_b32_e32 v45, 0
	s_mov_b32 s30, exec_lo
	v_cmpx_ne_u32_e32 0, v46
	s_cbranch_execz .LBB6_8367
; %bb.8362:                             ;   in Loop: Header=BB6_8048 Depth=3
	v_bfe_u32 v45, v46, 23, 8
	s_delay_alu instid0(VALU_DEP_1) | instskip(SKIP_1) | instid1(VALU_DEP_2)
	v_sub_nc_u32_e32 v60, 0x78, v45
	v_cmp_gt_u32_e32 vcc_lo, 0x79, v45
	v_dual_cndmask_b32 v60, 0, v60 :: v_dual_and_b32 v57, 0x7fffff, v46
	s_delay_alu instid0(VALU_DEP_1) | instskip(SKIP_2) | instid1(VALU_DEP_4)
	v_or_b32_e32 v63, 0x800000, v57
	v_cmp_eq_u32_e32 vcc_lo, 0, v45
	v_add_nc_u32_e32 v45, 0xffffff89, v45
	v_cndmask_b32_e64 v60, v60, 0x77, vcc_lo
	s_delay_alu instid0(VALU_DEP_4) | instskip(NEXT) | instid1(VALU_DEP_3)
	v_cndmask_b32_e32 v57, v63, v57, vcc_lo
	v_cndmask_b32_e64 v45, v45, 0xffffff8a, vcc_lo
	s_delay_alu instid0(VALU_DEP_3) | instskip(NEXT) | instid1(VALU_DEP_3)
	v_lshl_add_u32 v63, 0x100000, v60, -1
	v_lshrrev_b32_e32 v73, v60, v57
	v_lshlrev_b32_e64 v75, v60, 0x80000
	s_delay_alu instid0(VALU_DEP_4) | instskip(NEXT) | instid1(VALU_DEP_4)
	v_add_nc_u32_e32 v60, v60, v45
	v_and_b32_e32 v57, v63, v57
	s_delay_alu instid0(VALU_DEP_4) | instskip(NEXT) | instid1(VALU_DEP_2)
	v_bfe_u32 v74, v73, 20, 1
	v_cmp_eq_u32_e64 s13, v57, v75
	s_delay_alu instid0(VALU_DEP_2) | instskip(NEXT) | instid1(VALU_DEP_1)
	v_add_nc_u32_e32 v63, -1, v74
	v_cndmask_b32_e64 v57, 0, v63, s13
	v_lshrrev_b32_e32 v63, 23, v73
	s_mov_b32 s13, exec_lo
	s_delay_alu instid0(VALU_DEP_2) | instskip(NEXT) | instid1(VALU_DEP_2)
	v_add_nc_u32_e32 v57, v57, v73
	v_xor_b32_e32 v63, 1, v63
	s_delay_alu instid0(VALU_DEP_2) | instskip(NEXT) | instid1(VALU_DEP_1)
	v_and_b32_e32 v45, 0xfffff, v57
	v_add_nc_u32_e32 v57, v45, v73
                                        ; implicit-def: $vgpr45
	s_delay_alu instid0(VALU_DEP_3)
	v_cmpx_ne_u32_e64 v60, v63
	s_xor_b32 s13, exec_lo, s13
; %bb.8363:                             ;   in Loop: Header=BB6_8048 Depth=3
	s_delay_alu instid0(VALU_DEP_2) | instskip(SKIP_2) | instid1(VALU_DEP_2)
	v_cmp_lt_u32_e32 vcc_lo, 0xffffff, v57
	v_sub_nc_u32_e32 v45, v60, v63
	v_cndmask_b32_e64 v60, 0, 1, vcc_lo
	v_add_co_ci_u32_e32 v45, vcc_lo, 0, v45, vcc_lo
	s_delay_alu instid0(VALU_DEP_2)
	v_lshrrev_b32_e32 v57, v60, v57
; %bb.8364:                             ;   in Loop: Header=BB6_8048 Depth=3
	s_and_not1_saveexec_b32 s13, s13
; %bb.8365:                             ;   in Loop: Header=BB6_8048 Depth=3
	s_delay_alu instid0(VALU_DEP_1)
	v_bfe_u32 v45, v57, 23, 1
; %bb.8366:                             ;   in Loop: Header=BB6_8048 Depth=3
	s_or_b32 exec_lo, exec_lo, s13
	v_lshrrev_b32_e32 v57, 20, v57
	s_delay_alu instid0(VALU_DEP_2) | instskip(SKIP_2) | instid1(VALU_DEP_2)
	v_cmp_gt_i32_e32 vcc_lo, 16, v45
	v_lshrrev_b32_e32 v46, 24, v46
	v_min_i32_e32 v60, 15, v45
	v_dual_cndmask_b32 v57, 7, v57 :: v_dual_and_b32 v46, 0x80, v46
	s_delay_alu instid0(VALU_DEP_1) | instskip(SKIP_1) | instid1(VALU_DEP_2)
	v_or_b32_e32 v45, v45, v57
	v_and_b32_e32 v63, 7, v57
	v_cmp_ne_u32_e32 vcc_lo, 0, v45
	v_lshlrev_b32_e32 v60, 3, v60
	s_delay_alu instid0(VALU_DEP_1) | instskip(NEXT) | instid1(VALU_DEP_1)
	v_or3_b32 v46, v60, v46, v63
	v_cndmask_b32_e32 v45, 0, v46, vcc_lo
.LBB6_8367:                             ;   in Loop: Header=BB6_8048 Depth=3
	s_or_b32 exec_lo, exec_lo, s30
.LBB6_8368:                             ;   in Loop: Header=BB6_8048 Depth=3
	s_delay_alu instid0(SALU_CYCLE_1) | instskip(SKIP_3) | instid1(VALU_DEP_1)
	s_or_b32 exec_lo, exec_lo, s17
	v_and_b32_e32 v57, 0xff, v43
	s_mov_b32 s13, 0
	s_mov_b32 s30, exec_lo
                                        ; implicit-def: $sgpr17
	v_cmpx_lt_i16_e32 0x7f, v57
	s_xor_b32 s30, exec_lo, s30
	s_cbranch_execnz .LBB6_8718
; %bb.8369:                             ;   in Loop: Header=BB6_8048 Depth=3
	s_or_saveexec_b32 s30, s30
	v_mov_b32_e32 v46, s17
	s_xor_b32 exec_lo, exec_lo, s30
	s_cbranch_execnz .LBB6_8721
.LBB6_8370:                             ;   in Loop: Header=BB6_8048 Depth=3
	s_or_b32 exec_lo, exec_lo, s30
	s_and_saveexec_b32 s17, s13
	s_cbranch_execz .LBB6_8372
.LBB6_8371:                             ;   in Loop: Header=BB6_8048 Depth=3
	v_lshrrev_b16 v63, 3, v43
	s_delay_alu instid0(VALU_DEP_1) | instskip(NEXT) | instid1(VALU_DEP_1)
	v_and_b32_e32 v63, 15, v63
	v_cmp_eq_u32_e32 vcc_lo, 0, v63
	v_and_b32_e32 v46, 7, v43
	s_delay_alu instid0(VALU_DEP_1) | instskip(NEXT) | instid1(VALU_DEP_1)
	v_clz_i32_u32_e32 v57, v46
	v_min_u32_e32 v57, 32, v57
	s_delay_alu instid0(VALU_DEP_1) | instskip(SKIP_1) | instid1(VALU_DEP_1)
	v_subrev_nc_u32_e32 v60, 28, v57
	v_sub_nc_u32_e32 v57, 29, v57
	v_dual_cndmask_b32 v57, v63, v57 :: v_dual_lshlrev_b32 v60, v60, v43
	v_lshlrev_b32_e32 v43, 24, v43
	s_delay_alu instid0(VALU_DEP_2) | instskip(NEXT) | instid1(VALU_DEP_3)
	v_and_b32_e32 v60, 7, v60
	v_lshl_add_u32 v57, v57, 23, 0x3b800000
	s_delay_alu instid0(VALU_DEP_2) | instskip(NEXT) | instid1(VALU_DEP_1)
	v_dual_cndmask_b32 v46, v46, v60 :: v_dual_and_b32 v43, 0x80000000, v43
	v_lshlrev_b32_e32 v46, 20, v46
	s_delay_alu instid0(VALU_DEP_1)
	v_or3_b32 v46, v43, v57, v46
.LBB6_8372:                             ;   in Loop: Header=BB6_8048 Depth=3
	s_or_b32 exec_lo, exec_lo, s17
	s_waitcnt vmcnt(11) lgkmcnt(11)
	v_and_b32_e32 v57, 0xff, v42
	s_mov_b32 s13, 0
	s_mov_b32 s30, exec_lo
                                        ; implicit-def: $sgpr17
	s_delay_alu instid0(VALU_DEP_1)
	v_cmpx_lt_i16_e32 0x7f, v57
	s_xor_b32 s30, exec_lo, s30
	s_cbranch_execnz .LBB6_8722
; %bb.8373:                             ;   in Loop: Header=BB6_8048 Depth=3
	s_or_saveexec_b32 s30, s30
	v_mov_b32_e32 v43, s17
	s_xor_b32 exec_lo, exec_lo, s30
	s_cbranch_execnz .LBB6_8725
.LBB6_8374:                             ;   in Loop: Header=BB6_8048 Depth=3
	s_or_b32 exec_lo, exec_lo, s30
	s_and_saveexec_b32 s17, s13
	s_cbranch_execz .LBB6_8376
.LBB6_8375:                             ;   in Loop: Header=BB6_8048 Depth=3
	v_and_b32_e32 v43, 7, v42
	v_lshrrev_b16 v63, 3, v42
	s_delay_alu instid0(VALU_DEP_2) | instskip(NEXT) | instid1(VALU_DEP_2)
	v_clz_i32_u32_e32 v57, v43
	v_and_b32_e32 v63, 15, v63
	s_delay_alu instid0(VALU_DEP_2) | instskip(NEXT) | instid1(VALU_DEP_2)
	v_min_u32_e32 v57, 32, v57
	v_cmp_eq_u32_e32 vcc_lo, 0, v63
	s_delay_alu instid0(VALU_DEP_2) | instskip(SKIP_1) | instid1(VALU_DEP_1)
	v_subrev_nc_u32_e32 v60, 28, v57
	v_sub_nc_u32_e32 v57, 29, v57
	v_dual_cndmask_b32 v57, v63, v57 :: v_dual_lshlrev_b32 v60, v60, v42
	s_delay_alu instid0(VALU_DEP_1) | instskip(SKIP_1) | instid1(VALU_DEP_3)
	v_and_b32_e32 v60, 7, v60
	v_lshlrev_b32_e32 v42, 24, v42
	v_lshl_add_u32 v57, v57, 23, 0x3b800000
	s_delay_alu instid0(VALU_DEP_2) | instskip(NEXT) | instid1(VALU_DEP_1)
	v_dual_cndmask_b32 v43, v43, v60 :: v_dual_and_b32 v42, 0x80000000, v42
	v_lshlrev_b32_e32 v43, 20, v43
	s_delay_alu instid0(VALU_DEP_1)
	v_or3_b32 v43, v42, v57, v43
.LBB6_8376:                             ;   in Loop: Header=BB6_8048 Depth=3
	s_or_b32 exec_lo, exec_lo, s17
	s_delay_alu instid0(VALU_DEP_1) | instskip(NEXT) | instid1(VALU_DEP_1)
	v_add_f32_e32 v43, v46, v43
	v_and_b32_e32 v42, 0x7f800000, v43
	s_delay_alu instid0(VALU_DEP_1)
	v_cmp_ne_u32_e32 vcc_lo, 0x7f800000, v42
	v_mov_b32_e32 v42, 0x80
	s_and_saveexec_b32 s17, vcc_lo
	s_cbranch_execz .LBB6_8384
; %bb.8377:                             ;   in Loop: Header=BB6_8048 Depth=3
	v_mov_b32_e32 v42, 0
	s_mov_b32 s30, exec_lo
	v_cmpx_ne_u32_e32 0, v43
	s_cbranch_execz .LBB6_8383
; %bb.8378:                             ;   in Loop: Header=BB6_8048 Depth=3
	v_bfe_u32 v42, v43, 23, 8
	s_delay_alu instid0(VALU_DEP_1) | instskip(SKIP_1) | instid1(VALU_DEP_2)
	v_sub_nc_u32_e32 v57, 0x78, v42
	v_cmp_gt_u32_e32 vcc_lo, 0x79, v42
	v_dual_cndmask_b32 v57, 0, v57 :: v_dual_and_b32 v46, 0x7fffff, v43
	s_delay_alu instid0(VALU_DEP_1) | instskip(SKIP_2) | instid1(VALU_DEP_4)
	v_or_b32_e32 v60, 0x800000, v46
	v_cmp_eq_u32_e32 vcc_lo, 0, v42
	v_add_nc_u32_e32 v42, 0xffffff89, v42
	v_cndmask_b32_e64 v57, v57, 0x77, vcc_lo
	s_delay_alu instid0(VALU_DEP_4) | instskip(NEXT) | instid1(VALU_DEP_3)
	v_cndmask_b32_e32 v46, v60, v46, vcc_lo
	v_cndmask_b32_e64 v42, v42, 0xffffff8a, vcc_lo
	s_delay_alu instid0(VALU_DEP_3) | instskip(NEXT) | instid1(VALU_DEP_3)
	v_lshl_add_u32 v60, 0x100000, v57, -1
	v_lshrrev_b32_e32 v63, v57, v46
	v_lshlrev_b32_e64 v74, v57, 0x80000
	s_delay_alu instid0(VALU_DEP_4) | instskip(NEXT) | instid1(VALU_DEP_4)
	v_add_nc_u32_e32 v57, v57, v42
	v_and_b32_e32 v46, v60, v46
	s_delay_alu instid0(VALU_DEP_4) | instskip(NEXT) | instid1(VALU_DEP_2)
	v_bfe_u32 v73, v63, 20, 1
	v_cmp_eq_u32_e64 s13, v46, v74
	s_delay_alu instid0(VALU_DEP_2) | instskip(NEXT) | instid1(VALU_DEP_1)
	v_add_nc_u32_e32 v60, -1, v73
	v_cndmask_b32_e64 v46, 0, v60, s13
	v_lshrrev_b32_e32 v60, 23, v63
	s_mov_b32 s13, exec_lo
	s_delay_alu instid0(VALU_DEP_2) | instskip(NEXT) | instid1(VALU_DEP_2)
	v_add_nc_u32_e32 v46, v46, v63
	v_xor_b32_e32 v60, 1, v60
	s_delay_alu instid0(VALU_DEP_2) | instskip(NEXT) | instid1(VALU_DEP_1)
	v_and_b32_e32 v42, 0xfffff, v46
	v_add_nc_u32_e32 v46, v42, v63
                                        ; implicit-def: $vgpr42
	s_delay_alu instid0(VALU_DEP_3)
	v_cmpx_ne_u32_e64 v57, v60
	s_xor_b32 s13, exec_lo, s13
; %bb.8379:                             ;   in Loop: Header=BB6_8048 Depth=3
	s_delay_alu instid0(VALU_DEP_2) | instskip(SKIP_2) | instid1(VALU_DEP_2)
	v_cmp_lt_u32_e32 vcc_lo, 0xffffff, v46
	v_sub_nc_u32_e32 v42, v57, v60
	v_cndmask_b32_e64 v57, 0, 1, vcc_lo
	v_add_co_ci_u32_e32 v42, vcc_lo, 0, v42, vcc_lo
	s_delay_alu instid0(VALU_DEP_2)
	v_lshrrev_b32_e32 v46, v57, v46
; %bb.8380:                             ;   in Loop: Header=BB6_8048 Depth=3
	s_and_not1_saveexec_b32 s13, s13
; %bb.8381:                             ;   in Loop: Header=BB6_8048 Depth=3
	s_delay_alu instid0(VALU_DEP_1)
	v_bfe_u32 v42, v46, 23, 1
; %bb.8382:                             ;   in Loop: Header=BB6_8048 Depth=3
	s_or_b32 exec_lo, exec_lo, s13
	v_lshrrev_b32_e32 v46, 20, v46
	s_delay_alu instid0(VALU_DEP_2) | instskip(SKIP_2) | instid1(VALU_DEP_2)
	v_cmp_gt_i32_e32 vcc_lo, 16, v42
	v_lshrrev_b32_e32 v43, 24, v43
	v_min_i32_e32 v57, 15, v42
	v_dual_cndmask_b32 v46, 7, v46 :: v_dual_and_b32 v43, 0x80, v43
	s_delay_alu instid0(VALU_DEP_1) | instskip(SKIP_1) | instid1(VALU_DEP_2)
	v_or_b32_e32 v42, v42, v46
	v_and_b32_e32 v60, 7, v46
	v_cmp_ne_u32_e32 vcc_lo, 0, v42
	v_lshlrev_b32_e32 v57, 3, v57
	s_delay_alu instid0(VALU_DEP_1) | instskip(NEXT) | instid1(VALU_DEP_1)
	v_or3_b32 v43, v57, v43, v60
	v_cndmask_b32_e32 v42, 0, v43, vcc_lo
.LBB6_8383:                             ;   in Loop: Header=BB6_8048 Depth=3
	s_or_b32 exec_lo, exec_lo, s30
.LBB6_8384:                             ;   in Loop: Header=BB6_8048 Depth=3
	s_delay_alu instid0(SALU_CYCLE_1) | instskip(SKIP_3) | instid1(VALU_DEP_1)
	s_or_b32 exec_lo, exec_lo, s17
	v_and_b32_e32 v46, 0xff, v40
	s_mov_b32 s13, 0
	s_mov_b32 s30, exec_lo
                                        ; implicit-def: $sgpr17
	v_cmpx_lt_i16_e32 0x7f, v46
	s_xor_b32 s30, exec_lo, s30
	s_cbranch_execnz .LBB6_8726
; %bb.8385:                             ;   in Loop: Header=BB6_8048 Depth=3
	s_or_saveexec_b32 s30, s30
	v_mov_b32_e32 v43, s17
	s_xor_b32 exec_lo, exec_lo, s30
	s_cbranch_execnz .LBB6_8729
.LBB6_8386:                             ;   in Loop: Header=BB6_8048 Depth=3
	s_or_b32 exec_lo, exec_lo, s30
	s_and_saveexec_b32 s17, s13
	s_cbranch_execz .LBB6_8388
.LBB6_8387:                             ;   in Loop: Header=BB6_8048 Depth=3
	v_lshrrev_b16 v60, 3, v40
	s_delay_alu instid0(VALU_DEP_1) | instskip(NEXT) | instid1(VALU_DEP_1)
	v_and_b32_e32 v60, 15, v60
	v_cmp_eq_u32_e32 vcc_lo, 0, v60
	v_and_b32_e32 v43, 7, v40
	s_delay_alu instid0(VALU_DEP_1) | instskip(NEXT) | instid1(VALU_DEP_1)
	v_clz_i32_u32_e32 v46, v43
	v_min_u32_e32 v46, 32, v46
	s_delay_alu instid0(VALU_DEP_1) | instskip(SKIP_1) | instid1(VALU_DEP_1)
	v_subrev_nc_u32_e32 v57, 28, v46
	v_sub_nc_u32_e32 v46, 29, v46
	v_dual_cndmask_b32 v46, v60, v46 :: v_dual_lshlrev_b32 v57, v57, v40
	v_lshlrev_b32_e32 v40, 24, v40
	s_delay_alu instid0(VALU_DEP_2) | instskip(NEXT) | instid1(VALU_DEP_3)
	v_and_b32_e32 v57, 7, v57
	v_lshl_add_u32 v46, v46, 23, 0x3b800000
	s_delay_alu instid0(VALU_DEP_2) | instskip(NEXT) | instid1(VALU_DEP_1)
	v_dual_cndmask_b32 v43, v43, v57 :: v_dual_and_b32 v40, 0x80000000, v40
	v_lshlrev_b32_e32 v43, 20, v43
	s_delay_alu instid0(VALU_DEP_1)
	v_or3_b32 v43, v40, v46, v43
.LBB6_8388:                             ;   in Loop: Header=BB6_8048 Depth=3
	s_or_b32 exec_lo, exec_lo, s17
	s_waitcnt vmcnt(10) lgkmcnt(10)
	v_and_b32_e32 v46, 0xff, v183
	s_mov_b32 s13, 0
	s_mov_b32 s30, exec_lo
                                        ; implicit-def: $sgpr17
	s_delay_alu instid0(VALU_DEP_1)
	v_cmpx_lt_i16_e32 0x7f, v46
	s_xor_b32 s30, exec_lo, s30
	s_cbranch_execnz .LBB6_8730
; %bb.8389:                             ;   in Loop: Header=BB6_8048 Depth=3
	s_or_saveexec_b32 s30, s30
	v_mov_b32_e32 v40, s17
	s_xor_b32 exec_lo, exec_lo, s30
	s_cbranch_execnz .LBB6_8733
.LBB6_8390:                             ;   in Loop: Header=BB6_8048 Depth=3
	s_or_b32 exec_lo, exec_lo, s30
	s_and_saveexec_b32 s17, s13
	s_cbranch_execz .LBB6_8392
.LBB6_8391:                             ;   in Loop: Header=BB6_8048 Depth=3
	v_and_b32_e32 v40, 7, v183
	v_lshrrev_b16 v60, 3, v183
	s_delay_alu instid0(VALU_DEP_2) | instskip(NEXT) | instid1(VALU_DEP_2)
	v_clz_i32_u32_e32 v46, v40
	v_and_b32_e32 v60, 15, v60
	s_delay_alu instid0(VALU_DEP_2) | instskip(NEXT) | instid1(VALU_DEP_2)
	v_min_u32_e32 v46, 32, v46
	v_cmp_eq_u32_e32 vcc_lo, 0, v60
	s_delay_alu instid0(VALU_DEP_2) | instskip(SKIP_1) | instid1(VALU_DEP_1)
	v_subrev_nc_u32_e32 v57, 28, v46
	v_sub_nc_u32_e32 v46, 29, v46
	v_dual_cndmask_b32 v46, v60, v46 :: v_dual_lshlrev_b32 v57, v57, v183
	s_delay_alu instid0(VALU_DEP_1) | instskip(SKIP_1) | instid1(VALU_DEP_3)
	v_and_b32_e32 v57, 7, v57
	v_lshlrev_b32_e32 v183, 24, v183
	v_lshl_add_u32 v46, v46, 23, 0x3b800000
	s_delay_alu instid0(VALU_DEP_2) | instskip(NEXT) | instid1(VALU_DEP_1)
	v_dual_cndmask_b32 v40, v40, v57 :: v_dual_and_b32 v183, 0x80000000, v183
	v_lshlrev_b32_e32 v40, 20, v40
	s_delay_alu instid0(VALU_DEP_1)
	v_or3_b32 v40, v183, v46, v40
.LBB6_8392:                             ;   in Loop: Header=BB6_8048 Depth=3
	s_or_b32 exec_lo, exec_lo, s17
	s_delay_alu instid0(VALU_DEP_1) | instskip(NEXT) | instid1(VALU_DEP_1)
	v_add_f32_e32 v40, v43, v40
	v_and_b32_e32 v183, 0x7f800000, v40
	s_delay_alu instid0(VALU_DEP_1)
	v_cmp_ne_u32_e32 vcc_lo, 0x7f800000, v183
	v_mov_b32_e32 v183, 0x80
	s_and_saveexec_b32 s17, vcc_lo
	s_cbranch_execz .LBB6_8400
; %bb.8393:                             ;   in Loop: Header=BB6_8048 Depth=3
	v_mov_b32_e32 v183, 0
	s_mov_b32 s30, exec_lo
	v_cmpx_ne_u32_e32 0, v40
	s_cbranch_execz .LBB6_8399
; %bb.8394:                             ;   in Loop: Header=BB6_8048 Depth=3
	v_bfe_u32 v183, v40, 23, 8
	s_delay_alu instid0(VALU_DEP_1) | instskip(SKIP_1) | instid1(VALU_DEP_2)
	v_sub_nc_u32_e32 v46, 0x78, v183
	v_cmp_gt_u32_e32 vcc_lo, 0x79, v183
	v_dual_cndmask_b32 v46, 0, v46 :: v_dual_and_b32 v43, 0x7fffff, v40
	s_delay_alu instid0(VALU_DEP_1) | instskip(SKIP_2) | instid1(VALU_DEP_4)
	v_or_b32_e32 v57, 0x800000, v43
	v_cmp_eq_u32_e32 vcc_lo, 0, v183
	v_add_nc_u32_e32 v183, 0xffffff89, v183
	v_cndmask_b32_e64 v46, v46, 0x77, vcc_lo
	s_delay_alu instid0(VALU_DEP_4) | instskip(NEXT) | instid1(VALU_DEP_3)
	v_cndmask_b32_e32 v43, v57, v43, vcc_lo
	v_cndmask_b32_e64 v183, v183, 0xffffff8a, vcc_lo
	s_delay_alu instid0(VALU_DEP_3) | instskip(NEXT) | instid1(VALU_DEP_3)
	v_lshl_add_u32 v57, 0x100000, v46, -1
	v_lshrrev_b32_e32 v60, v46, v43
	v_lshlrev_b32_e64 v73, v46, 0x80000
	s_delay_alu instid0(VALU_DEP_4) | instskip(NEXT) | instid1(VALU_DEP_4)
	v_add_nc_u32_e32 v46, v46, v183
	v_and_b32_e32 v43, v57, v43
	s_delay_alu instid0(VALU_DEP_4) | instskip(NEXT) | instid1(VALU_DEP_2)
	v_bfe_u32 v63, v60, 20, 1
	v_cmp_eq_u32_e64 s13, v43, v73
	s_delay_alu instid0(VALU_DEP_2) | instskip(NEXT) | instid1(VALU_DEP_1)
	v_add_nc_u32_e32 v57, -1, v63
	v_cndmask_b32_e64 v43, 0, v57, s13
	v_lshrrev_b32_e32 v57, 23, v60
	s_mov_b32 s13, exec_lo
	s_delay_alu instid0(VALU_DEP_2) | instskip(NEXT) | instid1(VALU_DEP_2)
	v_add_nc_u32_e32 v43, v43, v60
	v_xor_b32_e32 v57, 1, v57
	s_delay_alu instid0(VALU_DEP_2) | instskip(NEXT) | instid1(VALU_DEP_1)
	v_and_b32_e32 v183, 0xfffff, v43
	v_add_nc_u32_e32 v43, v183, v60
                                        ; implicit-def: $vgpr183
	s_delay_alu instid0(VALU_DEP_3)
	v_cmpx_ne_u32_e64 v46, v57
	s_xor_b32 s13, exec_lo, s13
; %bb.8395:                             ;   in Loop: Header=BB6_8048 Depth=3
	s_delay_alu instid0(VALU_DEP_2) | instskip(SKIP_2) | instid1(VALU_DEP_2)
	v_cmp_lt_u32_e32 vcc_lo, 0xffffff, v43
	v_sub_nc_u32_e32 v183, v46, v57
	v_cndmask_b32_e64 v46, 0, 1, vcc_lo
	v_add_co_ci_u32_e32 v183, vcc_lo, 0, v183, vcc_lo
	s_delay_alu instid0(VALU_DEP_2)
	v_lshrrev_b32_e32 v43, v46, v43
; %bb.8396:                             ;   in Loop: Header=BB6_8048 Depth=3
	s_and_not1_saveexec_b32 s13, s13
; %bb.8397:                             ;   in Loop: Header=BB6_8048 Depth=3
	s_delay_alu instid0(VALU_DEP_1)
	v_bfe_u32 v183, v43, 23, 1
; %bb.8398:                             ;   in Loop: Header=BB6_8048 Depth=3
	s_or_b32 exec_lo, exec_lo, s13
	v_lshrrev_b32_e32 v43, 20, v43
	s_delay_alu instid0(VALU_DEP_2) | instskip(SKIP_2) | instid1(VALU_DEP_2)
	v_cmp_gt_i32_e32 vcc_lo, 16, v183
	v_lshrrev_b32_e32 v40, 24, v40
	v_min_i32_e32 v46, 15, v183
	v_dual_cndmask_b32 v43, 7, v43 :: v_dual_and_b32 v40, 0x80, v40
	s_delay_alu instid0(VALU_DEP_1) | instskip(SKIP_1) | instid1(VALU_DEP_2)
	v_or_b32_e32 v183, v183, v43
	v_and_b32_e32 v57, 7, v43
	v_cmp_ne_u32_e32 vcc_lo, 0, v183
	v_lshlrev_b32_e32 v46, 3, v46
	s_delay_alu instid0(VALU_DEP_1) | instskip(NEXT) | instid1(VALU_DEP_1)
	v_or3_b32 v40, v46, v40, v57
	v_cndmask_b32_e32 v183, 0, v40, vcc_lo
.LBB6_8399:                             ;   in Loop: Header=BB6_8048 Depth=3
	s_or_b32 exec_lo, exec_lo, s30
.LBB6_8400:                             ;   in Loop: Header=BB6_8048 Depth=3
	s_delay_alu instid0(SALU_CYCLE_1) | instskip(SKIP_3) | instid1(VALU_DEP_1)
	s_or_b32 exec_lo, exec_lo, s17
	v_and_b32_e32 v43, 0xff, v116
	s_mov_b32 s13, 0
	s_mov_b32 s30, exec_lo
                                        ; implicit-def: $sgpr17
	v_cmpx_lt_i16_e32 0x7f, v43
	s_xor_b32 s30, exec_lo, s30
	s_cbranch_execnz .LBB6_8734
; %bb.8401:                             ;   in Loop: Header=BB6_8048 Depth=3
	s_or_saveexec_b32 s30, s30
	v_mov_b32_e32 v40, s17
	s_xor_b32 exec_lo, exec_lo, s30
	s_cbranch_execnz .LBB6_8737
.LBB6_8402:                             ;   in Loop: Header=BB6_8048 Depth=3
	s_or_b32 exec_lo, exec_lo, s30
	s_and_saveexec_b32 s17, s13
	s_cbranch_execz .LBB6_8404
.LBB6_8403:                             ;   in Loop: Header=BB6_8048 Depth=3
	v_lshrrev_b16 v57, 3, v116
	s_delay_alu instid0(VALU_DEP_1) | instskip(NEXT) | instid1(VALU_DEP_1)
	v_and_b32_e32 v57, 15, v57
	v_cmp_eq_u32_e32 vcc_lo, 0, v57
	v_and_b32_e32 v40, 7, v116
	s_delay_alu instid0(VALU_DEP_1) | instskip(NEXT) | instid1(VALU_DEP_1)
	v_clz_i32_u32_e32 v43, v40
	v_min_u32_e32 v43, 32, v43
	s_delay_alu instid0(VALU_DEP_1) | instskip(SKIP_1) | instid1(VALU_DEP_1)
	v_subrev_nc_u32_e32 v46, 28, v43
	v_sub_nc_u32_e32 v43, 29, v43
	v_dual_cndmask_b32 v43, v57, v43 :: v_dual_lshlrev_b32 v46, v46, v116
	v_lshlrev_b32_e32 v116, 24, v116
	s_delay_alu instid0(VALU_DEP_2) | instskip(NEXT) | instid1(VALU_DEP_3)
	v_and_b32_e32 v46, 7, v46
	v_lshl_add_u32 v43, v43, 23, 0x3b800000
	s_delay_alu instid0(VALU_DEP_3) | instskip(NEXT) | instid1(VALU_DEP_3)
	v_and_b32_e32 v116, 0x80000000, v116
	v_cndmask_b32_e32 v40, v40, v46, vcc_lo
	s_delay_alu instid0(VALU_DEP_1) | instskip(NEXT) | instid1(VALU_DEP_1)
	v_lshlrev_b32_e32 v40, 20, v40
	v_or3_b32 v40, v116, v43, v40
.LBB6_8404:                             ;   in Loop: Header=BB6_8048 Depth=3
	s_or_b32 exec_lo, exec_lo, s17
	s_waitcnt vmcnt(9) lgkmcnt(9)
	v_and_b32_e32 v43, 0xff, v115
	s_mov_b32 s13, 0
	s_mov_b32 s30, exec_lo
                                        ; implicit-def: $sgpr17
	s_delay_alu instid0(VALU_DEP_1)
	v_cmpx_lt_i16_e32 0x7f, v43
	s_xor_b32 s30, exec_lo, s30
	s_cbranch_execnz .LBB6_8738
; %bb.8405:                             ;   in Loop: Header=BB6_8048 Depth=3
	s_or_saveexec_b32 s30, s30
	v_mov_b32_e32 v116, s17
	s_xor_b32 exec_lo, exec_lo, s30
	s_cbranch_execnz .LBB6_8741
.LBB6_8406:                             ;   in Loop: Header=BB6_8048 Depth=3
	s_or_b32 exec_lo, exec_lo, s30
	s_and_saveexec_b32 s17, s13
	s_cbranch_execz .LBB6_8408
.LBB6_8407:                             ;   in Loop: Header=BB6_8048 Depth=3
	v_and_b32_e32 v116, 7, v115
	v_lshrrev_b16 v57, 3, v115
	s_delay_alu instid0(VALU_DEP_2) | instskip(NEXT) | instid1(VALU_DEP_1)
	v_clz_i32_u32_e32 v43, v116
	v_min_u32_e32 v43, 32, v43
	s_delay_alu instid0(VALU_DEP_1) | instskip(SKIP_1) | instid1(VALU_DEP_2)
	v_subrev_nc_u32_e32 v46, 28, v43
	v_sub_nc_u32_e32 v43, 29, v43
	v_lshlrev_b32_e32 v46, v46, v115
	v_lshlrev_b32_e32 v115, 24, v115
	s_delay_alu instid0(VALU_DEP_2) | instskip(SKIP_1) | instid1(VALU_DEP_3)
	v_and_b32_e32 v46, 7, v46
	v_and_b32_e32 v57, 15, v57
	;; [unrolled: 1-line block ×3, first 2 shown]
	s_delay_alu instid0(VALU_DEP_2) | instskip(NEXT) | instid1(VALU_DEP_4)
	v_cmp_eq_u32_e32 vcc_lo, 0, v57
	v_dual_cndmask_b32 v116, v116, v46 :: v_dual_cndmask_b32 v43, v57, v43
	s_delay_alu instid0(VALU_DEP_1) | instskip(NEXT) | instid1(VALU_DEP_2)
	v_lshlrev_b32_e32 v116, 20, v116
	v_lshl_add_u32 v43, v43, 23, 0x3b800000
	s_delay_alu instid0(VALU_DEP_1)
	v_or3_b32 v116, v115, v43, v116
.LBB6_8408:                             ;   in Loop: Header=BB6_8048 Depth=3
	s_or_b32 exec_lo, exec_lo, s17
	s_delay_alu instid0(VALU_DEP_1) | instskip(NEXT) | instid1(VALU_DEP_1)
	v_add_f32_e32 v116, v40, v116
	v_and_b32_e32 v115, 0x7f800000, v116
	s_delay_alu instid0(VALU_DEP_1)
	v_cmp_ne_u32_e32 vcc_lo, 0x7f800000, v115
	v_mov_b32_e32 v115, 0x80
	s_and_saveexec_b32 s17, vcc_lo
	s_cbranch_execz .LBB6_8416
; %bb.8409:                             ;   in Loop: Header=BB6_8048 Depth=3
	v_mov_b32_e32 v115, 0
	s_mov_b32 s30, exec_lo
	v_cmpx_ne_u32_e32 0, v116
	s_cbranch_execz .LBB6_8415
; %bb.8410:                             ;   in Loop: Header=BB6_8048 Depth=3
	v_bfe_u32 v115, v116, 23, 8
	s_delay_alu instid0(VALU_DEP_1) | instskip(SKIP_1) | instid1(VALU_DEP_2)
	v_sub_nc_u32_e32 v43, 0x78, v115
	v_cmp_gt_u32_e32 vcc_lo, 0x79, v115
	v_dual_cndmask_b32 v43, 0, v43 :: v_dual_and_b32 v40, 0x7fffff, v116
	s_delay_alu instid0(VALU_DEP_1) | instskip(SKIP_2) | instid1(VALU_DEP_4)
	v_or_b32_e32 v46, 0x800000, v40
	v_cmp_eq_u32_e32 vcc_lo, 0, v115
	v_add_nc_u32_e32 v115, 0xffffff89, v115
	v_cndmask_b32_e64 v43, v43, 0x77, vcc_lo
	s_delay_alu instid0(VALU_DEP_4) | instskip(NEXT) | instid1(VALU_DEP_3)
	v_cndmask_b32_e32 v40, v46, v40, vcc_lo
	v_cndmask_b32_e64 v115, v115, 0xffffff8a, vcc_lo
	s_delay_alu instid0(VALU_DEP_3) | instskip(NEXT) | instid1(VALU_DEP_3)
	v_lshl_add_u32 v46, 0x100000, v43, -1
	v_lshrrev_b32_e32 v57, v43, v40
	v_lshlrev_b32_e64 v63, v43, 0x80000
	s_delay_alu instid0(VALU_DEP_4) | instskip(NEXT) | instid1(VALU_DEP_4)
	v_add_nc_u32_e32 v43, v43, v115
	v_and_b32_e32 v40, v46, v40
	s_delay_alu instid0(VALU_DEP_4) | instskip(NEXT) | instid1(VALU_DEP_2)
	v_bfe_u32 v60, v57, 20, 1
	v_cmp_eq_u32_e64 s13, v40, v63
	s_delay_alu instid0(VALU_DEP_2) | instskip(NEXT) | instid1(VALU_DEP_1)
	v_add_nc_u32_e32 v46, -1, v60
	v_cndmask_b32_e64 v40, 0, v46, s13
	v_lshrrev_b32_e32 v46, 23, v57
	s_mov_b32 s13, exec_lo
	s_delay_alu instid0(VALU_DEP_2) | instskip(NEXT) | instid1(VALU_DEP_2)
	v_add_nc_u32_e32 v40, v40, v57
	v_xor_b32_e32 v46, 1, v46
	s_delay_alu instid0(VALU_DEP_2) | instskip(NEXT) | instid1(VALU_DEP_1)
	v_and_b32_e32 v115, 0xfffff, v40
	v_add_nc_u32_e32 v40, v115, v57
                                        ; implicit-def: $vgpr115
	s_delay_alu instid0(VALU_DEP_3)
	v_cmpx_ne_u32_e64 v43, v46
	s_xor_b32 s13, exec_lo, s13
; %bb.8411:                             ;   in Loop: Header=BB6_8048 Depth=3
	s_delay_alu instid0(VALU_DEP_2) | instskip(SKIP_2) | instid1(VALU_DEP_2)
	v_cmp_lt_u32_e32 vcc_lo, 0xffffff, v40
	v_sub_nc_u32_e32 v115, v43, v46
	v_cndmask_b32_e64 v43, 0, 1, vcc_lo
	v_add_co_ci_u32_e32 v115, vcc_lo, 0, v115, vcc_lo
	s_delay_alu instid0(VALU_DEP_2)
	v_lshrrev_b32_e32 v40, v43, v40
; %bb.8412:                             ;   in Loop: Header=BB6_8048 Depth=3
	s_and_not1_saveexec_b32 s13, s13
; %bb.8413:                             ;   in Loop: Header=BB6_8048 Depth=3
	s_delay_alu instid0(VALU_DEP_1)
	v_bfe_u32 v115, v40, 23, 1
; %bb.8414:                             ;   in Loop: Header=BB6_8048 Depth=3
	s_or_b32 exec_lo, exec_lo, s13
	v_lshrrev_b32_e32 v40, 20, v40
	s_delay_alu instid0(VALU_DEP_2) | instskip(SKIP_2) | instid1(VALU_DEP_4)
	v_cmp_gt_i32_e32 vcc_lo, 16, v115
	v_lshrrev_b32_e32 v116, 24, v116
	v_min_i32_e32 v43, 15, v115
	v_cndmask_b32_e32 v40, 7, v40, vcc_lo
	s_delay_alu instid0(VALU_DEP_3) | instskip(NEXT) | instid1(VALU_DEP_3)
	v_and_b32_e32 v116, 0x80, v116
	v_lshlrev_b32_e32 v43, 3, v43
	s_delay_alu instid0(VALU_DEP_3) | instskip(SKIP_1) | instid1(VALU_DEP_2)
	v_and_b32_e32 v46, 7, v40
	v_or_b32_e32 v115, v115, v40
	v_or3_b32 v116, v43, v116, v46
	s_delay_alu instid0(VALU_DEP_2) | instskip(NEXT) | instid1(VALU_DEP_2)
	v_cmp_ne_u32_e32 vcc_lo, 0, v115
	v_cndmask_b32_e32 v115, 0, v116, vcc_lo
.LBB6_8415:                             ;   in Loop: Header=BB6_8048 Depth=3
	s_or_b32 exec_lo, exec_lo, s30
.LBB6_8416:                             ;   in Loop: Header=BB6_8048 Depth=3
	s_delay_alu instid0(SALU_CYCLE_1) | instskip(SKIP_3) | instid1(VALU_DEP_1)
	s_or_b32 exec_lo, exec_lo, s17
	v_and_b32_e32 v40, 0xff, v113
	s_mov_b32 s13, 0
	s_mov_b32 s30, exec_lo
                                        ; implicit-def: $sgpr17
	v_cmpx_lt_i16_e32 0x7f, v40
	s_xor_b32 s30, exec_lo, s30
	s_cbranch_execnz .LBB6_8742
; %bb.8417:                             ;   in Loop: Header=BB6_8048 Depth=3
	s_or_saveexec_b32 s30, s30
	v_mov_b32_e32 v116, s17
	s_xor_b32 exec_lo, exec_lo, s30
	s_cbranch_execnz .LBB6_8745
.LBB6_8418:                             ;   in Loop: Header=BB6_8048 Depth=3
	s_or_b32 exec_lo, exec_lo, s30
	s_and_saveexec_b32 s17, s13
	s_cbranch_execz .LBB6_8420
.LBB6_8419:                             ;   in Loop: Header=BB6_8048 Depth=3
	v_and_b32_e32 v116, 7, v113
	v_lshrrev_b16 v46, 3, v113
	s_delay_alu instid0(VALU_DEP_2) | instskip(NEXT) | instid1(VALU_DEP_2)
	v_clz_i32_u32_e32 v40, v116
	v_and_b32_e32 v46, 15, v46
	s_delay_alu instid0(VALU_DEP_2) | instskip(NEXT) | instid1(VALU_DEP_2)
	v_min_u32_e32 v40, 32, v40
	v_cmp_eq_u32_e32 vcc_lo, 0, v46
	s_delay_alu instid0(VALU_DEP_2) | instskip(SKIP_1) | instid1(VALU_DEP_1)
	v_subrev_nc_u32_e32 v43, 28, v40
	v_sub_nc_u32_e32 v40, 29, v40
	v_dual_cndmask_b32 v40, v46, v40 :: v_dual_lshlrev_b32 v43, v43, v113
	s_delay_alu instid0(VALU_DEP_1) | instskip(SKIP_1) | instid1(VALU_DEP_3)
	v_and_b32_e32 v43, 7, v43
	v_lshlrev_b32_e32 v113, 24, v113
	v_lshl_add_u32 v40, v40, 23, 0x3b800000
	s_delay_alu instid0(VALU_DEP_2) | instskip(NEXT) | instid1(VALU_DEP_1)
	v_dual_cndmask_b32 v116, v116, v43 :: v_dual_and_b32 v113, 0x80000000, v113
	v_lshlrev_b32_e32 v116, 20, v116
	s_delay_alu instid0(VALU_DEP_1)
	v_or3_b32 v116, v113, v40, v116
.LBB6_8420:                             ;   in Loop: Header=BB6_8048 Depth=3
	s_or_b32 exec_lo, exec_lo, s17
	s_waitcnt vmcnt(8) lgkmcnt(8)
	v_and_b32_e32 v40, 0xff, v112
	s_mov_b32 s13, 0
	s_mov_b32 s30, exec_lo
                                        ; implicit-def: $sgpr17
	s_delay_alu instid0(VALU_DEP_1)
	v_cmpx_lt_i16_e32 0x7f, v40
	s_xor_b32 s30, exec_lo, s30
	s_cbranch_execnz .LBB6_8746
; %bb.8421:                             ;   in Loop: Header=BB6_8048 Depth=3
	s_or_saveexec_b32 s30, s30
	v_mov_b32_e32 v113, s17
	s_xor_b32 exec_lo, exec_lo, s30
	s_cbranch_execnz .LBB6_8749
.LBB6_8422:                             ;   in Loop: Header=BB6_8048 Depth=3
	s_or_b32 exec_lo, exec_lo, s30
	s_and_saveexec_b32 s17, s13
	s_cbranch_execz .LBB6_8424
.LBB6_8423:                             ;   in Loop: Header=BB6_8048 Depth=3
	v_and_b32_e32 v113, 7, v112
	v_lshrrev_b16 v46, 3, v112
	s_delay_alu instid0(VALU_DEP_2) | instskip(NEXT) | instid1(VALU_DEP_1)
	v_clz_i32_u32_e32 v40, v113
	v_min_u32_e32 v40, 32, v40
	s_delay_alu instid0(VALU_DEP_1) | instskip(SKIP_1) | instid1(VALU_DEP_2)
	v_subrev_nc_u32_e32 v43, 28, v40
	v_sub_nc_u32_e32 v40, 29, v40
	v_lshlrev_b32_e32 v43, v43, v112
	v_lshlrev_b32_e32 v112, 24, v112
	s_delay_alu instid0(VALU_DEP_2) | instskip(SKIP_1) | instid1(VALU_DEP_3)
	v_and_b32_e32 v43, 7, v43
	v_and_b32_e32 v46, 15, v46
	;; [unrolled: 1-line block ×3, first 2 shown]
	s_delay_alu instid0(VALU_DEP_2) | instskip(NEXT) | instid1(VALU_DEP_4)
	v_cmp_eq_u32_e32 vcc_lo, 0, v46
	v_dual_cndmask_b32 v113, v113, v43 :: v_dual_cndmask_b32 v40, v46, v40
	s_delay_alu instid0(VALU_DEP_1) | instskip(NEXT) | instid1(VALU_DEP_2)
	v_lshlrev_b32_e32 v113, 20, v113
	v_lshl_add_u32 v40, v40, 23, 0x3b800000
	s_delay_alu instid0(VALU_DEP_1)
	v_or3_b32 v113, v112, v40, v113
.LBB6_8424:                             ;   in Loop: Header=BB6_8048 Depth=3
	s_or_b32 exec_lo, exec_lo, s17
	s_delay_alu instid0(VALU_DEP_1) | instskip(NEXT) | instid1(VALU_DEP_1)
	v_add_f32_e32 v113, v116, v113
	v_and_b32_e32 v112, 0x7f800000, v113
	s_delay_alu instid0(VALU_DEP_1)
	v_cmp_ne_u32_e32 vcc_lo, 0x7f800000, v112
	v_mov_b32_e32 v112, 0x80
	s_and_saveexec_b32 s17, vcc_lo
	s_cbranch_execz .LBB6_8432
; %bb.8425:                             ;   in Loop: Header=BB6_8048 Depth=3
	v_mov_b32_e32 v112, 0
	s_mov_b32 s30, exec_lo
	v_cmpx_ne_u32_e32 0, v113
	s_cbranch_execz .LBB6_8431
; %bb.8426:                             ;   in Loop: Header=BB6_8048 Depth=3
	v_bfe_u32 v112, v113, 23, 8
	v_and_b32_e32 v116, 0x7fffff, v113
	s_delay_alu instid0(VALU_DEP_2) | instskip(SKIP_1) | instid1(VALU_DEP_3)
	v_sub_nc_u32_e32 v40, 0x78, v112
	v_cmp_gt_u32_e32 vcc_lo, 0x79, v112
	v_or_b32_e32 v43, 0x800000, v116
	s_delay_alu instid0(VALU_DEP_3) | instskip(SKIP_2) | instid1(VALU_DEP_3)
	v_cndmask_b32_e32 v40, 0, v40, vcc_lo
	v_cmp_eq_u32_e32 vcc_lo, 0, v112
	v_add_nc_u32_e32 v112, 0xffffff89, v112
	v_cndmask_b32_e64 v40, v40, 0x77, vcc_lo
	v_cndmask_b32_e32 v116, v43, v116, vcc_lo
	s_delay_alu instid0(VALU_DEP_3) | instskip(NEXT) | instid1(VALU_DEP_3)
	v_cndmask_b32_e64 v112, v112, 0xffffff8a, vcc_lo
	v_lshl_add_u32 v43, 0x100000, v40, -1
	s_delay_alu instid0(VALU_DEP_3) | instskip(SKIP_1) | instid1(VALU_DEP_4)
	v_lshrrev_b32_e32 v46, v40, v116
	v_lshlrev_b32_e64 v60, v40, 0x80000
	v_add_nc_u32_e32 v40, v40, v112
	s_delay_alu instid0(VALU_DEP_4) | instskip(NEXT) | instid1(VALU_DEP_4)
	v_and_b32_e32 v116, v43, v116
	v_bfe_u32 v57, v46, 20, 1
	s_delay_alu instid0(VALU_DEP_2) | instskip(NEXT) | instid1(VALU_DEP_2)
	v_cmp_eq_u32_e64 s13, v116, v60
	v_add_nc_u32_e32 v43, -1, v57
	s_delay_alu instid0(VALU_DEP_1) | instskip(SKIP_2) | instid1(VALU_DEP_2)
	v_cndmask_b32_e64 v116, 0, v43, s13
	v_lshrrev_b32_e32 v43, 23, v46
	s_mov_b32 s13, exec_lo
	v_add_nc_u32_e32 v116, v116, v46
	s_delay_alu instid0(VALU_DEP_2) | instskip(NEXT) | instid1(VALU_DEP_2)
	v_xor_b32_e32 v43, 1, v43
	v_and_b32_e32 v112, 0xfffff, v116
	s_delay_alu instid0(VALU_DEP_1) | instskip(NEXT) | instid1(VALU_DEP_3)
	v_add_nc_u32_e32 v116, v112, v46
                                        ; implicit-def: $vgpr112
	v_cmpx_ne_u32_e64 v40, v43
	s_xor_b32 s13, exec_lo, s13
; %bb.8427:                             ;   in Loop: Header=BB6_8048 Depth=3
	s_delay_alu instid0(VALU_DEP_2) | instskip(SKIP_2) | instid1(VALU_DEP_2)
	v_cmp_lt_u32_e32 vcc_lo, 0xffffff, v116
	v_sub_nc_u32_e32 v112, v40, v43
	v_cndmask_b32_e64 v40, 0, 1, vcc_lo
	v_add_co_ci_u32_e32 v112, vcc_lo, 0, v112, vcc_lo
	s_delay_alu instid0(VALU_DEP_2)
	v_lshrrev_b32_e32 v116, v40, v116
; %bb.8428:                             ;   in Loop: Header=BB6_8048 Depth=3
	s_and_not1_saveexec_b32 s13, s13
; %bb.8429:                             ;   in Loop: Header=BB6_8048 Depth=3
	s_delay_alu instid0(VALU_DEP_1)
	v_bfe_u32 v112, v116, 23, 1
; %bb.8430:                             ;   in Loop: Header=BB6_8048 Depth=3
	s_or_b32 exec_lo, exec_lo, s13
	v_lshrrev_b32_e32 v116, 20, v116
	s_delay_alu instid0(VALU_DEP_2) | instskip(SKIP_2) | instid1(VALU_DEP_2)
	v_cmp_gt_i32_e32 vcc_lo, 16, v112
	v_lshrrev_b32_e32 v113, 24, v113
	v_min_i32_e32 v40, 15, v112
	v_dual_cndmask_b32 v116, 7, v116 :: v_dual_and_b32 v113, 0x80, v113
	s_delay_alu instid0(VALU_DEP_2) | instskip(NEXT) | instid1(VALU_DEP_2)
	v_lshlrev_b32_e32 v40, 3, v40
	v_or_b32_e32 v112, v112, v116
	s_delay_alu instid0(VALU_DEP_1) | instskip(SKIP_1) | instid1(VALU_DEP_1)
	v_cmp_ne_u32_e32 vcc_lo, 0, v112
	v_and_b32_e32 v43, 7, v116
	v_or3_b32 v113, v40, v113, v43
	s_delay_alu instid0(VALU_DEP_1)
	v_cndmask_b32_e32 v112, 0, v113, vcc_lo
.LBB6_8431:                             ;   in Loop: Header=BB6_8048 Depth=3
	s_or_b32 exec_lo, exec_lo, s30
.LBB6_8432:                             ;   in Loop: Header=BB6_8048 Depth=3
	s_delay_alu instid0(SALU_CYCLE_1) | instskip(SKIP_3) | instid1(VALU_DEP_1)
	s_or_b32 exec_lo, exec_lo, s17
	v_and_b32_e32 v116, 0xff, v101
	s_mov_b32 s13, 0
	s_mov_b32 s30, exec_lo
                                        ; implicit-def: $sgpr17
	v_cmpx_lt_i16_e32 0x7f, v116
	s_xor_b32 s30, exec_lo, s30
	s_cbranch_execnz .LBB6_8750
; %bb.8433:                             ;   in Loop: Header=BB6_8048 Depth=3
	s_or_saveexec_b32 s30, s30
	v_mov_b32_e32 v113, s17
	s_xor_b32 exec_lo, exec_lo, s30
	s_cbranch_execnz .LBB6_8753
.LBB6_8434:                             ;   in Loop: Header=BB6_8048 Depth=3
	s_or_b32 exec_lo, exec_lo, s30
	s_and_saveexec_b32 s17, s13
	s_cbranch_execz .LBB6_8436
.LBB6_8435:                             ;   in Loop: Header=BB6_8048 Depth=3
	v_lshrrev_b16 v43, 3, v101
	s_delay_alu instid0(VALU_DEP_1) | instskip(NEXT) | instid1(VALU_DEP_1)
	v_and_b32_e32 v43, 15, v43
	v_cmp_eq_u32_e32 vcc_lo, 0, v43
	v_and_b32_e32 v113, 7, v101
	s_delay_alu instid0(VALU_DEP_1) | instskip(NEXT) | instid1(VALU_DEP_1)
	v_clz_i32_u32_e32 v116, v113
	v_min_u32_e32 v116, 32, v116
	s_delay_alu instid0(VALU_DEP_1) | instskip(SKIP_1) | instid1(VALU_DEP_2)
	v_subrev_nc_u32_e32 v40, 28, v116
	v_sub_nc_u32_e32 v116, 29, v116
	v_lshlrev_b32_e32 v40, v40, v101
	s_delay_alu instid0(VALU_DEP_2) | instskip(NEXT) | instid1(VALU_DEP_2)
	v_dual_cndmask_b32 v116, v43, v116 :: v_dual_lshlrev_b32 v101, 24, v101
	v_and_b32_e32 v40, 7, v40
	s_delay_alu instid0(VALU_DEP_2) | instskip(NEXT) | instid1(VALU_DEP_3)
	v_lshl_add_u32 v116, v116, 23, 0x3b800000
	v_and_b32_e32 v101, 0x80000000, v101
	s_delay_alu instid0(VALU_DEP_3) | instskip(NEXT) | instid1(VALU_DEP_1)
	v_cndmask_b32_e32 v113, v113, v40, vcc_lo
	v_lshlrev_b32_e32 v113, 20, v113
	s_delay_alu instid0(VALU_DEP_1)
	v_or3_b32 v113, v101, v116, v113
.LBB6_8436:                             ;   in Loop: Header=BB6_8048 Depth=3
	s_or_b32 exec_lo, exec_lo, s17
	s_waitcnt vmcnt(7) lgkmcnt(7)
	v_and_b32_e32 v116, 0xff, v51
	s_mov_b32 s13, 0
	s_mov_b32 s30, exec_lo
                                        ; implicit-def: $sgpr17
	s_delay_alu instid0(VALU_DEP_1)
	v_cmpx_lt_i16_e32 0x7f, v116
	s_xor_b32 s30, exec_lo, s30
	s_cbranch_execnz .LBB6_8754
; %bb.8437:                             ;   in Loop: Header=BB6_8048 Depth=3
	s_or_saveexec_b32 s30, s30
	v_mov_b32_e32 v101, s17
	s_xor_b32 exec_lo, exec_lo, s30
	s_cbranch_execnz .LBB6_8757
.LBB6_8438:                             ;   in Loop: Header=BB6_8048 Depth=3
	s_or_b32 exec_lo, exec_lo, s30
	s_and_saveexec_b32 s17, s13
	s_cbranch_execz .LBB6_8440
.LBB6_8439:                             ;   in Loop: Header=BB6_8048 Depth=3
	v_lshrrev_b16 v43, 3, v51
	s_delay_alu instid0(VALU_DEP_1) | instskip(NEXT) | instid1(VALU_DEP_1)
	v_and_b32_e32 v43, 15, v43
	v_cmp_eq_u32_e32 vcc_lo, 0, v43
	v_and_b32_e32 v101, 7, v51
	s_delay_alu instid0(VALU_DEP_1) | instskip(NEXT) | instid1(VALU_DEP_1)
	v_clz_i32_u32_e32 v116, v101
	v_min_u32_e32 v116, 32, v116
	s_delay_alu instid0(VALU_DEP_1) | instskip(SKIP_1) | instid1(VALU_DEP_2)
	v_subrev_nc_u32_e32 v40, 28, v116
	v_sub_nc_u32_e32 v116, 29, v116
	v_lshlrev_b32_e32 v40, v40, v51
	s_delay_alu instid0(VALU_DEP_2) | instskip(NEXT) | instid1(VALU_DEP_2)
	v_dual_cndmask_b32 v116, v43, v116 :: v_dual_lshlrev_b32 v51, 24, v51
	v_and_b32_e32 v40, 7, v40
	s_delay_alu instid0(VALU_DEP_2) | instskip(NEXT) | instid1(VALU_DEP_3)
	v_lshl_add_u32 v116, v116, 23, 0x3b800000
	v_and_b32_e32 v51, 0x80000000, v51
	s_delay_alu instid0(VALU_DEP_3) | instskip(NEXT) | instid1(VALU_DEP_1)
	v_cndmask_b32_e32 v101, v101, v40, vcc_lo
	v_lshlrev_b32_e32 v101, 20, v101
	s_delay_alu instid0(VALU_DEP_1)
	v_or3_b32 v101, v51, v116, v101
.LBB6_8440:                             ;   in Loop: Header=BB6_8048 Depth=3
	s_or_b32 exec_lo, exec_lo, s17
	s_delay_alu instid0(VALU_DEP_1) | instskip(NEXT) | instid1(VALU_DEP_1)
	v_add_f32_e32 v101, v113, v101
	v_and_b32_e32 v51, 0x7f800000, v101
	s_delay_alu instid0(VALU_DEP_1)
	v_cmp_ne_u32_e32 vcc_lo, 0x7f800000, v51
	v_mov_b32_e32 v51, 0x80
	s_and_saveexec_b32 s17, vcc_lo
	s_cbranch_execz .LBB6_8448
; %bb.8441:                             ;   in Loop: Header=BB6_8048 Depth=3
	v_mov_b32_e32 v51, 0
	s_mov_b32 s30, exec_lo
	v_cmpx_ne_u32_e32 0, v101
	s_cbranch_execz .LBB6_8447
; %bb.8442:                             ;   in Loop: Header=BB6_8048 Depth=3
	v_bfe_u32 v51, v101, 23, 8
	s_delay_alu instid0(VALU_DEP_1) | instskip(SKIP_1) | instid1(VALU_DEP_2)
	v_sub_nc_u32_e32 v116, 0x78, v51
	v_cmp_gt_u32_e32 vcc_lo, 0x79, v51
	v_dual_cndmask_b32 v116, 0, v116 :: v_dual_and_b32 v113, 0x7fffff, v101
	s_delay_alu instid0(VALU_DEP_1) | instskip(SKIP_2) | instid1(VALU_DEP_4)
	v_or_b32_e32 v40, 0x800000, v113
	v_cmp_eq_u32_e32 vcc_lo, 0, v51
	v_add_nc_u32_e32 v51, 0xffffff89, v51
	v_cndmask_b32_e64 v116, v116, 0x77, vcc_lo
	s_delay_alu instid0(VALU_DEP_4) | instskip(NEXT) | instid1(VALU_DEP_3)
	v_cndmask_b32_e32 v113, v40, v113, vcc_lo
	v_cndmask_b32_e64 v51, v51, 0xffffff8a, vcc_lo
	s_delay_alu instid0(VALU_DEP_3) | instskip(NEXT) | instid1(VALU_DEP_3)
	v_lshl_add_u32 v40, 0x100000, v116, -1
	v_lshrrev_b32_e32 v43, v116, v113
	v_lshlrev_b32_e64 v57, v116, 0x80000
	s_delay_alu instid0(VALU_DEP_4) | instskip(NEXT) | instid1(VALU_DEP_4)
	v_add_nc_u32_e32 v116, v116, v51
	v_and_b32_e32 v113, v40, v113
	s_delay_alu instid0(VALU_DEP_4) | instskip(NEXT) | instid1(VALU_DEP_2)
	v_bfe_u32 v46, v43, 20, 1
	v_cmp_eq_u32_e64 s13, v113, v57
	s_delay_alu instid0(VALU_DEP_2) | instskip(NEXT) | instid1(VALU_DEP_1)
	v_add_nc_u32_e32 v40, -1, v46
	v_cndmask_b32_e64 v113, 0, v40, s13
	v_lshrrev_b32_e32 v40, 23, v43
	s_mov_b32 s13, exec_lo
	s_delay_alu instid0(VALU_DEP_2) | instskip(NEXT) | instid1(VALU_DEP_2)
	v_add_nc_u32_e32 v113, v113, v43
	v_xor_b32_e32 v40, 1, v40
	s_delay_alu instid0(VALU_DEP_2) | instskip(NEXT) | instid1(VALU_DEP_1)
	v_and_b32_e32 v51, 0xfffff, v113
	v_add_nc_u32_e32 v113, v51, v43
                                        ; implicit-def: $vgpr51
	s_delay_alu instid0(VALU_DEP_3)
	v_cmpx_ne_u32_e64 v116, v40
	s_xor_b32 s13, exec_lo, s13
; %bb.8443:                             ;   in Loop: Header=BB6_8048 Depth=3
	s_delay_alu instid0(VALU_DEP_2) | instskip(SKIP_2) | instid1(VALU_DEP_2)
	v_cmp_lt_u32_e32 vcc_lo, 0xffffff, v113
	v_sub_nc_u32_e32 v51, v116, v40
	v_cndmask_b32_e64 v116, 0, 1, vcc_lo
	v_add_co_ci_u32_e32 v51, vcc_lo, 0, v51, vcc_lo
	s_delay_alu instid0(VALU_DEP_2)
	v_lshrrev_b32_e32 v113, v116, v113
; %bb.8444:                             ;   in Loop: Header=BB6_8048 Depth=3
	s_and_not1_saveexec_b32 s13, s13
; %bb.8445:                             ;   in Loop: Header=BB6_8048 Depth=3
	s_delay_alu instid0(VALU_DEP_1)
	v_bfe_u32 v51, v113, 23, 1
; %bb.8446:                             ;   in Loop: Header=BB6_8048 Depth=3
	s_or_b32 exec_lo, exec_lo, s13
	v_lshrrev_b32_e32 v113, 20, v113
	s_delay_alu instid0(VALU_DEP_2) | instskip(SKIP_2) | instid1(VALU_DEP_4)
	v_cmp_gt_i32_e32 vcc_lo, 16, v51
	v_lshrrev_b32_e32 v101, 24, v101
	v_min_i32_e32 v116, 15, v51
	v_cndmask_b32_e32 v113, 7, v113, vcc_lo
	s_delay_alu instid0(VALU_DEP_3) | instskip(NEXT) | instid1(VALU_DEP_3)
	v_and_b32_e32 v101, 0x80, v101
	v_lshlrev_b32_e32 v116, 3, v116
	s_delay_alu instid0(VALU_DEP_3) | instskip(SKIP_1) | instid1(VALU_DEP_2)
	v_and_b32_e32 v40, 7, v113
	v_or_b32_e32 v51, v51, v113
	v_or3_b32 v101, v116, v101, v40
	s_delay_alu instid0(VALU_DEP_2) | instskip(NEXT) | instid1(VALU_DEP_2)
	v_cmp_ne_u32_e32 vcc_lo, 0, v51
	v_cndmask_b32_e32 v51, 0, v101, vcc_lo
.LBB6_8447:                             ;   in Loop: Header=BB6_8048 Depth=3
	s_or_b32 exec_lo, exec_lo, s30
.LBB6_8448:                             ;   in Loop: Header=BB6_8048 Depth=3
	s_delay_alu instid0(SALU_CYCLE_1) | instskip(SKIP_3) | instid1(VALU_DEP_1)
	s_or_b32 exec_lo, exec_lo, s17
	v_and_b32_e32 v113, 0xff, v49
	s_mov_b32 s13, 0
	s_mov_b32 s30, exec_lo
                                        ; implicit-def: $sgpr17
	v_cmpx_lt_i16_e32 0x7f, v113
	s_xor_b32 s30, exec_lo, s30
	s_cbranch_execnz .LBB6_8758
; %bb.8449:                             ;   in Loop: Header=BB6_8048 Depth=3
	s_or_saveexec_b32 s30, s30
	v_mov_b32_e32 v101, s17
	s_xor_b32 exec_lo, exec_lo, s30
	s_cbranch_execnz .LBB6_8761
.LBB6_8450:                             ;   in Loop: Header=BB6_8048 Depth=3
	s_or_b32 exec_lo, exec_lo, s30
	s_and_saveexec_b32 s17, s13
	s_cbranch_execz .LBB6_8452
.LBB6_8451:                             ;   in Loop: Header=BB6_8048 Depth=3
	v_and_b32_e32 v101, 7, v49
	v_lshrrev_b16 v40, 3, v49
	s_delay_alu instid0(VALU_DEP_2) | instskip(NEXT) | instid1(VALU_DEP_2)
	v_clz_i32_u32_e32 v113, v101
	v_and_b32_e32 v40, 15, v40
	s_delay_alu instid0(VALU_DEP_2) | instskip(NEXT) | instid1(VALU_DEP_2)
	v_min_u32_e32 v113, 32, v113
	v_cmp_eq_u32_e32 vcc_lo, 0, v40
	s_delay_alu instid0(VALU_DEP_2) | instskip(SKIP_1) | instid1(VALU_DEP_2)
	v_subrev_nc_u32_e32 v116, 28, v113
	v_sub_nc_u32_e32 v113, 29, v113
	v_lshlrev_b32_e32 v116, v116, v49
	v_lshlrev_b32_e32 v49, 24, v49
	s_delay_alu instid0(VALU_DEP_2) | instskip(NEXT) | instid1(VALU_DEP_2)
	v_dual_cndmask_b32 v113, v40, v113 :: v_dual_and_b32 v116, 7, v116
	v_and_b32_e32 v49, 0x80000000, v49
	s_delay_alu instid0(VALU_DEP_2) | instskip(NEXT) | instid1(VALU_DEP_3)
	v_lshl_add_u32 v113, v113, 23, 0x3b800000
	v_cndmask_b32_e32 v101, v101, v116, vcc_lo
	s_delay_alu instid0(VALU_DEP_1) | instskip(NEXT) | instid1(VALU_DEP_1)
	v_lshlrev_b32_e32 v101, 20, v101
	v_or3_b32 v101, v49, v113, v101
.LBB6_8452:                             ;   in Loop: Header=BB6_8048 Depth=3
	s_or_b32 exec_lo, exec_lo, s17
	s_waitcnt vmcnt(6) lgkmcnt(6)
	v_and_b32_e32 v113, 0xff, v48
	s_mov_b32 s13, 0
	s_mov_b32 s30, exec_lo
                                        ; implicit-def: $sgpr17
	s_delay_alu instid0(VALU_DEP_1)
	v_cmpx_lt_i16_e32 0x7f, v113
	s_xor_b32 s30, exec_lo, s30
	s_cbranch_execnz .LBB6_8762
; %bb.8453:                             ;   in Loop: Header=BB6_8048 Depth=3
	s_or_saveexec_b32 s30, s30
	v_mov_b32_e32 v49, s17
	s_xor_b32 exec_lo, exec_lo, s30
	s_cbranch_execnz .LBB6_8765
.LBB6_8454:                             ;   in Loop: Header=BB6_8048 Depth=3
	s_or_b32 exec_lo, exec_lo, s30
	s_and_saveexec_b32 s17, s13
	s_cbranch_execz .LBB6_8456
.LBB6_8455:                             ;   in Loop: Header=BB6_8048 Depth=3
	v_and_b32_e32 v49, 7, v48
	v_lshrrev_b16 v40, 3, v48
	s_delay_alu instid0(VALU_DEP_2) | instskip(NEXT) | instid1(VALU_DEP_2)
	v_clz_i32_u32_e32 v113, v49
	v_and_b32_e32 v40, 15, v40
	s_delay_alu instid0(VALU_DEP_2) | instskip(NEXT) | instid1(VALU_DEP_2)
	v_min_u32_e32 v113, 32, v113
	v_cmp_eq_u32_e32 vcc_lo, 0, v40
	s_delay_alu instid0(VALU_DEP_2) | instskip(SKIP_1) | instid1(VALU_DEP_2)
	v_subrev_nc_u32_e32 v116, 28, v113
	v_sub_nc_u32_e32 v113, 29, v113
	v_lshlrev_b32_e32 v116, v116, v48
	s_delay_alu instid0(VALU_DEP_2) | instskip(NEXT) | instid1(VALU_DEP_2)
	v_dual_cndmask_b32 v113, v40, v113 :: v_dual_lshlrev_b32 v48, 24, v48
	v_and_b32_e32 v116, 7, v116
	s_delay_alu instid0(VALU_DEP_2) | instskip(NEXT) | instid1(VALU_DEP_3)
	v_and_b32_e32 v48, 0x80000000, v48
	v_lshl_add_u32 v113, v113, 23, 0x3b800000
	s_delay_alu instid0(VALU_DEP_3) | instskip(NEXT) | instid1(VALU_DEP_1)
	v_cndmask_b32_e32 v49, v49, v116, vcc_lo
	v_lshlrev_b32_e32 v49, 20, v49
	s_delay_alu instid0(VALU_DEP_1)
	v_or3_b32 v49, v48, v113, v49
.LBB6_8456:                             ;   in Loop: Header=BB6_8048 Depth=3
	s_or_b32 exec_lo, exec_lo, s17
	s_delay_alu instid0(VALU_DEP_1) | instskip(NEXT) | instid1(VALU_DEP_1)
	v_add_f32_e32 v49, v101, v49
	v_and_b32_e32 v48, 0x7f800000, v49
	s_delay_alu instid0(VALU_DEP_1)
	v_cmp_ne_u32_e32 vcc_lo, 0x7f800000, v48
	v_mov_b32_e32 v48, 0x80
	s_and_saveexec_b32 s17, vcc_lo
	s_cbranch_execz .LBB6_8464
; %bb.8457:                             ;   in Loop: Header=BB6_8048 Depth=3
	v_mov_b32_e32 v48, 0
	s_mov_b32 s30, exec_lo
	v_cmpx_ne_u32_e32 0, v49
	s_cbranch_execz .LBB6_8463
; %bb.8458:                             ;   in Loop: Header=BB6_8048 Depth=3
	v_bfe_u32 v48, v49, 23, 8
	v_and_b32_e32 v101, 0x7fffff, v49
	s_delay_alu instid0(VALU_DEP_2) | instskip(SKIP_1) | instid1(VALU_DEP_3)
	v_sub_nc_u32_e32 v113, 0x78, v48
	v_cmp_gt_u32_e32 vcc_lo, 0x79, v48
	v_or_b32_e32 v116, 0x800000, v101
	s_delay_alu instid0(VALU_DEP_3) | instskip(SKIP_2) | instid1(VALU_DEP_3)
	v_cndmask_b32_e32 v113, 0, v113, vcc_lo
	v_cmp_eq_u32_e32 vcc_lo, 0, v48
	v_add_nc_u32_e32 v48, 0xffffff89, v48
	v_cndmask_b32_e64 v113, v113, 0x77, vcc_lo
	v_cndmask_b32_e32 v101, v116, v101, vcc_lo
	s_delay_alu instid0(VALU_DEP_3) | instskip(NEXT) | instid1(VALU_DEP_3)
	v_cndmask_b32_e64 v48, v48, 0xffffff8a, vcc_lo
	v_lshl_add_u32 v116, 0x100000, v113, -1
	s_delay_alu instid0(VALU_DEP_3) | instskip(SKIP_1) | instid1(VALU_DEP_4)
	v_lshrrev_b32_e32 v40, v113, v101
	v_lshlrev_b32_e64 v46, v113, 0x80000
	v_add_nc_u32_e32 v113, v113, v48
	s_delay_alu instid0(VALU_DEP_4) | instskip(NEXT) | instid1(VALU_DEP_4)
	v_and_b32_e32 v101, v116, v101
	v_bfe_u32 v43, v40, 20, 1
	s_delay_alu instid0(VALU_DEP_2) | instskip(NEXT) | instid1(VALU_DEP_2)
	v_cmp_eq_u32_e64 s13, v101, v46
	v_add_nc_u32_e32 v116, -1, v43
	s_delay_alu instid0(VALU_DEP_1) | instskip(SKIP_2) | instid1(VALU_DEP_2)
	v_cndmask_b32_e64 v101, 0, v116, s13
	v_lshrrev_b32_e32 v116, 23, v40
	s_mov_b32 s13, exec_lo
	v_add_nc_u32_e32 v101, v101, v40
	s_delay_alu instid0(VALU_DEP_2) | instskip(NEXT) | instid1(VALU_DEP_2)
	v_xor_b32_e32 v116, 1, v116
	v_and_b32_e32 v48, 0xfffff, v101
	s_delay_alu instid0(VALU_DEP_1) | instskip(NEXT) | instid1(VALU_DEP_3)
	v_add_nc_u32_e32 v101, v48, v40
                                        ; implicit-def: $vgpr48
	v_cmpx_ne_u32_e64 v113, v116
	s_xor_b32 s13, exec_lo, s13
; %bb.8459:                             ;   in Loop: Header=BB6_8048 Depth=3
	s_delay_alu instid0(VALU_DEP_2) | instskip(SKIP_2) | instid1(VALU_DEP_2)
	v_cmp_lt_u32_e32 vcc_lo, 0xffffff, v101
	v_sub_nc_u32_e32 v48, v113, v116
	v_cndmask_b32_e64 v113, 0, 1, vcc_lo
	v_add_co_ci_u32_e32 v48, vcc_lo, 0, v48, vcc_lo
	s_delay_alu instid0(VALU_DEP_2)
	v_lshrrev_b32_e32 v101, v113, v101
; %bb.8460:                             ;   in Loop: Header=BB6_8048 Depth=3
	s_and_not1_saveexec_b32 s13, s13
; %bb.8461:                             ;   in Loop: Header=BB6_8048 Depth=3
	s_delay_alu instid0(VALU_DEP_1)
	v_bfe_u32 v48, v101, 23, 1
; %bb.8462:                             ;   in Loop: Header=BB6_8048 Depth=3
	s_or_b32 exec_lo, exec_lo, s13
	v_lshrrev_b32_e32 v101, 20, v101
	s_delay_alu instid0(VALU_DEP_2) | instskip(SKIP_2) | instid1(VALU_DEP_4)
	v_cmp_gt_i32_e32 vcc_lo, 16, v48
	v_lshrrev_b32_e32 v49, 24, v49
	v_min_i32_e32 v113, 15, v48
	v_cndmask_b32_e32 v101, 7, v101, vcc_lo
	s_delay_alu instid0(VALU_DEP_3) | instskip(NEXT) | instid1(VALU_DEP_3)
	v_and_b32_e32 v49, 0x80, v49
	v_lshlrev_b32_e32 v113, 3, v113
	s_delay_alu instid0(VALU_DEP_3) | instskip(SKIP_1) | instid1(VALU_DEP_2)
	v_and_b32_e32 v116, 7, v101
	v_or_b32_e32 v48, v48, v101
	v_or3_b32 v49, v113, v49, v116
	s_delay_alu instid0(VALU_DEP_2) | instskip(NEXT) | instid1(VALU_DEP_2)
	v_cmp_ne_u32_e32 vcc_lo, 0, v48
	v_cndmask_b32_e32 v48, 0, v49, vcc_lo
.LBB6_8463:                             ;   in Loop: Header=BB6_8048 Depth=3
	s_or_b32 exec_lo, exec_lo, s30
.LBB6_8464:                             ;   in Loop: Header=BB6_8048 Depth=3
	s_delay_alu instid0(SALU_CYCLE_1) | instskip(SKIP_3) | instid1(VALU_DEP_1)
	s_or_b32 exec_lo, exec_lo, s17
	v_and_b32_e32 v101, 0xff, v38
	s_mov_b32 s13, 0
	s_mov_b32 s30, exec_lo
                                        ; implicit-def: $sgpr17
	v_cmpx_lt_i16_e32 0x7f, v101
	s_xor_b32 s30, exec_lo, s30
	s_cbranch_execnz .LBB6_8766
; %bb.8465:                             ;   in Loop: Header=BB6_8048 Depth=3
	s_or_saveexec_b32 s30, s30
	v_mov_b32_e32 v49, s17
	s_xor_b32 exec_lo, exec_lo, s30
	s_cbranch_execnz .LBB6_8769
.LBB6_8466:                             ;   in Loop: Header=BB6_8048 Depth=3
	s_or_b32 exec_lo, exec_lo, s30
	s_and_saveexec_b32 s17, s13
	s_cbranch_execz .LBB6_8468
.LBB6_8467:                             ;   in Loop: Header=BB6_8048 Depth=3
	v_and_b32_e32 v49, 7, v38
	v_lshrrev_b16 v116, 3, v38
	s_delay_alu instid0(VALU_DEP_2) | instskip(NEXT) | instid1(VALU_DEP_1)
	v_clz_i32_u32_e32 v101, v49
	v_min_u32_e32 v101, 32, v101
	s_delay_alu instid0(VALU_DEP_1) | instskip(SKIP_1) | instid1(VALU_DEP_2)
	v_subrev_nc_u32_e32 v113, 28, v101
	v_sub_nc_u32_e32 v101, 29, v101
	v_lshlrev_b32_e32 v113, v113, v38
	s_delay_alu instid0(VALU_DEP_1) | instskip(SKIP_1) | instid1(VALU_DEP_1)
	v_and_b32_e32 v113, 7, v113
	v_and_b32_e32 v116, 15, v116
	v_cmp_eq_u32_e32 vcc_lo, 0, v116
	s_delay_alu instid0(VALU_DEP_3) | instskip(SKIP_1) | instid1(VALU_DEP_2)
	v_dual_cndmask_b32 v49, v49, v113 :: v_dual_lshlrev_b32 v38, 24, v38
	v_cndmask_b32_e32 v101, v116, v101, vcc_lo
	v_lshlrev_b32_e32 v49, 20, v49
	s_delay_alu instid0(VALU_DEP_3) | instskip(NEXT) | instid1(VALU_DEP_3)
	v_and_b32_e32 v38, 0x80000000, v38
	v_lshl_add_u32 v101, v101, 23, 0x3b800000
	s_delay_alu instid0(VALU_DEP_1)
	v_or3_b32 v49, v38, v101, v49
.LBB6_8468:                             ;   in Loop: Header=BB6_8048 Depth=3
	s_or_b32 exec_lo, exec_lo, s17
	s_waitcnt vmcnt(5) lgkmcnt(5)
	v_and_b32_e32 v101, 0xff, v37
	s_mov_b32 s13, 0
	s_mov_b32 s30, exec_lo
                                        ; implicit-def: $sgpr17
	s_delay_alu instid0(VALU_DEP_1)
	v_cmpx_lt_i16_e32 0x7f, v101
	s_xor_b32 s30, exec_lo, s30
	s_cbranch_execnz .LBB6_8770
; %bb.8469:                             ;   in Loop: Header=BB6_8048 Depth=3
	s_or_saveexec_b32 s30, s30
	v_mov_b32_e32 v38, s17
	s_xor_b32 exec_lo, exec_lo, s30
	s_cbranch_execnz .LBB6_8773
.LBB6_8470:                             ;   in Loop: Header=BB6_8048 Depth=3
	s_or_b32 exec_lo, exec_lo, s30
	s_and_saveexec_b32 s17, s13
	s_cbranch_execz .LBB6_8472
.LBB6_8471:                             ;   in Loop: Header=BB6_8048 Depth=3
	v_and_b32_e32 v38, 7, v37
	v_lshrrev_b16 v116, 3, v37
	s_delay_alu instid0(VALU_DEP_2) | instskip(NEXT) | instid1(VALU_DEP_2)
	v_clz_i32_u32_e32 v101, v38
	v_and_b32_e32 v116, 15, v116
	s_delay_alu instid0(VALU_DEP_2) | instskip(NEXT) | instid1(VALU_DEP_2)
	v_min_u32_e32 v101, 32, v101
	v_cmp_eq_u32_e32 vcc_lo, 0, v116
	s_delay_alu instid0(VALU_DEP_2) | instskip(SKIP_1) | instid1(VALU_DEP_2)
	v_subrev_nc_u32_e32 v113, 28, v101
	v_sub_nc_u32_e32 v101, 29, v101
	v_lshlrev_b32_e32 v113, v113, v37
	v_lshlrev_b32_e32 v37, 24, v37
	s_delay_alu instid0(VALU_DEP_2) | instskip(NEXT) | instid1(VALU_DEP_2)
	v_and_b32_e32 v113, 7, v113
	v_and_b32_e32 v37, 0x80000000, v37
	s_delay_alu instid0(VALU_DEP_2) | instskip(NEXT) | instid1(VALU_DEP_1)
	v_cndmask_b32_e32 v38, v38, v113, vcc_lo
	v_dual_cndmask_b32 v101, v116, v101 :: v_dual_lshlrev_b32 v38, 20, v38
	s_delay_alu instid0(VALU_DEP_1) | instskip(NEXT) | instid1(VALU_DEP_1)
	v_lshl_add_u32 v101, v101, 23, 0x3b800000
	v_or3_b32 v38, v37, v101, v38
.LBB6_8472:                             ;   in Loop: Header=BB6_8048 Depth=3
	s_or_b32 exec_lo, exec_lo, s17
	s_delay_alu instid0(VALU_DEP_1) | instskip(NEXT) | instid1(VALU_DEP_1)
	v_add_f32_e32 v38, v49, v38
	v_and_b32_e32 v37, 0x7f800000, v38
	s_delay_alu instid0(VALU_DEP_1)
	v_cmp_ne_u32_e32 vcc_lo, 0x7f800000, v37
	v_mov_b32_e32 v37, 0x80
	s_and_saveexec_b32 s17, vcc_lo
	s_cbranch_execz .LBB6_8480
; %bb.8473:                             ;   in Loop: Header=BB6_8048 Depth=3
	v_mov_b32_e32 v37, 0
	s_mov_b32 s30, exec_lo
	v_cmpx_ne_u32_e32 0, v38
	s_cbranch_execz .LBB6_8479
; %bb.8474:                             ;   in Loop: Header=BB6_8048 Depth=3
	v_bfe_u32 v37, v38, 23, 8
	v_and_b32_e32 v49, 0x7fffff, v38
	s_delay_alu instid0(VALU_DEP_2) | instskip(SKIP_1) | instid1(VALU_DEP_3)
	v_sub_nc_u32_e32 v101, 0x78, v37
	v_cmp_gt_u32_e32 vcc_lo, 0x79, v37
	v_or_b32_e32 v113, 0x800000, v49
	s_delay_alu instid0(VALU_DEP_3) | instskip(SKIP_2) | instid1(VALU_DEP_3)
	v_cndmask_b32_e32 v101, 0, v101, vcc_lo
	v_cmp_eq_u32_e32 vcc_lo, 0, v37
	v_add_nc_u32_e32 v37, 0xffffff89, v37
	v_cndmask_b32_e64 v101, v101, 0x77, vcc_lo
	v_cndmask_b32_e32 v49, v113, v49, vcc_lo
	s_delay_alu instid0(VALU_DEP_3) | instskip(NEXT) | instid1(VALU_DEP_3)
	v_cndmask_b32_e64 v37, v37, 0xffffff8a, vcc_lo
	v_lshl_add_u32 v113, 0x100000, v101, -1
	s_delay_alu instid0(VALU_DEP_3) | instskip(SKIP_1) | instid1(VALU_DEP_4)
	v_lshrrev_b32_e32 v116, v101, v49
	v_lshlrev_b32_e64 v43, v101, 0x80000
	v_add_nc_u32_e32 v101, v101, v37
	s_delay_alu instid0(VALU_DEP_4) | instskip(NEXT) | instid1(VALU_DEP_4)
	v_and_b32_e32 v49, v113, v49
	v_bfe_u32 v40, v116, 20, 1
	s_delay_alu instid0(VALU_DEP_2) | instskip(NEXT) | instid1(VALU_DEP_2)
	v_cmp_eq_u32_e64 s13, v49, v43
	v_add_nc_u32_e32 v113, -1, v40
	s_delay_alu instid0(VALU_DEP_1) | instskip(SKIP_2) | instid1(VALU_DEP_2)
	v_cndmask_b32_e64 v49, 0, v113, s13
	v_lshrrev_b32_e32 v113, 23, v116
	s_mov_b32 s13, exec_lo
	v_add_nc_u32_e32 v49, v49, v116
	s_delay_alu instid0(VALU_DEP_2) | instskip(NEXT) | instid1(VALU_DEP_2)
	v_xor_b32_e32 v113, 1, v113
	v_and_b32_e32 v37, 0xfffff, v49
	s_delay_alu instid0(VALU_DEP_1) | instskip(NEXT) | instid1(VALU_DEP_3)
	v_add_nc_u32_e32 v49, v37, v116
                                        ; implicit-def: $vgpr37
	v_cmpx_ne_u32_e64 v101, v113
	s_xor_b32 s13, exec_lo, s13
; %bb.8475:                             ;   in Loop: Header=BB6_8048 Depth=3
	s_delay_alu instid0(VALU_DEP_2) | instskip(SKIP_2) | instid1(VALU_DEP_2)
	v_cmp_lt_u32_e32 vcc_lo, 0xffffff, v49
	v_sub_nc_u32_e32 v37, v101, v113
	v_cndmask_b32_e64 v101, 0, 1, vcc_lo
	v_add_co_ci_u32_e32 v37, vcc_lo, 0, v37, vcc_lo
	s_delay_alu instid0(VALU_DEP_2)
	v_lshrrev_b32_e32 v49, v101, v49
; %bb.8476:                             ;   in Loop: Header=BB6_8048 Depth=3
	s_and_not1_saveexec_b32 s13, s13
; %bb.8477:                             ;   in Loop: Header=BB6_8048 Depth=3
	s_delay_alu instid0(VALU_DEP_1)
	v_bfe_u32 v37, v49, 23, 1
; %bb.8478:                             ;   in Loop: Header=BB6_8048 Depth=3
	s_or_b32 exec_lo, exec_lo, s13
	v_lshrrev_b32_e32 v49, 20, v49
	s_delay_alu instid0(VALU_DEP_2) | instskip(SKIP_2) | instid1(VALU_DEP_2)
	v_cmp_gt_i32_e32 vcc_lo, 16, v37
	v_lshrrev_b32_e32 v38, 24, v38
	v_min_i32_e32 v101, 15, v37
	v_dual_cndmask_b32 v49, 7, v49 :: v_dual_and_b32 v38, 0x80, v38
	s_delay_alu instid0(VALU_DEP_2) | instskip(NEXT) | instid1(VALU_DEP_2)
	v_lshlrev_b32_e32 v101, 3, v101
	v_and_b32_e32 v113, 7, v49
	v_or_b32_e32 v37, v37, v49
	s_delay_alu instid0(VALU_DEP_2) | instskip(NEXT) | instid1(VALU_DEP_2)
	v_or3_b32 v38, v101, v38, v113
	v_cmp_ne_u32_e32 vcc_lo, 0, v37
	s_delay_alu instid0(VALU_DEP_2)
	v_cndmask_b32_e32 v37, 0, v38, vcc_lo
.LBB6_8479:                             ;   in Loop: Header=BB6_8048 Depth=3
	s_or_b32 exec_lo, exec_lo, s30
.LBB6_8480:                             ;   in Loop: Header=BB6_8048 Depth=3
	s_delay_alu instid0(SALU_CYCLE_1) | instskip(SKIP_3) | instid1(VALU_DEP_1)
	s_or_b32 exec_lo, exec_lo, s17
	v_and_b32_e32 v49, 0xff, v35
	s_mov_b32 s13, 0
	s_mov_b32 s30, exec_lo
                                        ; implicit-def: $sgpr17
	v_cmpx_lt_i16_e32 0x7f, v49
	s_xor_b32 s30, exec_lo, s30
	s_cbranch_execnz .LBB6_8774
; %bb.8481:                             ;   in Loop: Header=BB6_8048 Depth=3
	s_or_saveexec_b32 s30, s30
	v_mov_b32_e32 v38, s17
	s_xor_b32 exec_lo, exec_lo, s30
	s_cbranch_execnz .LBB6_8777
.LBB6_8482:                             ;   in Loop: Header=BB6_8048 Depth=3
	s_or_b32 exec_lo, exec_lo, s30
	s_and_saveexec_b32 s17, s13
	s_cbranch_execz .LBB6_8484
.LBB6_8483:                             ;   in Loop: Header=BB6_8048 Depth=3
	v_lshrrev_b16 v113, 3, v35
	s_delay_alu instid0(VALU_DEP_1) | instskip(NEXT) | instid1(VALU_DEP_1)
	v_and_b32_e32 v113, 15, v113
	v_cmp_eq_u32_e32 vcc_lo, 0, v113
	v_and_b32_e32 v38, 7, v35
	s_delay_alu instid0(VALU_DEP_1) | instskip(NEXT) | instid1(VALU_DEP_1)
	v_clz_i32_u32_e32 v49, v38
	v_min_u32_e32 v49, 32, v49
	s_delay_alu instid0(VALU_DEP_1) | instskip(SKIP_1) | instid1(VALU_DEP_2)
	v_subrev_nc_u32_e32 v101, 28, v49
	v_sub_nc_u32_e32 v49, 29, v49
	v_lshlrev_b32_e32 v101, v101, v35
	s_delay_alu instid0(VALU_DEP_2) | instskip(NEXT) | instid1(VALU_DEP_2)
	v_cndmask_b32_e32 v49, v113, v49, vcc_lo
	v_and_b32_e32 v101, 7, v101
	v_lshlrev_b32_e32 v35, 24, v35
	s_delay_alu instid0(VALU_DEP_3) | instskip(NEXT) | instid1(VALU_DEP_2)
	v_lshl_add_u32 v49, v49, 23, 0x3b800000
	v_dual_cndmask_b32 v38, v38, v101 :: v_dual_and_b32 v35, 0x80000000, v35
	s_delay_alu instid0(VALU_DEP_1) | instskip(NEXT) | instid1(VALU_DEP_1)
	v_lshlrev_b32_e32 v38, 20, v38
	v_or3_b32 v38, v35, v49, v38
.LBB6_8484:                             ;   in Loop: Header=BB6_8048 Depth=3
	s_or_b32 exec_lo, exec_lo, s17
	s_waitcnt vmcnt(4) lgkmcnt(4)
	v_and_b32_e32 v49, 0xff, v34
	s_mov_b32 s13, 0
	s_mov_b32 s30, exec_lo
                                        ; implicit-def: $sgpr17
	s_delay_alu instid0(VALU_DEP_1)
	v_cmpx_lt_i16_e32 0x7f, v49
	s_xor_b32 s30, exec_lo, s30
	s_cbranch_execnz .LBB6_8778
; %bb.8485:                             ;   in Loop: Header=BB6_8048 Depth=3
	s_or_saveexec_b32 s30, s30
	v_mov_b32_e32 v35, s17
	s_xor_b32 exec_lo, exec_lo, s30
	s_cbranch_execnz .LBB6_8781
.LBB6_8486:                             ;   in Loop: Header=BB6_8048 Depth=3
	s_or_b32 exec_lo, exec_lo, s30
	s_and_saveexec_b32 s17, s13
	s_cbranch_execz .LBB6_8488
.LBB6_8487:                             ;   in Loop: Header=BB6_8048 Depth=3
	v_and_b32_e32 v35, 7, v34
	v_lshrrev_b16 v113, 3, v34
	s_delay_alu instid0(VALU_DEP_2) | instskip(NEXT) | instid1(VALU_DEP_2)
	v_clz_i32_u32_e32 v49, v35
	v_and_b32_e32 v113, 15, v113
	s_delay_alu instid0(VALU_DEP_2) | instskip(NEXT) | instid1(VALU_DEP_2)
	v_min_u32_e32 v49, 32, v49
	v_cmp_eq_u32_e32 vcc_lo, 0, v113
	s_delay_alu instid0(VALU_DEP_2) | instskip(SKIP_1) | instid1(VALU_DEP_2)
	v_subrev_nc_u32_e32 v101, 28, v49
	v_sub_nc_u32_e32 v49, 29, v49
	v_lshlrev_b32_e32 v101, v101, v34
	s_delay_alu instid0(VALU_DEP_2) | instskip(NEXT) | instid1(VALU_DEP_2)
	v_dual_cndmask_b32 v49, v113, v49 :: v_dual_lshlrev_b32 v34, 24, v34
	v_and_b32_e32 v101, 7, v101
	s_delay_alu instid0(VALU_DEP_2) | instskip(NEXT) | instid1(VALU_DEP_3)
	v_and_b32_e32 v34, 0x80000000, v34
	v_lshl_add_u32 v49, v49, 23, 0x3b800000
	s_delay_alu instid0(VALU_DEP_3) | instskip(NEXT) | instid1(VALU_DEP_1)
	v_cndmask_b32_e32 v35, v35, v101, vcc_lo
	v_lshlrev_b32_e32 v35, 20, v35
	s_delay_alu instid0(VALU_DEP_1)
	v_or3_b32 v35, v34, v49, v35
.LBB6_8488:                             ;   in Loop: Header=BB6_8048 Depth=3
	s_or_b32 exec_lo, exec_lo, s17
	s_delay_alu instid0(VALU_DEP_1) | instskip(NEXT) | instid1(VALU_DEP_1)
	v_add_f32_e32 v35, v38, v35
	v_and_b32_e32 v34, 0x7f800000, v35
	s_delay_alu instid0(VALU_DEP_1)
	v_cmp_ne_u32_e32 vcc_lo, 0x7f800000, v34
	v_mov_b32_e32 v34, 0x80
	s_and_saveexec_b32 s17, vcc_lo
	s_cbranch_execz .LBB6_8496
; %bb.8489:                             ;   in Loop: Header=BB6_8048 Depth=3
	v_mov_b32_e32 v34, 0
	s_mov_b32 s30, exec_lo
	v_cmpx_ne_u32_e32 0, v35
	s_cbranch_execz .LBB6_8495
; %bb.8490:                             ;   in Loop: Header=BB6_8048 Depth=3
	v_bfe_u32 v34, v35, 23, 8
	s_delay_alu instid0(VALU_DEP_1) | instskip(SKIP_1) | instid1(VALU_DEP_2)
	v_sub_nc_u32_e32 v49, 0x78, v34
	v_cmp_gt_u32_e32 vcc_lo, 0x79, v34
	v_dual_cndmask_b32 v49, 0, v49 :: v_dual_and_b32 v38, 0x7fffff, v35
	s_delay_alu instid0(VALU_DEP_1) | instskip(SKIP_2) | instid1(VALU_DEP_4)
	v_or_b32_e32 v101, 0x800000, v38
	v_cmp_eq_u32_e32 vcc_lo, 0, v34
	v_add_nc_u32_e32 v34, 0xffffff89, v34
	v_cndmask_b32_e64 v49, v49, 0x77, vcc_lo
	s_delay_alu instid0(VALU_DEP_4) | instskip(NEXT) | instid1(VALU_DEP_3)
	v_cndmask_b32_e32 v38, v101, v38, vcc_lo
	v_cndmask_b32_e64 v34, v34, 0xffffff8a, vcc_lo
	s_delay_alu instid0(VALU_DEP_3) | instskip(NEXT) | instid1(VALU_DEP_3)
	v_lshl_add_u32 v101, 0x100000, v49, -1
	v_lshrrev_b32_e32 v113, v49, v38
	v_lshlrev_b32_e64 v40, v49, 0x80000
	s_delay_alu instid0(VALU_DEP_4) | instskip(NEXT) | instid1(VALU_DEP_4)
	v_add_nc_u32_e32 v49, v49, v34
	v_and_b32_e32 v38, v101, v38
	s_delay_alu instid0(VALU_DEP_4) | instskip(NEXT) | instid1(VALU_DEP_2)
	v_bfe_u32 v116, v113, 20, 1
	v_cmp_eq_u32_e64 s13, v38, v40
	s_delay_alu instid0(VALU_DEP_2) | instskip(NEXT) | instid1(VALU_DEP_1)
	v_add_nc_u32_e32 v101, -1, v116
	v_cndmask_b32_e64 v38, 0, v101, s13
	v_lshrrev_b32_e32 v101, 23, v113
	s_mov_b32 s13, exec_lo
	s_delay_alu instid0(VALU_DEP_2) | instskip(NEXT) | instid1(VALU_DEP_2)
	v_add_nc_u32_e32 v38, v38, v113
	v_xor_b32_e32 v101, 1, v101
	s_delay_alu instid0(VALU_DEP_2) | instskip(NEXT) | instid1(VALU_DEP_1)
	v_and_b32_e32 v34, 0xfffff, v38
	v_add_nc_u32_e32 v38, v34, v113
                                        ; implicit-def: $vgpr34
	s_delay_alu instid0(VALU_DEP_3)
	v_cmpx_ne_u32_e64 v49, v101
	s_xor_b32 s13, exec_lo, s13
; %bb.8491:                             ;   in Loop: Header=BB6_8048 Depth=3
	s_delay_alu instid0(VALU_DEP_2) | instskip(SKIP_2) | instid1(VALU_DEP_2)
	v_cmp_lt_u32_e32 vcc_lo, 0xffffff, v38
	v_sub_nc_u32_e32 v34, v49, v101
	v_cndmask_b32_e64 v49, 0, 1, vcc_lo
	v_add_co_ci_u32_e32 v34, vcc_lo, 0, v34, vcc_lo
	s_delay_alu instid0(VALU_DEP_2)
	v_lshrrev_b32_e32 v38, v49, v38
; %bb.8492:                             ;   in Loop: Header=BB6_8048 Depth=3
	s_and_not1_saveexec_b32 s13, s13
; %bb.8493:                             ;   in Loop: Header=BB6_8048 Depth=3
	s_delay_alu instid0(VALU_DEP_1)
	v_bfe_u32 v34, v38, 23, 1
; %bb.8494:                             ;   in Loop: Header=BB6_8048 Depth=3
	s_or_b32 exec_lo, exec_lo, s13
	v_lshrrev_b32_e32 v38, 20, v38
	s_delay_alu instid0(VALU_DEP_2) | instskip(SKIP_2) | instid1(VALU_DEP_2)
	v_cmp_gt_i32_e32 vcc_lo, 16, v34
	v_lshrrev_b32_e32 v35, 24, v35
	v_min_i32_e32 v49, 15, v34
	v_dual_cndmask_b32 v38, 7, v38 :: v_dual_and_b32 v35, 0x80, v35
	s_delay_alu instid0(VALU_DEP_2) | instskip(NEXT) | instid1(VALU_DEP_2)
	v_lshlrev_b32_e32 v49, 3, v49
	v_or_b32_e32 v34, v34, v38
	s_delay_alu instid0(VALU_DEP_1) | instskip(SKIP_1) | instid1(VALU_DEP_1)
	v_cmp_ne_u32_e32 vcc_lo, 0, v34
	v_and_b32_e32 v101, 7, v38
	v_or3_b32 v35, v49, v35, v101
	s_delay_alu instid0(VALU_DEP_1)
	v_cndmask_b32_e32 v34, 0, v35, vcc_lo
.LBB6_8495:                             ;   in Loop: Header=BB6_8048 Depth=3
	s_or_b32 exec_lo, exec_lo, s30
.LBB6_8496:                             ;   in Loop: Header=BB6_8048 Depth=3
	s_delay_alu instid0(SALU_CYCLE_1) | instskip(SKIP_3) | instid1(VALU_DEP_1)
	s_or_b32 exec_lo, exec_lo, s17
	v_and_b32_e32 v38, 0xff, v32
	s_mov_b32 s13, 0
	s_mov_b32 s30, exec_lo
                                        ; implicit-def: $sgpr17
	v_cmpx_lt_i16_e32 0x7f, v38
	s_xor_b32 s30, exec_lo, s30
	s_cbranch_execnz .LBB6_8782
; %bb.8497:                             ;   in Loop: Header=BB6_8048 Depth=3
	s_or_saveexec_b32 s30, s30
	v_mov_b32_e32 v35, s17
	s_xor_b32 exec_lo, exec_lo, s30
	s_cbranch_execnz .LBB6_8785
.LBB6_8498:                             ;   in Loop: Header=BB6_8048 Depth=3
	s_or_b32 exec_lo, exec_lo, s30
	s_and_saveexec_b32 s17, s13
	s_cbranch_execz .LBB6_8500
.LBB6_8499:                             ;   in Loop: Header=BB6_8048 Depth=3
	v_lshrrev_b16 v101, 3, v32
	s_delay_alu instid0(VALU_DEP_1) | instskip(NEXT) | instid1(VALU_DEP_1)
	v_and_b32_e32 v101, 15, v101
	v_cmp_eq_u32_e32 vcc_lo, 0, v101
	v_and_b32_e32 v35, 7, v32
	s_delay_alu instid0(VALU_DEP_1) | instskip(NEXT) | instid1(VALU_DEP_1)
	v_clz_i32_u32_e32 v38, v35
	v_min_u32_e32 v38, 32, v38
	s_delay_alu instid0(VALU_DEP_1) | instskip(SKIP_1) | instid1(VALU_DEP_2)
	v_subrev_nc_u32_e32 v49, 28, v38
	v_sub_nc_u32_e32 v38, 29, v38
	v_lshlrev_b32_e32 v49, v49, v32
	s_delay_alu instid0(VALU_DEP_1) | instskip(SKIP_1) | instid1(VALU_DEP_2)
	v_dual_cndmask_b32 v38, v101, v38 :: v_dual_and_b32 v49, 7, v49
	v_lshlrev_b32_e32 v32, 24, v32
	v_lshl_add_u32 v38, v38, 23, 0x3b800000
	s_delay_alu instid0(VALU_DEP_2) | instskip(NEXT) | instid1(VALU_DEP_1)
	v_dual_cndmask_b32 v35, v35, v49 :: v_dual_and_b32 v32, 0x80000000, v32
	v_lshlrev_b32_e32 v35, 20, v35
	s_delay_alu instid0(VALU_DEP_1)
	v_or3_b32 v35, v32, v38, v35
.LBB6_8500:                             ;   in Loop: Header=BB6_8048 Depth=3
	s_or_b32 exec_lo, exec_lo, s17
	s_waitcnt vmcnt(3) lgkmcnt(3)
	v_and_b32_e32 v38, 0xff, v27
	s_mov_b32 s13, 0
	s_mov_b32 s30, exec_lo
                                        ; implicit-def: $sgpr17
	s_delay_alu instid0(VALU_DEP_1)
	v_cmpx_lt_i16_e32 0x7f, v38
	s_xor_b32 s30, exec_lo, s30
	s_cbranch_execnz .LBB6_8786
; %bb.8501:                             ;   in Loop: Header=BB6_8048 Depth=3
	s_or_saveexec_b32 s30, s30
	v_mov_b32_e32 v32, s17
	s_xor_b32 exec_lo, exec_lo, s30
	s_cbranch_execnz .LBB6_8789
.LBB6_8502:                             ;   in Loop: Header=BB6_8048 Depth=3
	s_or_b32 exec_lo, exec_lo, s30
	s_and_saveexec_b32 s17, s13
	s_cbranch_execz .LBB6_8504
.LBB6_8503:                             ;   in Loop: Header=BB6_8048 Depth=3
	v_and_b32_e32 v32, 7, v27
	v_lshrrev_b16 v101, 3, v27
	s_delay_alu instid0(VALU_DEP_2) | instskip(NEXT) | instid1(VALU_DEP_2)
	v_clz_i32_u32_e32 v38, v32
	v_and_b32_e32 v101, 15, v101
	s_delay_alu instid0(VALU_DEP_2) | instskip(NEXT) | instid1(VALU_DEP_2)
	v_min_u32_e32 v38, 32, v38
	v_cmp_eq_u32_e32 vcc_lo, 0, v101
	s_delay_alu instid0(VALU_DEP_2) | instskip(SKIP_1) | instid1(VALU_DEP_2)
	v_subrev_nc_u32_e32 v49, 28, v38
	v_sub_nc_u32_e32 v38, 29, v38
	v_lshlrev_b32_e32 v49, v49, v27
	s_delay_alu instid0(VALU_DEP_1) | instskip(SKIP_1) | instid1(VALU_DEP_2)
	v_dual_cndmask_b32 v38, v101, v38 :: v_dual_and_b32 v49, 7, v49
	v_lshlrev_b32_e32 v27, 24, v27
	v_lshl_add_u32 v38, v38, 23, 0x3b800000
	s_delay_alu instid0(VALU_DEP_2) | instskip(NEXT) | instid1(VALU_DEP_1)
	v_dual_cndmask_b32 v32, v32, v49 :: v_dual_and_b32 v27, 0x80000000, v27
	v_lshlrev_b32_e32 v32, 20, v32
	s_delay_alu instid0(VALU_DEP_1)
	v_or3_b32 v32, v27, v38, v32
.LBB6_8504:                             ;   in Loop: Header=BB6_8048 Depth=3
	s_or_b32 exec_lo, exec_lo, s17
	s_delay_alu instid0(VALU_DEP_1) | instskip(NEXT) | instid1(VALU_DEP_1)
	v_add_f32_e32 v32, v35, v32
	v_and_b32_e32 v27, 0x7f800000, v32
	s_delay_alu instid0(VALU_DEP_1)
	v_cmp_ne_u32_e32 vcc_lo, 0x7f800000, v27
	v_mov_b32_e32 v27, 0x80
	s_and_saveexec_b32 s17, vcc_lo
	s_cbranch_execz .LBB6_8512
; %bb.8505:                             ;   in Loop: Header=BB6_8048 Depth=3
	v_mov_b32_e32 v27, 0
	s_mov_b32 s30, exec_lo
	v_cmpx_ne_u32_e32 0, v32
	s_cbranch_execz .LBB6_8511
; %bb.8506:                             ;   in Loop: Header=BB6_8048 Depth=3
	v_bfe_u32 v27, v32, 23, 8
	s_delay_alu instid0(VALU_DEP_1) | instskip(SKIP_1) | instid1(VALU_DEP_2)
	v_sub_nc_u32_e32 v38, 0x78, v27
	v_cmp_gt_u32_e32 vcc_lo, 0x79, v27
	v_dual_cndmask_b32 v38, 0, v38 :: v_dual_and_b32 v35, 0x7fffff, v32
	s_delay_alu instid0(VALU_DEP_1) | instskip(SKIP_2) | instid1(VALU_DEP_4)
	v_or_b32_e32 v49, 0x800000, v35
	v_cmp_eq_u32_e32 vcc_lo, 0, v27
	v_add_nc_u32_e32 v27, 0xffffff89, v27
	v_cndmask_b32_e64 v38, v38, 0x77, vcc_lo
	s_delay_alu instid0(VALU_DEP_4) | instskip(NEXT) | instid1(VALU_DEP_3)
	v_cndmask_b32_e32 v35, v49, v35, vcc_lo
	v_cndmask_b32_e64 v27, v27, 0xffffff8a, vcc_lo
	s_delay_alu instid0(VALU_DEP_3) | instskip(NEXT) | instid1(VALU_DEP_3)
	v_lshl_add_u32 v49, 0x100000, v38, -1
	v_lshrrev_b32_e32 v101, v38, v35
	v_lshlrev_b32_e64 v116, v38, 0x80000
	s_delay_alu instid0(VALU_DEP_4) | instskip(NEXT) | instid1(VALU_DEP_4)
	v_add_nc_u32_e32 v38, v38, v27
	v_and_b32_e32 v35, v49, v35
	s_delay_alu instid0(VALU_DEP_4) | instskip(NEXT) | instid1(VALU_DEP_2)
	v_bfe_u32 v113, v101, 20, 1
	v_cmp_eq_u32_e64 s13, v35, v116
	s_delay_alu instid0(VALU_DEP_2) | instskip(NEXT) | instid1(VALU_DEP_1)
	v_add_nc_u32_e32 v49, -1, v113
	v_cndmask_b32_e64 v35, 0, v49, s13
	v_lshrrev_b32_e32 v49, 23, v101
	s_mov_b32 s13, exec_lo
	s_delay_alu instid0(VALU_DEP_2) | instskip(NEXT) | instid1(VALU_DEP_2)
	v_add_nc_u32_e32 v35, v35, v101
	v_xor_b32_e32 v49, 1, v49
	s_delay_alu instid0(VALU_DEP_2) | instskip(NEXT) | instid1(VALU_DEP_1)
	v_and_b32_e32 v27, 0xfffff, v35
	v_add_nc_u32_e32 v35, v27, v101
                                        ; implicit-def: $vgpr27
	s_delay_alu instid0(VALU_DEP_3)
	v_cmpx_ne_u32_e64 v38, v49
	s_xor_b32 s13, exec_lo, s13
; %bb.8507:                             ;   in Loop: Header=BB6_8048 Depth=3
	s_delay_alu instid0(VALU_DEP_2) | instskip(SKIP_2) | instid1(VALU_DEP_2)
	v_cmp_lt_u32_e32 vcc_lo, 0xffffff, v35
	v_sub_nc_u32_e32 v27, v38, v49
	v_cndmask_b32_e64 v38, 0, 1, vcc_lo
	v_add_co_ci_u32_e32 v27, vcc_lo, 0, v27, vcc_lo
	s_delay_alu instid0(VALU_DEP_2)
	v_lshrrev_b32_e32 v35, v38, v35
; %bb.8508:                             ;   in Loop: Header=BB6_8048 Depth=3
	s_and_not1_saveexec_b32 s13, s13
; %bb.8509:                             ;   in Loop: Header=BB6_8048 Depth=3
	s_delay_alu instid0(VALU_DEP_1)
	v_bfe_u32 v27, v35, 23, 1
; %bb.8510:                             ;   in Loop: Header=BB6_8048 Depth=3
	s_or_b32 exec_lo, exec_lo, s13
	v_lshrrev_b32_e32 v35, 20, v35
	s_delay_alu instid0(VALU_DEP_2) | instskip(SKIP_2) | instid1(VALU_DEP_2)
	v_cmp_gt_i32_e32 vcc_lo, 16, v27
	v_lshrrev_b32_e32 v32, 24, v32
	v_min_i32_e32 v38, 15, v27
	v_dual_cndmask_b32 v35, 7, v35 :: v_dual_and_b32 v32, 0x80, v32
	s_delay_alu instid0(VALU_DEP_1) | instskip(SKIP_1) | instid1(VALU_DEP_2)
	v_or_b32_e32 v27, v27, v35
	v_and_b32_e32 v49, 7, v35
	v_cmp_ne_u32_e32 vcc_lo, 0, v27
	v_lshlrev_b32_e32 v38, 3, v38
	s_delay_alu instid0(VALU_DEP_1) | instskip(NEXT) | instid1(VALU_DEP_1)
	v_or3_b32 v32, v38, v32, v49
	v_cndmask_b32_e32 v27, 0, v32, vcc_lo
.LBB6_8511:                             ;   in Loop: Header=BB6_8048 Depth=3
	s_or_b32 exec_lo, exec_lo, s30
.LBB6_8512:                             ;   in Loop: Header=BB6_8048 Depth=3
	s_delay_alu instid0(SALU_CYCLE_1) | instskip(SKIP_3) | instid1(VALU_DEP_1)
	s_or_b32 exec_lo, exec_lo, s17
	v_and_b32_e32 v35, 0xff, v25
	s_mov_b32 s13, 0
	s_mov_b32 s30, exec_lo
                                        ; implicit-def: $sgpr17
	v_cmpx_lt_i16_e32 0x7f, v35
	s_xor_b32 s30, exec_lo, s30
	s_cbranch_execnz .LBB6_8790
; %bb.8513:                             ;   in Loop: Header=BB6_8048 Depth=3
	s_or_saveexec_b32 s30, s30
	v_mov_b32_e32 v32, s17
	s_xor_b32 exec_lo, exec_lo, s30
	s_cbranch_execnz .LBB6_8793
.LBB6_8514:                             ;   in Loop: Header=BB6_8048 Depth=3
	s_or_b32 exec_lo, exec_lo, s30
	s_and_saveexec_b32 s17, s13
	s_cbranch_execz .LBB6_8516
.LBB6_8515:                             ;   in Loop: Header=BB6_8048 Depth=3
	v_lshrrev_b16 v49, 3, v25
	s_delay_alu instid0(VALU_DEP_1) | instskip(NEXT) | instid1(VALU_DEP_1)
	v_and_b32_e32 v49, 15, v49
	v_cmp_eq_u32_e32 vcc_lo, 0, v49
	v_and_b32_e32 v32, 7, v25
	s_delay_alu instid0(VALU_DEP_1) | instskip(NEXT) | instid1(VALU_DEP_1)
	v_clz_i32_u32_e32 v35, v32
	v_min_u32_e32 v35, 32, v35
	s_delay_alu instid0(VALU_DEP_1) | instskip(SKIP_1) | instid1(VALU_DEP_1)
	v_subrev_nc_u32_e32 v38, 28, v35
	v_sub_nc_u32_e32 v35, 29, v35
	v_dual_cndmask_b32 v35, v49, v35 :: v_dual_lshlrev_b32 v38, v38, v25
	v_lshlrev_b32_e32 v25, 24, v25
	s_delay_alu instid0(VALU_DEP_2) | instskip(NEXT) | instid1(VALU_DEP_3)
	v_and_b32_e32 v38, 7, v38
	v_lshl_add_u32 v35, v35, 23, 0x3b800000
	s_delay_alu instid0(VALU_DEP_2) | instskip(NEXT) | instid1(VALU_DEP_1)
	v_dual_cndmask_b32 v32, v32, v38 :: v_dual_and_b32 v25, 0x80000000, v25
	v_lshlrev_b32_e32 v32, 20, v32
	s_delay_alu instid0(VALU_DEP_1)
	v_or3_b32 v32, v25, v35, v32
.LBB6_8516:                             ;   in Loop: Header=BB6_8048 Depth=3
	s_or_b32 exec_lo, exec_lo, s17
	s_waitcnt vmcnt(2) lgkmcnt(2)
	v_and_b32_e32 v35, 0xff, v24
	s_mov_b32 s13, 0
	s_mov_b32 s30, exec_lo
                                        ; implicit-def: $sgpr17
	s_delay_alu instid0(VALU_DEP_1)
	v_cmpx_lt_i16_e32 0x7f, v35
	s_xor_b32 s30, exec_lo, s30
	s_cbranch_execnz .LBB6_8794
; %bb.8517:                             ;   in Loop: Header=BB6_8048 Depth=3
	s_or_saveexec_b32 s30, s30
	v_mov_b32_e32 v25, s17
	s_xor_b32 exec_lo, exec_lo, s30
	s_cbranch_execnz .LBB6_8797
.LBB6_8518:                             ;   in Loop: Header=BB6_8048 Depth=3
	s_or_b32 exec_lo, exec_lo, s30
	s_and_saveexec_b32 s17, s13
	s_cbranch_execz .LBB6_8520
.LBB6_8519:                             ;   in Loop: Header=BB6_8048 Depth=3
	v_and_b32_e32 v25, 7, v24
	v_lshrrev_b16 v49, 3, v24
	s_delay_alu instid0(VALU_DEP_2) | instskip(NEXT) | instid1(VALU_DEP_2)
	v_clz_i32_u32_e32 v35, v25
	v_and_b32_e32 v49, 15, v49
	s_delay_alu instid0(VALU_DEP_2) | instskip(NEXT) | instid1(VALU_DEP_2)
	v_min_u32_e32 v35, 32, v35
	v_cmp_eq_u32_e32 vcc_lo, 0, v49
	s_delay_alu instid0(VALU_DEP_2) | instskip(SKIP_1) | instid1(VALU_DEP_1)
	v_subrev_nc_u32_e32 v38, 28, v35
	v_sub_nc_u32_e32 v35, 29, v35
	v_dual_cndmask_b32 v35, v49, v35 :: v_dual_lshlrev_b32 v38, v38, v24
	s_delay_alu instid0(VALU_DEP_1) | instskip(SKIP_1) | instid1(VALU_DEP_3)
	v_and_b32_e32 v38, 7, v38
	v_lshlrev_b32_e32 v24, 24, v24
	v_lshl_add_u32 v35, v35, 23, 0x3b800000
	s_delay_alu instid0(VALU_DEP_2) | instskip(NEXT) | instid1(VALU_DEP_1)
	v_dual_cndmask_b32 v25, v25, v38 :: v_dual_and_b32 v24, 0x80000000, v24
	v_lshlrev_b32_e32 v25, 20, v25
	s_delay_alu instid0(VALU_DEP_1)
	v_or3_b32 v25, v24, v35, v25
.LBB6_8520:                             ;   in Loop: Header=BB6_8048 Depth=3
	s_or_b32 exec_lo, exec_lo, s17
	s_delay_alu instid0(VALU_DEP_1) | instskip(NEXT) | instid1(VALU_DEP_1)
	v_add_f32_e32 v25, v32, v25
	v_and_b32_e32 v24, 0x7f800000, v25
	s_delay_alu instid0(VALU_DEP_1)
	v_cmp_ne_u32_e32 vcc_lo, 0x7f800000, v24
	v_mov_b32_e32 v24, 0x80
	s_and_saveexec_b32 s17, vcc_lo
	s_cbranch_execz .LBB6_8528
; %bb.8521:                             ;   in Loop: Header=BB6_8048 Depth=3
	v_mov_b32_e32 v24, 0
	s_mov_b32 s30, exec_lo
	v_cmpx_ne_u32_e32 0, v25
	s_cbranch_execz .LBB6_8527
; %bb.8522:                             ;   in Loop: Header=BB6_8048 Depth=3
	v_bfe_u32 v24, v25, 23, 8
	s_delay_alu instid0(VALU_DEP_1) | instskip(SKIP_1) | instid1(VALU_DEP_2)
	v_sub_nc_u32_e32 v35, 0x78, v24
	v_cmp_gt_u32_e32 vcc_lo, 0x79, v24
	v_dual_cndmask_b32 v35, 0, v35 :: v_dual_and_b32 v32, 0x7fffff, v25
	s_delay_alu instid0(VALU_DEP_1) | instskip(SKIP_2) | instid1(VALU_DEP_4)
	v_or_b32_e32 v38, 0x800000, v32
	v_cmp_eq_u32_e32 vcc_lo, 0, v24
	v_add_nc_u32_e32 v24, 0xffffff89, v24
	v_cndmask_b32_e64 v35, v35, 0x77, vcc_lo
	s_delay_alu instid0(VALU_DEP_4) | instskip(NEXT) | instid1(VALU_DEP_3)
	v_cndmask_b32_e32 v32, v38, v32, vcc_lo
	v_cndmask_b32_e64 v24, v24, 0xffffff8a, vcc_lo
	s_delay_alu instid0(VALU_DEP_3) | instskip(NEXT) | instid1(VALU_DEP_3)
	v_lshl_add_u32 v38, 0x100000, v35, -1
	v_lshrrev_b32_e32 v49, v35, v32
	v_lshlrev_b32_e64 v113, v35, 0x80000
	s_delay_alu instid0(VALU_DEP_4) | instskip(NEXT) | instid1(VALU_DEP_4)
	v_add_nc_u32_e32 v35, v35, v24
	v_and_b32_e32 v32, v38, v32
	s_delay_alu instid0(VALU_DEP_4) | instskip(NEXT) | instid1(VALU_DEP_2)
	v_bfe_u32 v101, v49, 20, 1
	v_cmp_eq_u32_e64 s13, v32, v113
	s_delay_alu instid0(VALU_DEP_2) | instskip(NEXT) | instid1(VALU_DEP_1)
	v_add_nc_u32_e32 v38, -1, v101
	v_cndmask_b32_e64 v32, 0, v38, s13
	v_lshrrev_b32_e32 v38, 23, v49
	s_mov_b32 s13, exec_lo
	s_delay_alu instid0(VALU_DEP_2) | instskip(NEXT) | instid1(VALU_DEP_2)
	v_add_nc_u32_e32 v32, v32, v49
	v_xor_b32_e32 v38, 1, v38
	s_delay_alu instid0(VALU_DEP_2) | instskip(NEXT) | instid1(VALU_DEP_1)
	v_and_b32_e32 v24, 0xfffff, v32
	v_add_nc_u32_e32 v32, v24, v49
                                        ; implicit-def: $vgpr24
	s_delay_alu instid0(VALU_DEP_3)
	v_cmpx_ne_u32_e64 v35, v38
	s_xor_b32 s13, exec_lo, s13
; %bb.8523:                             ;   in Loop: Header=BB6_8048 Depth=3
	s_delay_alu instid0(VALU_DEP_2) | instskip(SKIP_2) | instid1(VALU_DEP_2)
	v_cmp_lt_u32_e32 vcc_lo, 0xffffff, v32
	v_sub_nc_u32_e32 v24, v35, v38
	v_cndmask_b32_e64 v35, 0, 1, vcc_lo
	v_add_co_ci_u32_e32 v24, vcc_lo, 0, v24, vcc_lo
	s_delay_alu instid0(VALU_DEP_2)
	v_lshrrev_b32_e32 v32, v35, v32
; %bb.8524:                             ;   in Loop: Header=BB6_8048 Depth=3
	s_and_not1_saveexec_b32 s13, s13
; %bb.8525:                             ;   in Loop: Header=BB6_8048 Depth=3
	s_delay_alu instid0(VALU_DEP_1)
	v_bfe_u32 v24, v32, 23, 1
; %bb.8526:                             ;   in Loop: Header=BB6_8048 Depth=3
	s_or_b32 exec_lo, exec_lo, s13
	v_lshrrev_b32_e32 v32, 20, v32
	s_delay_alu instid0(VALU_DEP_2) | instskip(SKIP_2) | instid1(VALU_DEP_2)
	v_cmp_gt_i32_e32 vcc_lo, 16, v24
	v_lshrrev_b32_e32 v25, 24, v25
	v_min_i32_e32 v35, 15, v24
	v_dual_cndmask_b32 v32, 7, v32 :: v_dual_and_b32 v25, 0x80, v25
	s_delay_alu instid0(VALU_DEP_1) | instskip(SKIP_1) | instid1(VALU_DEP_2)
	v_or_b32_e32 v24, v24, v32
	v_and_b32_e32 v38, 7, v32
	v_cmp_ne_u32_e32 vcc_lo, 0, v24
	v_lshlrev_b32_e32 v35, 3, v35
	s_delay_alu instid0(VALU_DEP_1) | instskip(NEXT) | instid1(VALU_DEP_1)
	v_or3_b32 v25, v35, v25, v38
	v_cndmask_b32_e32 v24, 0, v25, vcc_lo
.LBB6_8527:                             ;   in Loop: Header=BB6_8048 Depth=3
	s_or_b32 exec_lo, exec_lo, s30
.LBB6_8528:                             ;   in Loop: Header=BB6_8048 Depth=3
	s_delay_alu instid0(SALU_CYCLE_1) | instskip(SKIP_3) | instid1(VALU_DEP_1)
	s_or_b32 exec_lo, exec_lo, s17
	v_and_b32_e32 v32, 0xff, v22
	s_mov_b32 s13, 0
	s_mov_b32 s30, exec_lo
                                        ; implicit-def: $sgpr17
	v_cmpx_lt_i16_e32 0x7f, v32
	s_xor_b32 s30, exec_lo, s30
	s_cbranch_execnz .LBB6_8798
; %bb.8529:                             ;   in Loop: Header=BB6_8048 Depth=3
	s_or_saveexec_b32 s30, s30
	v_mov_b32_e32 v25, s17
	s_xor_b32 exec_lo, exec_lo, s30
	s_cbranch_execnz .LBB6_8801
.LBB6_8530:                             ;   in Loop: Header=BB6_8048 Depth=3
	s_or_b32 exec_lo, exec_lo, s30
	s_and_saveexec_b32 s17, s13
	s_cbranch_execz .LBB6_8532
.LBB6_8531:                             ;   in Loop: Header=BB6_8048 Depth=3
	v_lshrrev_b16 v38, 3, v22
	s_delay_alu instid0(VALU_DEP_1) | instskip(NEXT) | instid1(VALU_DEP_1)
	v_and_b32_e32 v38, 15, v38
	v_cmp_eq_u32_e32 vcc_lo, 0, v38
	v_and_b32_e32 v25, 7, v22
	s_delay_alu instid0(VALU_DEP_1) | instskip(NEXT) | instid1(VALU_DEP_1)
	v_clz_i32_u32_e32 v32, v25
	v_min_u32_e32 v32, 32, v32
	s_delay_alu instid0(VALU_DEP_1) | instskip(SKIP_1) | instid1(VALU_DEP_1)
	v_subrev_nc_u32_e32 v35, 28, v32
	v_sub_nc_u32_e32 v32, 29, v32
	v_dual_cndmask_b32 v32, v38, v32 :: v_dual_lshlrev_b32 v35, v35, v22
	v_lshlrev_b32_e32 v22, 24, v22
	s_delay_alu instid0(VALU_DEP_2) | instskip(NEXT) | instid1(VALU_DEP_3)
	v_and_b32_e32 v35, 7, v35
	v_lshl_add_u32 v32, v32, 23, 0x3b800000
	s_delay_alu instid0(VALU_DEP_2) | instskip(NEXT) | instid1(VALU_DEP_1)
	v_dual_cndmask_b32 v25, v25, v35 :: v_dual_and_b32 v22, 0x80000000, v22
	v_lshlrev_b32_e32 v25, 20, v25
	s_delay_alu instid0(VALU_DEP_1)
	v_or3_b32 v25, v22, v32, v25
.LBB6_8532:                             ;   in Loop: Header=BB6_8048 Depth=3
	s_or_b32 exec_lo, exec_lo, s17
	s_waitcnt vmcnt(1) lgkmcnt(1)
	v_and_b32_e32 v32, 0xff, v21
	s_mov_b32 s13, 0
	s_mov_b32 s30, exec_lo
                                        ; implicit-def: $sgpr17
	s_delay_alu instid0(VALU_DEP_1)
	v_cmpx_lt_i16_e32 0x7f, v32
	s_xor_b32 s30, exec_lo, s30
	s_cbranch_execnz .LBB6_8802
; %bb.8533:                             ;   in Loop: Header=BB6_8048 Depth=3
	s_or_saveexec_b32 s30, s30
	v_mov_b32_e32 v22, s17
	s_xor_b32 exec_lo, exec_lo, s30
	s_cbranch_execnz .LBB6_8805
.LBB6_8534:                             ;   in Loop: Header=BB6_8048 Depth=3
	s_or_b32 exec_lo, exec_lo, s30
	s_and_saveexec_b32 s17, s13
	s_cbranch_execz .LBB6_8536
.LBB6_8535:                             ;   in Loop: Header=BB6_8048 Depth=3
	v_and_b32_e32 v22, 7, v21
	v_lshrrev_b16 v38, 3, v21
	s_delay_alu instid0(VALU_DEP_2) | instskip(NEXT) | instid1(VALU_DEP_2)
	v_clz_i32_u32_e32 v32, v22
	v_and_b32_e32 v38, 15, v38
	s_delay_alu instid0(VALU_DEP_2) | instskip(NEXT) | instid1(VALU_DEP_2)
	v_min_u32_e32 v32, 32, v32
	v_cmp_eq_u32_e32 vcc_lo, 0, v38
	s_delay_alu instid0(VALU_DEP_2) | instskip(SKIP_1) | instid1(VALU_DEP_1)
	v_subrev_nc_u32_e32 v35, 28, v32
	v_sub_nc_u32_e32 v32, 29, v32
	v_dual_cndmask_b32 v32, v38, v32 :: v_dual_lshlrev_b32 v35, v35, v21
	s_delay_alu instid0(VALU_DEP_1) | instskip(SKIP_1) | instid1(VALU_DEP_3)
	v_and_b32_e32 v35, 7, v35
	v_lshlrev_b32_e32 v21, 24, v21
	v_lshl_add_u32 v32, v32, 23, 0x3b800000
	s_delay_alu instid0(VALU_DEP_2) | instskip(NEXT) | instid1(VALU_DEP_1)
	v_dual_cndmask_b32 v22, v22, v35 :: v_dual_and_b32 v21, 0x80000000, v21
	v_lshlrev_b32_e32 v22, 20, v22
	s_delay_alu instid0(VALU_DEP_1)
	v_or3_b32 v22, v21, v32, v22
.LBB6_8536:                             ;   in Loop: Header=BB6_8048 Depth=3
	s_or_b32 exec_lo, exec_lo, s17
	s_delay_alu instid0(VALU_DEP_1) | instskip(NEXT) | instid1(VALU_DEP_1)
	v_add_f32_e32 v22, v25, v22
	v_and_b32_e32 v21, 0x7f800000, v22
	s_delay_alu instid0(VALU_DEP_1)
	v_cmp_ne_u32_e32 vcc_lo, 0x7f800000, v21
	v_mov_b32_e32 v21, 0x80
	s_and_saveexec_b32 s17, vcc_lo
	s_cbranch_execz .LBB6_8544
; %bb.8537:                             ;   in Loop: Header=BB6_8048 Depth=3
	v_mov_b32_e32 v21, 0
	s_mov_b32 s30, exec_lo
	v_cmpx_ne_u32_e32 0, v22
	s_cbranch_execz .LBB6_8543
; %bb.8538:                             ;   in Loop: Header=BB6_8048 Depth=3
	v_bfe_u32 v21, v22, 23, 8
	s_delay_alu instid0(VALU_DEP_1) | instskip(SKIP_1) | instid1(VALU_DEP_2)
	v_sub_nc_u32_e32 v32, 0x78, v21
	v_cmp_gt_u32_e32 vcc_lo, 0x79, v21
	v_dual_cndmask_b32 v32, 0, v32 :: v_dual_and_b32 v25, 0x7fffff, v22
	s_delay_alu instid0(VALU_DEP_1) | instskip(SKIP_2) | instid1(VALU_DEP_4)
	v_or_b32_e32 v35, 0x800000, v25
	v_cmp_eq_u32_e32 vcc_lo, 0, v21
	v_add_nc_u32_e32 v21, 0xffffff89, v21
	v_cndmask_b32_e64 v32, v32, 0x77, vcc_lo
	s_delay_alu instid0(VALU_DEP_4) | instskip(NEXT) | instid1(VALU_DEP_3)
	v_cndmask_b32_e32 v25, v35, v25, vcc_lo
	v_cndmask_b32_e64 v21, v21, 0xffffff8a, vcc_lo
	s_delay_alu instid0(VALU_DEP_3) | instskip(NEXT) | instid1(VALU_DEP_3)
	v_lshl_add_u32 v35, 0x100000, v32, -1
	v_lshrrev_b32_e32 v38, v32, v25
	v_lshlrev_b32_e64 v101, v32, 0x80000
	s_delay_alu instid0(VALU_DEP_4) | instskip(NEXT) | instid1(VALU_DEP_4)
	v_add_nc_u32_e32 v32, v32, v21
	v_and_b32_e32 v25, v35, v25
	s_delay_alu instid0(VALU_DEP_4) | instskip(NEXT) | instid1(VALU_DEP_2)
	v_bfe_u32 v49, v38, 20, 1
	v_cmp_eq_u32_e64 s13, v25, v101
	s_delay_alu instid0(VALU_DEP_2) | instskip(NEXT) | instid1(VALU_DEP_1)
	v_add_nc_u32_e32 v35, -1, v49
	v_cndmask_b32_e64 v25, 0, v35, s13
	v_lshrrev_b32_e32 v35, 23, v38
	s_mov_b32 s13, exec_lo
	s_delay_alu instid0(VALU_DEP_2) | instskip(NEXT) | instid1(VALU_DEP_2)
	v_add_nc_u32_e32 v25, v25, v38
	v_xor_b32_e32 v35, 1, v35
	s_delay_alu instid0(VALU_DEP_2) | instskip(NEXT) | instid1(VALU_DEP_1)
	v_and_b32_e32 v21, 0xfffff, v25
	v_add_nc_u32_e32 v25, v21, v38
                                        ; implicit-def: $vgpr21
	s_delay_alu instid0(VALU_DEP_3)
	v_cmpx_ne_u32_e64 v32, v35
	s_xor_b32 s13, exec_lo, s13
; %bb.8539:                             ;   in Loop: Header=BB6_8048 Depth=3
	s_delay_alu instid0(VALU_DEP_2) | instskip(SKIP_2) | instid1(VALU_DEP_2)
	v_cmp_lt_u32_e32 vcc_lo, 0xffffff, v25
	v_sub_nc_u32_e32 v21, v32, v35
	v_cndmask_b32_e64 v32, 0, 1, vcc_lo
	v_add_co_ci_u32_e32 v21, vcc_lo, 0, v21, vcc_lo
	s_delay_alu instid0(VALU_DEP_2)
	v_lshrrev_b32_e32 v25, v32, v25
; %bb.8540:                             ;   in Loop: Header=BB6_8048 Depth=3
	s_and_not1_saveexec_b32 s13, s13
; %bb.8541:                             ;   in Loop: Header=BB6_8048 Depth=3
	s_delay_alu instid0(VALU_DEP_1)
	v_bfe_u32 v21, v25, 23, 1
; %bb.8542:                             ;   in Loop: Header=BB6_8048 Depth=3
	s_or_b32 exec_lo, exec_lo, s13
	v_lshrrev_b32_e32 v25, 20, v25
	s_delay_alu instid0(VALU_DEP_2) | instskip(SKIP_2) | instid1(VALU_DEP_2)
	v_cmp_gt_i32_e32 vcc_lo, 16, v21
	v_lshrrev_b32_e32 v22, 24, v22
	v_min_i32_e32 v32, 15, v21
	v_dual_cndmask_b32 v25, 7, v25 :: v_dual_and_b32 v22, 0x80, v22
	s_delay_alu instid0(VALU_DEP_1) | instskip(SKIP_1) | instid1(VALU_DEP_2)
	v_or_b32_e32 v21, v21, v25
	v_and_b32_e32 v35, 7, v25
	v_cmp_ne_u32_e32 vcc_lo, 0, v21
	v_lshlrev_b32_e32 v32, 3, v32
	s_delay_alu instid0(VALU_DEP_1) | instskip(NEXT) | instid1(VALU_DEP_1)
	v_or3_b32 v22, v32, v22, v35
	v_cndmask_b32_e32 v21, 0, v22, vcc_lo
.LBB6_8543:                             ;   in Loop: Header=BB6_8048 Depth=3
	s_or_b32 exec_lo, exec_lo, s30
.LBB6_8544:                             ;   in Loop: Header=BB6_8048 Depth=3
	s_delay_alu instid0(SALU_CYCLE_1) | instskip(SKIP_3) | instid1(VALU_DEP_1)
	s_or_b32 exec_lo, exec_lo, s17
	v_and_b32_e32 v25, 0xff, v19
	s_mov_b32 s13, 0
	s_mov_b32 s30, exec_lo
                                        ; implicit-def: $sgpr17
	v_cmpx_lt_i16_e32 0x7f, v25
	s_xor_b32 s30, exec_lo, s30
	s_cbranch_execnz .LBB6_8806
; %bb.8545:                             ;   in Loop: Header=BB6_8048 Depth=3
	s_or_saveexec_b32 s30, s30
	v_mov_b32_e32 v22, s17
	s_xor_b32 exec_lo, exec_lo, s30
	s_cbranch_execnz .LBB6_8809
.LBB6_8546:                             ;   in Loop: Header=BB6_8048 Depth=3
	s_or_b32 exec_lo, exec_lo, s30
	s_and_saveexec_b32 s17, s13
	s_cbranch_execz .LBB6_8548
.LBB6_8547:                             ;   in Loop: Header=BB6_8048 Depth=3
	v_lshrrev_b16 v35, 3, v19
	s_delay_alu instid0(VALU_DEP_1) | instskip(NEXT) | instid1(VALU_DEP_1)
	v_and_b32_e32 v35, 15, v35
	v_cmp_eq_u32_e32 vcc_lo, 0, v35
	v_and_b32_e32 v22, 7, v19
	s_delay_alu instid0(VALU_DEP_1) | instskip(NEXT) | instid1(VALU_DEP_1)
	v_clz_i32_u32_e32 v25, v22
	v_min_u32_e32 v25, 32, v25
	s_delay_alu instid0(VALU_DEP_1) | instskip(SKIP_1) | instid1(VALU_DEP_1)
	v_subrev_nc_u32_e32 v32, 28, v25
	v_sub_nc_u32_e32 v25, 29, v25
	v_dual_cndmask_b32 v25, v35, v25 :: v_dual_lshlrev_b32 v32, v32, v19
	v_lshlrev_b32_e32 v19, 24, v19
	s_delay_alu instid0(VALU_DEP_2) | instskip(NEXT) | instid1(VALU_DEP_3)
	v_and_b32_e32 v32, 7, v32
	v_lshl_add_u32 v25, v25, 23, 0x3b800000
	s_delay_alu instid0(VALU_DEP_2) | instskip(NEXT) | instid1(VALU_DEP_1)
	v_dual_cndmask_b32 v22, v22, v32 :: v_dual_and_b32 v19, 0x80000000, v19
	v_lshlrev_b32_e32 v22, 20, v22
	s_delay_alu instid0(VALU_DEP_1)
	v_or3_b32 v22, v19, v25, v22
.LBB6_8548:                             ;   in Loop: Header=BB6_8048 Depth=3
	s_or_b32 exec_lo, exec_lo, s17
	s_waitcnt vmcnt(0) lgkmcnt(0)
	v_and_b32_e32 v25, 0xff, v18
	s_mov_b32 s13, 0
	s_mov_b32 s30, exec_lo
                                        ; implicit-def: $sgpr17
	s_delay_alu instid0(VALU_DEP_1)
	v_cmpx_lt_i16_e32 0x7f, v25
	s_xor_b32 s30, exec_lo, s30
	s_cbranch_execnz .LBB6_8810
; %bb.8549:                             ;   in Loop: Header=BB6_8048 Depth=3
	s_or_saveexec_b32 s30, s30
	v_mov_b32_e32 v19, s17
	s_xor_b32 exec_lo, exec_lo, s30
	s_cbranch_execnz .LBB6_8813
.LBB6_8550:                             ;   in Loop: Header=BB6_8048 Depth=3
	s_or_b32 exec_lo, exec_lo, s30
	s_and_saveexec_b32 s17, s13
	s_cbranch_execz .LBB6_8552
.LBB6_8551:                             ;   in Loop: Header=BB6_8048 Depth=3
	v_and_b32_e32 v19, 7, v18
	v_lshrrev_b16 v35, 3, v18
	s_delay_alu instid0(VALU_DEP_2) | instskip(NEXT) | instid1(VALU_DEP_2)
	v_clz_i32_u32_e32 v25, v19
	v_and_b32_e32 v35, 15, v35
	s_delay_alu instid0(VALU_DEP_2) | instskip(NEXT) | instid1(VALU_DEP_2)
	v_min_u32_e32 v25, 32, v25
	v_cmp_eq_u32_e32 vcc_lo, 0, v35
	s_delay_alu instid0(VALU_DEP_2) | instskip(SKIP_1) | instid1(VALU_DEP_1)
	v_subrev_nc_u32_e32 v32, 28, v25
	v_sub_nc_u32_e32 v25, 29, v25
	v_dual_cndmask_b32 v25, v35, v25 :: v_dual_lshlrev_b32 v32, v32, v18
	s_delay_alu instid0(VALU_DEP_1) | instskip(SKIP_1) | instid1(VALU_DEP_3)
	v_and_b32_e32 v32, 7, v32
	v_lshlrev_b32_e32 v18, 24, v18
	v_lshl_add_u32 v25, v25, 23, 0x3b800000
	s_delay_alu instid0(VALU_DEP_2) | instskip(NEXT) | instid1(VALU_DEP_1)
	v_dual_cndmask_b32 v19, v19, v32 :: v_dual_and_b32 v18, 0x80000000, v18
	v_lshlrev_b32_e32 v19, 20, v19
	s_delay_alu instid0(VALU_DEP_1)
	v_or3_b32 v19, v18, v25, v19
.LBB6_8552:                             ;   in Loop: Header=BB6_8048 Depth=3
	s_or_b32 exec_lo, exec_lo, s17
	s_delay_alu instid0(VALU_DEP_1) | instskip(NEXT) | instid1(VALU_DEP_1)
	v_add_f32_e32 v19, v22, v19
	v_and_b32_e32 v18, 0x7f800000, v19
	s_delay_alu instid0(VALU_DEP_1)
	v_cmp_ne_u32_e32 vcc_lo, 0x7f800000, v18
	v_mov_b32_e32 v18, 0x80
	s_and_saveexec_b32 s17, vcc_lo
	s_cbranch_execz .LBB6_8047
; %bb.8553:                             ;   in Loop: Header=BB6_8048 Depth=3
	v_mov_b32_e32 v18, 0
	s_mov_b32 s30, exec_lo
	v_cmpx_ne_u32_e32 0, v19
	s_cbranch_execz .LBB6_8046
; %bb.8554:                             ;   in Loop: Header=BB6_8048 Depth=3
	v_bfe_u32 v18, v19, 23, 8
	s_delay_alu instid0(VALU_DEP_1) | instskip(SKIP_1) | instid1(VALU_DEP_2)
	v_sub_nc_u32_e32 v25, 0x78, v18
	v_cmp_gt_u32_e32 vcc_lo, 0x79, v18
	v_dual_cndmask_b32 v25, 0, v25 :: v_dual_and_b32 v22, 0x7fffff, v19
	s_delay_alu instid0(VALU_DEP_1) | instskip(SKIP_2) | instid1(VALU_DEP_4)
	v_or_b32_e32 v32, 0x800000, v22
	v_cmp_eq_u32_e32 vcc_lo, 0, v18
	v_add_nc_u32_e32 v18, 0xffffff89, v18
	v_cndmask_b32_e64 v25, v25, 0x77, vcc_lo
	s_delay_alu instid0(VALU_DEP_4) | instskip(NEXT) | instid1(VALU_DEP_3)
	v_cndmask_b32_e32 v22, v32, v22, vcc_lo
	v_cndmask_b32_e64 v18, v18, 0xffffff8a, vcc_lo
	s_delay_alu instid0(VALU_DEP_3) | instskip(NEXT) | instid1(VALU_DEP_3)
	v_lshl_add_u32 v32, 0x100000, v25, -1
	v_lshrrev_b32_e32 v35, v25, v22
	v_lshlrev_b32_e64 v49, v25, 0x80000
	s_delay_alu instid0(VALU_DEP_4) | instskip(NEXT) | instid1(VALU_DEP_4)
	v_add_nc_u32_e32 v25, v25, v18
	v_and_b32_e32 v22, v32, v22
	s_delay_alu instid0(VALU_DEP_4) | instskip(NEXT) | instid1(VALU_DEP_2)
	v_bfe_u32 v38, v35, 20, 1
	v_cmp_eq_u32_e64 s13, v22, v49
	s_delay_alu instid0(VALU_DEP_2) | instskip(NEXT) | instid1(VALU_DEP_1)
	v_add_nc_u32_e32 v32, -1, v38
	v_cndmask_b32_e64 v22, 0, v32, s13
	v_lshrrev_b32_e32 v32, 23, v35
	s_mov_b32 s13, exec_lo
	s_delay_alu instid0(VALU_DEP_2) | instskip(NEXT) | instid1(VALU_DEP_2)
	v_add_nc_u32_e32 v22, v22, v35
	v_xor_b32_e32 v32, 1, v32
	s_delay_alu instid0(VALU_DEP_2) | instskip(NEXT) | instid1(VALU_DEP_1)
	v_and_b32_e32 v18, 0xfffff, v22
	v_add_nc_u32_e32 v22, v18, v35
                                        ; implicit-def: $vgpr18
	s_delay_alu instid0(VALU_DEP_3)
	v_cmpx_ne_u32_e64 v25, v32
	s_xor_b32 s13, exec_lo, s13
; %bb.8555:                             ;   in Loop: Header=BB6_8048 Depth=3
	s_delay_alu instid0(VALU_DEP_2) | instskip(SKIP_2) | instid1(VALU_DEP_2)
	v_cmp_lt_u32_e32 vcc_lo, 0xffffff, v22
	v_sub_nc_u32_e32 v18, v25, v32
	v_cndmask_b32_e64 v25, 0, 1, vcc_lo
	v_add_co_ci_u32_e32 v18, vcc_lo, 0, v18, vcc_lo
	s_delay_alu instid0(VALU_DEP_2)
	v_lshrrev_b32_e32 v22, v25, v22
; %bb.8556:                             ;   in Loop: Header=BB6_8048 Depth=3
	s_and_not1_saveexec_b32 s13, s13
	s_cbranch_execz .LBB6_8045
; %bb.8557:                             ;   in Loop: Header=BB6_8048 Depth=3
	s_delay_alu instid0(VALU_DEP_1)
	v_bfe_u32 v18, v22, 23, 1
	s_branch .LBB6_8045
.LBB6_8558:                             ;   in Loop: Header=BB6_8048 Depth=3
	s_mov_b32 s13, -1
	s_mov_b32 s31, exec_lo
                                        ; implicit-def: $sgpr17
	v_cmpx_eq_u16_e32 0x80, v104
; %bb.8559:                             ;   in Loop: Header=BB6_8048 Depth=3
	s_mov_b32 s17, 0x7f800001
	s_xor_b32 s13, exec_lo, -1
; %bb.8560:                             ;   in Loop: Header=BB6_8048 Depth=3
	s_or_b32 exec_lo, exec_lo, s31
	s_delay_alu instid0(SALU_CYCLE_1)
	s_and_b32 s13, s13, exec_lo
	s_or_saveexec_b32 s30, s30
	v_mov_b32_e32 v105, s17
	s_xor_b32 exec_lo, exec_lo, s30
	s_cbranch_execz .LBB6_8050
.LBB6_8561:                             ;   in Loop: Header=BB6_8048 Depth=3
	v_cmp_ne_u16_e32 vcc_lo, 0, v104
	v_mov_b32_e32 v105, 0
	s_and_not1_b32 s13, s13, exec_lo
	s_and_b32 s17, vcc_lo, exec_lo
	s_delay_alu instid0(SALU_CYCLE_1)
	s_or_b32 s13, s13, s17
	s_or_b32 exec_lo, exec_lo, s30
	s_and_saveexec_b32 s17, s13
	s_cbranch_execnz .LBB6_8051
	s_branch .LBB6_8052
.LBB6_8562:                             ;   in Loop: Header=BB6_8048 Depth=3
	s_mov_b32 s13, -1
	s_mov_b32 s31, exec_lo
                                        ; implicit-def: $sgpr17
	v_cmpx_eq_u16_e32 0x80, v106
; %bb.8563:                             ;   in Loop: Header=BB6_8048 Depth=3
	s_mov_b32 s17, 0x7f800001
	s_xor_b32 s13, exec_lo, -1
; %bb.8564:                             ;   in Loop: Header=BB6_8048 Depth=3
	s_or_b32 exec_lo, exec_lo, s31
	s_delay_alu instid0(SALU_CYCLE_1)
	s_and_b32 s13, s13, exec_lo
                                        ; implicit-def: $vgpr106
	s_or_saveexec_b32 s30, s30
	v_mov_b32_e32 v104, s17
	s_xor_b32 exec_lo, exec_lo, s30
	s_cbranch_execz .LBB6_8054
.LBB6_8565:                             ;   in Loop: Header=BB6_8048 Depth=3
	v_cmp_ne_u16_e32 vcc_lo, 0, v106
	v_mov_b32_e32 v104, 0
	s_and_not1_b32 s13, s13, exec_lo
	s_and_b32 s17, vcc_lo, exec_lo
	s_delay_alu instid0(SALU_CYCLE_1)
	s_or_b32 s13, s13, s17
	s_or_b32 exec_lo, exec_lo, s30
	s_and_saveexec_b32 s17, s13
	s_cbranch_execnz .LBB6_8055
	s_branch .LBB6_8056
.LBB6_8566:                             ;   in Loop: Header=BB6_8048 Depth=3
	s_mov_b32 s13, -1
	s_mov_b32 s31, exec_lo
                                        ; implicit-def: $sgpr17
	v_cmpx_eq_u16_e32 0x80, v105
; %bb.8567:                             ;   in Loop: Header=BB6_8048 Depth=3
	s_mov_b32 s17, 0x7f800001
	s_xor_b32 s13, exec_lo, -1
; %bb.8568:                             ;   in Loop: Header=BB6_8048 Depth=3
	s_or_b32 exec_lo, exec_lo, s31
	s_delay_alu instid0(SALU_CYCLE_1)
	s_and_b32 s13, s13, exec_lo
                                        ; implicit-def: $vgpr105
	s_or_saveexec_b32 s30, s30
	v_mov_b32_e32 v104, s17
	s_xor_b32 exec_lo, exec_lo, s30
	s_cbranch_execz .LBB6_8066
.LBB6_8569:                             ;   in Loop: Header=BB6_8048 Depth=3
	v_cmp_ne_u16_e32 vcc_lo, 0, v105
	v_mov_b32_e32 v104, 0
	s_and_not1_b32 s13, s13, exec_lo
	s_and_b32 s17, vcc_lo, exec_lo
	s_delay_alu instid0(SALU_CYCLE_1)
	s_or_b32 s13, s13, s17
	s_or_b32 exec_lo, exec_lo, s30
	s_and_saveexec_b32 s17, s13
	s_cbranch_execnz .LBB6_8067
	s_branch .LBB6_8068
.LBB6_8570:                             ;   in Loop: Header=BB6_8048 Depth=3
	s_mov_b32 s13, -1
	s_mov_b32 s31, exec_lo
                                        ; implicit-def: $sgpr17
	v_cmpx_eq_u16_e32 0x80, v105
; %bb.8571:                             ;   in Loop: Header=BB6_8048 Depth=3
	s_mov_b32 s17, 0x7f800001
	s_xor_b32 s13, exec_lo, -1
; %bb.8572:                             ;   in Loop: Header=BB6_8048 Depth=3
	s_or_b32 exec_lo, exec_lo, s31
	s_delay_alu instid0(SALU_CYCLE_1)
	s_and_b32 s13, s13, exec_lo
                                        ; implicit-def: $vgpr105
	s_or_saveexec_b32 s30, s30
	v_mov_b32_e32 v95, s17
	s_xor_b32 exec_lo, exec_lo, s30
	s_cbranch_execz .LBB6_8070
.LBB6_8573:                             ;   in Loop: Header=BB6_8048 Depth=3
	v_cmp_ne_u16_e32 vcc_lo, 0, v105
	v_mov_b32_e32 v95, 0
	s_and_not1_b32 s13, s13, exec_lo
	s_and_b32 s17, vcc_lo, exec_lo
	s_delay_alu instid0(SALU_CYCLE_1)
	s_or_b32 s13, s13, s17
	s_or_b32 exec_lo, exec_lo, s30
	s_and_saveexec_b32 s17, s13
	s_cbranch_execnz .LBB6_8071
	s_branch .LBB6_8072
.LBB6_8574:                             ;   in Loop: Header=BB6_8048 Depth=3
	s_mov_b32 s13, -1
	s_mov_b32 s31, exec_lo
                                        ; implicit-def: $sgpr17
	v_cmpx_eq_u16_e32 0x80, v104
; %bb.8575:                             ;   in Loop: Header=BB6_8048 Depth=3
	s_mov_b32 s17, 0x7f800001
	s_xor_b32 s13, exec_lo, -1
; %bb.8576:                             ;   in Loop: Header=BB6_8048 Depth=3
	s_or_b32 exec_lo, exec_lo, s31
	s_delay_alu instid0(SALU_CYCLE_1)
	s_and_b32 s13, s13, exec_lo
                                        ; implicit-def: $vgpr104
	s_or_saveexec_b32 s30, s30
	v_mov_b32_e32 v95, s17
	s_xor_b32 exec_lo, exec_lo, s30
	s_cbranch_execz .LBB6_8082
.LBB6_8577:                             ;   in Loop: Header=BB6_8048 Depth=3
	v_cmp_ne_u16_e32 vcc_lo, 0, v104
	v_mov_b32_e32 v95, 0
	s_and_not1_b32 s13, s13, exec_lo
	s_and_b32 s17, vcc_lo, exec_lo
	s_delay_alu instid0(SALU_CYCLE_1)
	s_or_b32 s13, s13, s17
	s_or_b32 exec_lo, exec_lo, s30
	s_and_saveexec_b32 s17, s13
	s_cbranch_execnz .LBB6_8083
	s_branch .LBB6_8084
.LBB6_8578:                             ;   in Loop: Header=BB6_8048 Depth=3
	s_mov_b32 s13, -1
	s_mov_b32 s31, exec_lo
                                        ; implicit-def: $sgpr17
	v_cmpx_eq_u16_e32 0x80, v104
; %bb.8579:                             ;   in Loop: Header=BB6_8048 Depth=3
	s_mov_b32 s17, 0x7f800001
	s_xor_b32 s13, exec_lo, -1
; %bb.8580:                             ;   in Loop: Header=BB6_8048 Depth=3
	s_or_b32 exec_lo, exec_lo, s31
	s_delay_alu instid0(SALU_CYCLE_1)
	s_and_b32 s13, s13, exec_lo
                                        ; implicit-def: $vgpr104
	s_or_saveexec_b32 s30, s30
	v_mov_b32_e32 v94, s17
	s_xor_b32 exec_lo, exec_lo, s30
	s_cbranch_execz .LBB6_8086
.LBB6_8581:                             ;   in Loop: Header=BB6_8048 Depth=3
	v_cmp_ne_u16_e32 vcc_lo, 0, v104
	v_mov_b32_e32 v94, 0
	s_and_not1_b32 s13, s13, exec_lo
	s_and_b32 s17, vcc_lo, exec_lo
	s_delay_alu instid0(SALU_CYCLE_1)
	s_or_b32 s13, s13, s17
	s_or_b32 exec_lo, exec_lo, s30
	s_and_saveexec_b32 s17, s13
	s_cbranch_execnz .LBB6_8087
	s_branch .LBB6_8088
.LBB6_8582:                             ;   in Loop: Header=BB6_8048 Depth=3
	s_mov_b32 s13, -1
	s_mov_b32 s31, exec_lo
                                        ; implicit-def: $sgpr17
	v_cmpx_eq_u16_e32 0x80, v95
; %bb.8583:                             ;   in Loop: Header=BB6_8048 Depth=3
	s_mov_b32 s17, 0x7f800001
	s_xor_b32 s13, exec_lo, -1
; %bb.8584:                             ;   in Loop: Header=BB6_8048 Depth=3
	s_or_b32 exec_lo, exec_lo, s31
	s_delay_alu instid0(SALU_CYCLE_1)
	s_and_b32 s13, s13, exec_lo
                                        ; implicit-def: $vgpr95
	s_or_saveexec_b32 s30, s30
	v_mov_b32_e32 v94, s17
	s_xor_b32 exec_lo, exec_lo, s30
	s_cbranch_execz .LBB6_8098
.LBB6_8585:                             ;   in Loop: Header=BB6_8048 Depth=3
	v_cmp_ne_u16_e32 vcc_lo, 0, v95
	v_mov_b32_e32 v94, 0
	s_and_not1_b32 s13, s13, exec_lo
	s_and_b32 s17, vcc_lo, exec_lo
	s_delay_alu instid0(SALU_CYCLE_1)
	s_or_b32 s13, s13, s17
	s_or_b32 exec_lo, exec_lo, s30
	s_and_saveexec_b32 s17, s13
	s_cbranch_execnz .LBB6_8099
	s_branch .LBB6_8100
.LBB6_8586:                             ;   in Loop: Header=BB6_8048 Depth=3
	s_mov_b32 s13, -1
	s_mov_b32 s31, exec_lo
                                        ; implicit-def: $sgpr17
	v_cmpx_eq_u16_e32 0x80, v95
; %bb.8587:                             ;   in Loop: Header=BB6_8048 Depth=3
	s_mov_b32 s17, 0x7f800001
	s_xor_b32 s13, exec_lo, -1
; %bb.8588:                             ;   in Loop: Header=BB6_8048 Depth=3
	s_or_b32 exec_lo, exec_lo, s31
	s_delay_alu instid0(SALU_CYCLE_1)
	s_and_b32 s13, s13, exec_lo
                                        ; implicit-def: $vgpr95
	s_or_saveexec_b32 s30, s30
	v_mov_b32_e32 v93, s17
	s_xor_b32 exec_lo, exec_lo, s30
	s_cbranch_execz .LBB6_8102
.LBB6_8589:                             ;   in Loop: Header=BB6_8048 Depth=3
	v_cmp_ne_u16_e32 vcc_lo, 0, v95
	v_mov_b32_e32 v93, 0
	s_and_not1_b32 s13, s13, exec_lo
	s_and_b32 s17, vcc_lo, exec_lo
	s_delay_alu instid0(SALU_CYCLE_1)
	s_or_b32 s13, s13, s17
	s_or_b32 exec_lo, exec_lo, s30
	s_and_saveexec_b32 s17, s13
	s_cbranch_execnz .LBB6_8103
	s_branch .LBB6_8104
.LBB6_8590:                             ;   in Loop: Header=BB6_8048 Depth=3
	s_mov_b32 s13, -1
	s_mov_b32 s31, exec_lo
                                        ; implicit-def: $sgpr17
	v_cmpx_eq_u16_e32 0x80, v94
; %bb.8591:                             ;   in Loop: Header=BB6_8048 Depth=3
	s_mov_b32 s17, 0x7f800001
	s_xor_b32 s13, exec_lo, -1
; %bb.8592:                             ;   in Loop: Header=BB6_8048 Depth=3
	s_or_b32 exec_lo, exec_lo, s31
	s_delay_alu instid0(SALU_CYCLE_1)
	s_and_b32 s13, s13, exec_lo
                                        ; implicit-def: $vgpr94
	s_or_saveexec_b32 s30, s30
	v_mov_b32_e32 v93, s17
	s_xor_b32 exec_lo, exec_lo, s30
	s_cbranch_execz .LBB6_8114
.LBB6_8593:                             ;   in Loop: Header=BB6_8048 Depth=3
	v_cmp_ne_u16_e32 vcc_lo, 0, v94
	v_mov_b32_e32 v93, 0
	s_and_not1_b32 s13, s13, exec_lo
	s_and_b32 s17, vcc_lo, exec_lo
	s_delay_alu instid0(SALU_CYCLE_1)
	s_or_b32 s13, s13, s17
	s_or_b32 exec_lo, exec_lo, s30
	s_and_saveexec_b32 s17, s13
	s_cbranch_execnz .LBB6_8115
	s_branch .LBB6_8116
.LBB6_8594:                             ;   in Loop: Header=BB6_8048 Depth=3
	s_mov_b32 s13, -1
	s_mov_b32 s31, exec_lo
                                        ; implicit-def: $sgpr17
	v_cmpx_eq_u16_e32 0x80, v94
; %bb.8595:                             ;   in Loop: Header=BB6_8048 Depth=3
	s_mov_b32 s17, 0x7f800001
	s_xor_b32 s13, exec_lo, -1
; %bb.8596:                             ;   in Loop: Header=BB6_8048 Depth=3
	s_or_b32 exec_lo, exec_lo, s31
	s_delay_alu instid0(SALU_CYCLE_1)
	s_and_b32 s13, s13, exec_lo
                                        ; implicit-def: $vgpr94
	s_or_saveexec_b32 s30, s30
	v_mov_b32_e32 v92, s17
	s_xor_b32 exec_lo, exec_lo, s30
	s_cbranch_execz .LBB6_8118
.LBB6_8597:                             ;   in Loop: Header=BB6_8048 Depth=3
	v_cmp_ne_u16_e32 vcc_lo, 0, v94
	v_mov_b32_e32 v92, 0
	s_and_not1_b32 s13, s13, exec_lo
	s_and_b32 s17, vcc_lo, exec_lo
	s_delay_alu instid0(SALU_CYCLE_1)
	s_or_b32 s13, s13, s17
	s_or_b32 exec_lo, exec_lo, s30
	s_and_saveexec_b32 s17, s13
	s_cbranch_execnz .LBB6_8119
	s_branch .LBB6_8120
.LBB6_8598:                             ;   in Loop: Header=BB6_8048 Depth=3
	s_mov_b32 s13, -1
	s_mov_b32 s31, exec_lo
                                        ; implicit-def: $sgpr17
	v_cmpx_eq_u16_e32 0x80, v93
; %bb.8599:                             ;   in Loop: Header=BB6_8048 Depth=3
	s_mov_b32 s17, 0x7f800001
	s_xor_b32 s13, exec_lo, -1
; %bb.8600:                             ;   in Loop: Header=BB6_8048 Depth=3
	s_or_b32 exec_lo, exec_lo, s31
	s_delay_alu instid0(SALU_CYCLE_1)
	s_and_b32 s13, s13, exec_lo
                                        ; implicit-def: $vgpr93
	s_or_saveexec_b32 s30, s30
	v_mov_b32_e32 v92, s17
	s_xor_b32 exec_lo, exec_lo, s30
	s_cbranch_execz .LBB6_8130
.LBB6_8601:                             ;   in Loop: Header=BB6_8048 Depth=3
	v_cmp_ne_u16_e32 vcc_lo, 0, v93
	v_mov_b32_e32 v92, 0
	s_and_not1_b32 s13, s13, exec_lo
	s_and_b32 s17, vcc_lo, exec_lo
	s_delay_alu instid0(SALU_CYCLE_1)
	s_or_b32 s13, s13, s17
	s_or_b32 exec_lo, exec_lo, s30
	s_and_saveexec_b32 s17, s13
	s_cbranch_execnz .LBB6_8131
	s_branch .LBB6_8132
.LBB6_8602:                             ;   in Loop: Header=BB6_8048 Depth=3
	s_mov_b32 s13, -1
	s_mov_b32 s31, exec_lo
                                        ; implicit-def: $sgpr17
	v_cmpx_eq_u16_e32 0x80, v93
; %bb.8603:                             ;   in Loop: Header=BB6_8048 Depth=3
	s_mov_b32 s17, 0x7f800001
	s_xor_b32 s13, exec_lo, -1
; %bb.8604:                             ;   in Loop: Header=BB6_8048 Depth=3
	s_or_b32 exec_lo, exec_lo, s31
	s_delay_alu instid0(SALU_CYCLE_1)
	s_and_b32 s13, s13, exec_lo
                                        ; implicit-def: $vgpr93
	s_or_saveexec_b32 s30, s30
	v_mov_b32_e32 v91, s17
	s_xor_b32 exec_lo, exec_lo, s30
	s_cbranch_execz .LBB6_8134
.LBB6_8605:                             ;   in Loop: Header=BB6_8048 Depth=3
	v_cmp_ne_u16_e32 vcc_lo, 0, v93
	v_mov_b32_e32 v91, 0
	s_and_not1_b32 s13, s13, exec_lo
	s_and_b32 s17, vcc_lo, exec_lo
	s_delay_alu instid0(SALU_CYCLE_1)
	s_or_b32 s13, s13, s17
	s_or_b32 exec_lo, exec_lo, s30
	s_and_saveexec_b32 s17, s13
	s_cbranch_execnz .LBB6_8135
	s_branch .LBB6_8136
.LBB6_8606:                             ;   in Loop: Header=BB6_8048 Depth=3
	s_mov_b32 s13, -1
	s_mov_b32 s31, exec_lo
                                        ; implicit-def: $sgpr17
	v_cmpx_eq_u16_e32 0x80, v92
; %bb.8607:                             ;   in Loop: Header=BB6_8048 Depth=3
	s_mov_b32 s17, 0x7f800001
	s_xor_b32 s13, exec_lo, -1
; %bb.8608:                             ;   in Loop: Header=BB6_8048 Depth=3
	s_or_b32 exec_lo, exec_lo, s31
	s_delay_alu instid0(SALU_CYCLE_1)
	s_and_b32 s13, s13, exec_lo
                                        ; implicit-def: $vgpr92
	s_or_saveexec_b32 s30, s30
	v_mov_b32_e32 v91, s17
	s_xor_b32 exec_lo, exec_lo, s30
	s_cbranch_execz .LBB6_8146
.LBB6_8609:                             ;   in Loop: Header=BB6_8048 Depth=3
	v_cmp_ne_u16_e32 vcc_lo, 0, v92
	v_mov_b32_e32 v91, 0
	s_and_not1_b32 s13, s13, exec_lo
	s_and_b32 s17, vcc_lo, exec_lo
	s_delay_alu instid0(SALU_CYCLE_1)
	s_or_b32 s13, s13, s17
	s_or_b32 exec_lo, exec_lo, s30
	s_and_saveexec_b32 s17, s13
	s_cbranch_execnz .LBB6_8147
	s_branch .LBB6_8148
.LBB6_8610:                             ;   in Loop: Header=BB6_8048 Depth=3
	s_mov_b32 s13, -1
	s_mov_b32 s31, exec_lo
                                        ; implicit-def: $sgpr17
	v_cmpx_eq_u16_e32 0x80, v92
; %bb.8611:                             ;   in Loop: Header=BB6_8048 Depth=3
	s_mov_b32 s17, 0x7f800001
	s_xor_b32 s13, exec_lo, -1
; %bb.8612:                             ;   in Loop: Header=BB6_8048 Depth=3
	s_or_b32 exec_lo, exec_lo, s31
	s_delay_alu instid0(SALU_CYCLE_1)
	s_and_b32 s13, s13, exec_lo
                                        ; implicit-def: $vgpr92
	s_or_saveexec_b32 s30, s30
	v_mov_b32_e32 v90, s17
	s_xor_b32 exec_lo, exec_lo, s30
	s_cbranch_execz .LBB6_8150
.LBB6_8613:                             ;   in Loop: Header=BB6_8048 Depth=3
	v_cmp_ne_u16_e32 vcc_lo, 0, v92
	v_mov_b32_e32 v90, 0
	s_and_not1_b32 s13, s13, exec_lo
	s_and_b32 s17, vcc_lo, exec_lo
	s_delay_alu instid0(SALU_CYCLE_1)
	s_or_b32 s13, s13, s17
	s_or_b32 exec_lo, exec_lo, s30
	s_and_saveexec_b32 s17, s13
	s_cbranch_execnz .LBB6_8151
	s_branch .LBB6_8152
.LBB6_8614:                             ;   in Loop: Header=BB6_8048 Depth=3
	s_mov_b32 s13, -1
	s_mov_b32 s31, exec_lo
                                        ; implicit-def: $sgpr17
	v_cmpx_eq_u16_e32 0x80, v91
; %bb.8615:                             ;   in Loop: Header=BB6_8048 Depth=3
	s_mov_b32 s17, 0x7f800001
	s_xor_b32 s13, exec_lo, -1
; %bb.8616:                             ;   in Loop: Header=BB6_8048 Depth=3
	s_or_b32 exec_lo, exec_lo, s31
	s_delay_alu instid0(SALU_CYCLE_1)
	s_and_b32 s13, s13, exec_lo
                                        ; implicit-def: $vgpr91
	s_or_saveexec_b32 s30, s30
	v_mov_b32_e32 v90, s17
	s_xor_b32 exec_lo, exec_lo, s30
	s_cbranch_execz .LBB6_8162
.LBB6_8617:                             ;   in Loop: Header=BB6_8048 Depth=3
	v_cmp_ne_u16_e32 vcc_lo, 0, v91
	v_mov_b32_e32 v90, 0
	s_and_not1_b32 s13, s13, exec_lo
	s_and_b32 s17, vcc_lo, exec_lo
	s_delay_alu instid0(SALU_CYCLE_1)
	s_or_b32 s13, s13, s17
	s_or_b32 exec_lo, exec_lo, s30
	s_and_saveexec_b32 s17, s13
	s_cbranch_execnz .LBB6_8163
	s_branch .LBB6_8164
.LBB6_8618:                             ;   in Loop: Header=BB6_8048 Depth=3
	s_mov_b32 s13, -1
	s_mov_b32 s31, exec_lo
                                        ; implicit-def: $sgpr17
	v_cmpx_eq_u16_e32 0x80, v91
; %bb.8619:                             ;   in Loop: Header=BB6_8048 Depth=3
	s_mov_b32 s17, 0x7f800001
	s_xor_b32 s13, exec_lo, -1
; %bb.8620:                             ;   in Loop: Header=BB6_8048 Depth=3
	s_or_b32 exec_lo, exec_lo, s31
	s_delay_alu instid0(SALU_CYCLE_1)
	s_and_b32 s13, s13, exec_lo
                                        ; implicit-def: $vgpr91
	s_or_saveexec_b32 s30, s30
	v_mov_b32_e32 v89, s17
	s_xor_b32 exec_lo, exec_lo, s30
	s_cbranch_execz .LBB6_8166
.LBB6_8621:                             ;   in Loop: Header=BB6_8048 Depth=3
	v_cmp_ne_u16_e32 vcc_lo, 0, v91
	v_mov_b32_e32 v89, 0
	s_and_not1_b32 s13, s13, exec_lo
	s_and_b32 s17, vcc_lo, exec_lo
	s_delay_alu instid0(SALU_CYCLE_1)
	s_or_b32 s13, s13, s17
	s_or_b32 exec_lo, exec_lo, s30
	s_and_saveexec_b32 s17, s13
	s_cbranch_execnz .LBB6_8167
	s_branch .LBB6_8168
.LBB6_8622:                             ;   in Loop: Header=BB6_8048 Depth=3
	s_mov_b32 s13, -1
	s_mov_b32 s31, exec_lo
                                        ; implicit-def: $sgpr17
	v_cmpx_eq_u16_e32 0x80, v90
; %bb.8623:                             ;   in Loop: Header=BB6_8048 Depth=3
	s_mov_b32 s17, 0x7f800001
	s_xor_b32 s13, exec_lo, -1
; %bb.8624:                             ;   in Loop: Header=BB6_8048 Depth=3
	s_or_b32 exec_lo, exec_lo, s31
	s_delay_alu instid0(SALU_CYCLE_1)
	s_and_b32 s13, s13, exec_lo
                                        ; implicit-def: $vgpr90
	s_or_saveexec_b32 s30, s30
	v_mov_b32_e32 v89, s17
	s_xor_b32 exec_lo, exec_lo, s30
	s_cbranch_execz .LBB6_8178
.LBB6_8625:                             ;   in Loop: Header=BB6_8048 Depth=3
	v_cmp_ne_u16_e32 vcc_lo, 0, v90
	v_mov_b32_e32 v89, 0
	s_and_not1_b32 s13, s13, exec_lo
	s_and_b32 s17, vcc_lo, exec_lo
	s_delay_alu instid0(SALU_CYCLE_1)
	s_or_b32 s13, s13, s17
	s_or_b32 exec_lo, exec_lo, s30
	s_and_saveexec_b32 s17, s13
	s_cbranch_execnz .LBB6_8179
	s_branch .LBB6_8180
.LBB6_8626:                             ;   in Loop: Header=BB6_8048 Depth=3
	s_mov_b32 s13, -1
	s_mov_b32 s31, exec_lo
                                        ; implicit-def: $sgpr17
	v_cmpx_eq_u16_e32 0x80, v90
; %bb.8627:                             ;   in Loop: Header=BB6_8048 Depth=3
	s_mov_b32 s17, 0x7f800001
	s_xor_b32 s13, exec_lo, -1
; %bb.8628:                             ;   in Loop: Header=BB6_8048 Depth=3
	s_or_b32 exec_lo, exec_lo, s31
	s_delay_alu instid0(SALU_CYCLE_1)
	s_and_b32 s13, s13, exec_lo
                                        ; implicit-def: $vgpr90
	s_or_saveexec_b32 s30, s30
	v_mov_b32_e32 v88, s17
	s_xor_b32 exec_lo, exec_lo, s30
	s_cbranch_execz .LBB6_8182
.LBB6_8629:                             ;   in Loop: Header=BB6_8048 Depth=3
	v_cmp_ne_u16_e32 vcc_lo, 0, v90
	v_mov_b32_e32 v88, 0
	s_and_not1_b32 s13, s13, exec_lo
	s_and_b32 s17, vcc_lo, exec_lo
	s_delay_alu instid0(SALU_CYCLE_1)
	s_or_b32 s13, s13, s17
	s_or_b32 exec_lo, exec_lo, s30
	s_and_saveexec_b32 s17, s13
	s_cbranch_execnz .LBB6_8183
	s_branch .LBB6_8184
.LBB6_8630:                             ;   in Loop: Header=BB6_8048 Depth=3
	s_mov_b32 s13, -1
	s_mov_b32 s31, exec_lo
                                        ; implicit-def: $sgpr17
	v_cmpx_eq_u16_e32 0x80, v89
; %bb.8631:                             ;   in Loop: Header=BB6_8048 Depth=3
	s_mov_b32 s17, 0x7f800001
	s_xor_b32 s13, exec_lo, -1
; %bb.8632:                             ;   in Loop: Header=BB6_8048 Depth=3
	s_or_b32 exec_lo, exec_lo, s31
	s_delay_alu instid0(SALU_CYCLE_1)
	s_and_b32 s13, s13, exec_lo
                                        ; implicit-def: $vgpr89
	s_or_saveexec_b32 s30, s30
	v_mov_b32_e32 v88, s17
	s_xor_b32 exec_lo, exec_lo, s30
	s_cbranch_execz .LBB6_8194
.LBB6_8633:                             ;   in Loop: Header=BB6_8048 Depth=3
	v_cmp_ne_u16_e32 vcc_lo, 0, v89
	v_mov_b32_e32 v88, 0
	s_and_not1_b32 s13, s13, exec_lo
	s_and_b32 s17, vcc_lo, exec_lo
	s_delay_alu instid0(SALU_CYCLE_1)
	s_or_b32 s13, s13, s17
	s_or_b32 exec_lo, exec_lo, s30
	s_and_saveexec_b32 s17, s13
	s_cbranch_execnz .LBB6_8195
	s_branch .LBB6_8196
.LBB6_8634:                             ;   in Loop: Header=BB6_8048 Depth=3
	s_mov_b32 s13, -1
	s_mov_b32 s31, exec_lo
                                        ; implicit-def: $sgpr17
	v_cmpx_eq_u16_e32 0x80, v89
; %bb.8635:                             ;   in Loop: Header=BB6_8048 Depth=3
	s_mov_b32 s17, 0x7f800001
	s_xor_b32 s13, exec_lo, -1
; %bb.8636:                             ;   in Loop: Header=BB6_8048 Depth=3
	s_or_b32 exec_lo, exec_lo, s31
	s_delay_alu instid0(SALU_CYCLE_1)
	s_and_b32 s13, s13, exec_lo
                                        ; implicit-def: $vgpr89
	s_or_saveexec_b32 s30, s30
	v_mov_b32_e32 v79, s17
	s_xor_b32 exec_lo, exec_lo, s30
	s_cbranch_execz .LBB6_8198
.LBB6_8637:                             ;   in Loop: Header=BB6_8048 Depth=3
	v_cmp_ne_u16_e32 vcc_lo, 0, v89
	v_mov_b32_e32 v79, 0
	s_and_not1_b32 s13, s13, exec_lo
	s_and_b32 s17, vcc_lo, exec_lo
	s_delay_alu instid0(SALU_CYCLE_1)
	s_or_b32 s13, s13, s17
	s_or_b32 exec_lo, exec_lo, s30
	s_and_saveexec_b32 s17, s13
	s_cbranch_execnz .LBB6_8199
	s_branch .LBB6_8200
.LBB6_8638:                             ;   in Loop: Header=BB6_8048 Depth=3
	s_mov_b32 s13, -1
	s_mov_b32 s31, exec_lo
                                        ; implicit-def: $sgpr17
	v_cmpx_eq_u16_e32 0x80, v88
; %bb.8639:                             ;   in Loop: Header=BB6_8048 Depth=3
	s_mov_b32 s17, 0x7f800001
	s_xor_b32 s13, exec_lo, -1
; %bb.8640:                             ;   in Loop: Header=BB6_8048 Depth=3
	s_or_b32 exec_lo, exec_lo, s31
	s_delay_alu instid0(SALU_CYCLE_1)
	s_and_b32 s13, s13, exec_lo
                                        ; implicit-def: $vgpr88
	s_or_saveexec_b32 s30, s30
	v_mov_b32_e32 v79, s17
	s_xor_b32 exec_lo, exec_lo, s30
	s_cbranch_execz .LBB6_8210
.LBB6_8641:                             ;   in Loop: Header=BB6_8048 Depth=3
	v_cmp_ne_u16_e32 vcc_lo, 0, v88
	v_mov_b32_e32 v79, 0
	s_and_not1_b32 s13, s13, exec_lo
	s_and_b32 s17, vcc_lo, exec_lo
	s_delay_alu instid0(SALU_CYCLE_1)
	s_or_b32 s13, s13, s17
	s_or_b32 exec_lo, exec_lo, s30
	s_and_saveexec_b32 s17, s13
	s_cbranch_execnz .LBB6_8211
	s_branch .LBB6_8212
.LBB6_8642:                             ;   in Loop: Header=BB6_8048 Depth=3
	s_mov_b32 s13, -1
	s_mov_b32 s31, exec_lo
                                        ; implicit-def: $sgpr17
	v_cmpx_eq_u16_e32 0x80, v88
; %bb.8643:                             ;   in Loop: Header=BB6_8048 Depth=3
	s_mov_b32 s17, 0x7f800001
	s_xor_b32 s13, exec_lo, -1
; %bb.8644:                             ;   in Loop: Header=BB6_8048 Depth=3
	s_or_b32 exec_lo, exec_lo, s31
	s_delay_alu instid0(SALU_CYCLE_1)
	s_and_b32 s13, s13, exec_lo
                                        ; implicit-def: $vgpr88
	s_or_saveexec_b32 s30, s30
	v_mov_b32_e32 v78, s17
	s_xor_b32 exec_lo, exec_lo, s30
	s_cbranch_execz .LBB6_8214
.LBB6_8645:                             ;   in Loop: Header=BB6_8048 Depth=3
	v_cmp_ne_u16_e32 vcc_lo, 0, v88
	v_mov_b32_e32 v78, 0
	s_and_not1_b32 s13, s13, exec_lo
	s_and_b32 s17, vcc_lo, exec_lo
	s_delay_alu instid0(SALU_CYCLE_1)
	s_or_b32 s13, s13, s17
	s_or_b32 exec_lo, exec_lo, s30
	s_and_saveexec_b32 s17, s13
	s_cbranch_execnz .LBB6_8215
	s_branch .LBB6_8216
.LBB6_8646:                             ;   in Loop: Header=BB6_8048 Depth=3
	s_mov_b32 s13, -1
	s_mov_b32 s31, exec_lo
                                        ; implicit-def: $sgpr17
	v_cmpx_eq_u16_e32 0x80, v79
; %bb.8647:                             ;   in Loop: Header=BB6_8048 Depth=3
	s_mov_b32 s17, 0x7f800001
	s_xor_b32 s13, exec_lo, -1
; %bb.8648:                             ;   in Loop: Header=BB6_8048 Depth=3
	s_or_b32 exec_lo, exec_lo, s31
	s_delay_alu instid0(SALU_CYCLE_1)
	s_and_b32 s13, s13, exec_lo
                                        ; implicit-def: $vgpr79
	s_or_saveexec_b32 s30, s30
	v_mov_b32_e32 v78, s17
	s_xor_b32 exec_lo, exec_lo, s30
	s_cbranch_execz .LBB6_8226
.LBB6_8649:                             ;   in Loop: Header=BB6_8048 Depth=3
	v_cmp_ne_u16_e32 vcc_lo, 0, v79
	v_mov_b32_e32 v78, 0
	s_and_not1_b32 s13, s13, exec_lo
	s_and_b32 s17, vcc_lo, exec_lo
	s_delay_alu instid0(SALU_CYCLE_1)
	s_or_b32 s13, s13, s17
	s_or_b32 exec_lo, exec_lo, s30
	s_and_saveexec_b32 s17, s13
	s_cbranch_execnz .LBB6_8227
	s_branch .LBB6_8228
.LBB6_8650:                             ;   in Loop: Header=BB6_8048 Depth=3
	s_mov_b32 s13, -1
	s_mov_b32 s31, exec_lo
                                        ; implicit-def: $sgpr17
	v_cmpx_eq_u16_e32 0x80, v79
; %bb.8651:                             ;   in Loop: Header=BB6_8048 Depth=3
	s_mov_b32 s17, 0x7f800001
	s_xor_b32 s13, exec_lo, -1
; %bb.8652:                             ;   in Loop: Header=BB6_8048 Depth=3
	s_or_b32 exec_lo, exec_lo, s31
	s_delay_alu instid0(SALU_CYCLE_1)
	s_and_b32 s13, s13, exec_lo
                                        ; implicit-def: $vgpr79
	s_or_saveexec_b32 s30, s30
	v_mov_b32_e32 v77, s17
	s_xor_b32 exec_lo, exec_lo, s30
	s_cbranch_execz .LBB6_8230
.LBB6_8653:                             ;   in Loop: Header=BB6_8048 Depth=3
	v_cmp_ne_u16_e32 vcc_lo, 0, v79
	v_mov_b32_e32 v77, 0
	s_and_not1_b32 s13, s13, exec_lo
	s_and_b32 s17, vcc_lo, exec_lo
	s_delay_alu instid0(SALU_CYCLE_1)
	s_or_b32 s13, s13, s17
	s_or_b32 exec_lo, exec_lo, s30
	s_and_saveexec_b32 s17, s13
	s_cbranch_execnz .LBB6_8231
	s_branch .LBB6_8232
.LBB6_8654:                             ;   in Loop: Header=BB6_8048 Depth=3
	s_mov_b32 s13, -1
	s_mov_b32 s31, exec_lo
                                        ; implicit-def: $sgpr17
	v_cmpx_eq_u16_e32 0x80, v78
; %bb.8655:                             ;   in Loop: Header=BB6_8048 Depth=3
	s_mov_b32 s17, 0x7f800001
	s_xor_b32 s13, exec_lo, -1
; %bb.8656:                             ;   in Loop: Header=BB6_8048 Depth=3
	s_or_b32 exec_lo, exec_lo, s31
	s_delay_alu instid0(SALU_CYCLE_1)
	s_and_b32 s13, s13, exec_lo
                                        ; implicit-def: $vgpr78
	s_or_saveexec_b32 s30, s30
	v_mov_b32_e32 v77, s17
	s_xor_b32 exec_lo, exec_lo, s30
	s_cbranch_execz .LBB6_8242
.LBB6_8657:                             ;   in Loop: Header=BB6_8048 Depth=3
	v_cmp_ne_u16_e32 vcc_lo, 0, v78
	v_mov_b32_e32 v77, 0
	s_and_not1_b32 s13, s13, exec_lo
	s_and_b32 s17, vcc_lo, exec_lo
	s_delay_alu instid0(SALU_CYCLE_1)
	s_or_b32 s13, s13, s17
	s_or_b32 exec_lo, exec_lo, s30
	s_and_saveexec_b32 s17, s13
	s_cbranch_execnz .LBB6_8243
	s_branch .LBB6_8244
.LBB6_8658:                             ;   in Loop: Header=BB6_8048 Depth=3
	s_mov_b32 s13, -1
	s_mov_b32 s31, exec_lo
                                        ; implicit-def: $sgpr17
	v_cmpx_eq_u16_e32 0x80, v78
; %bb.8659:                             ;   in Loop: Header=BB6_8048 Depth=3
	s_mov_b32 s17, 0x7f800001
	s_xor_b32 s13, exec_lo, -1
; %bb.8660:                             ;   in Loop: Header=BB6_8048 Depth=3
	s_or_b32 exec_lo, exec_lo, s31
	s_delay_alu instid0(SALU_CYCLE_1)
	s_and_b32 s13, s13, exec_lo
                                        ; implicit-def: $vgpr78
	s_or_saveexec_b32 s30, s30
	v_mov_b32_e32 v76, s17
	s_xor_b32 exec_lo, exec_lo, s30
	s_cbranch_execz .LBB6_8246
.LBB6_8661:                             ;   in Loop: Header=BB6_8048 Depth=3
	v_cmp_ne_u16_e32 vcc_lo, 0, v78
	v_mov_b32_e32 v76, 0
	s_and_not1_b32 s13, s13, exec_lo
	s_and_b32 s17, vcc_lo, exec_lo
	s_delay_alu instid0(SALU_CYCLE_1)
	s_or_b32 s13, s13, s17
	s_or_b32 exec_lo, exec_lo, s30
	s_and_saveexec_b32 s17, s13
	s_cbranch_execnz .LBB6_8247
	s_branch .LBB6_8248
.LBB6_8662:                             ;   in Loop: Header=BB6_8048 Depth=3
	s_mov_b32 s13, -1
	s_mov_b32 s31, exec_lo
                                        ; implicit-def: $sgpr17
	v_cmpx_eq_u16_e32 0x80, v77
; %bb.8663:                             ;   in Loop: Header=BB6_8048 Depth=3
	s_mov_b32 s17, 0x7f800001
	s_xor_b32 s13, exec_lo, -1
; %bb.8664:                             ;   in Loop: Header=BB6_8048 Depth=3
	s_or_b32 exec_lo, exec_lo, s31
	s_delay_alu instid0(SALU_CYCLE_1)
	s_and_b32 s13, s13, exec_lo
                                        ; implicit-def: $vgpr77
	s_or_saveexec_b32 s30, s30
	v_mov_b32_e32 v76, s17
	s_xor_b32 exec_lo, exec_lo, s30
	s_cbranch_execz .LBB6_8258
.LBB6_8665:                             ;   in Loop: Header=BB6_8048 Depth=3
	v_cmp_ne_u16_e32 vcc_lo, 0, v77
	v_mov_b32_e32 v76, 0
	s_and_not1_b32 s13, s13, exec_lo
	s_and_b32 s17, vcc_lo, exec_lo
	s_delay_alu instid0(SALU_CYCLE_1)
	s_or_b32 s13, s13, s17
	s_or_b32 exec_lo, exec_lo, s30
	s_and_saveexec_b32 s17, s13
	s_cbranch_execnz .LBB6_8259
	s_branch .LBB6_8260
.LBB6_8666:                             ;   in Loop: Header=BB6_8048 Depth=3
	s_mov_b32 s13, -1
	s_mov_b32 s31, exec_lo
                                        ; implicit-def: $sgpr17
	v_cmpx_eq_u16_e32 0x80, v77
; %bb.8667:                             ;   in Loop: Header=BB6_8048 Depth=3
	s_mov_b32 s17, 0x7f800001
	s_xor_b32 s13, exec_lo, -1
; %bb.8668:                             ;   in Loop: Header=BB6_8048 Depth=3
	s_or_b32 exec_lo, exec_lo, s31
	s_delay_alu instid0(SALU_CYCLE_1)
	s_and_b32 s13, s13, exec_lo
                                        ; implicit-def: $vgpr77
	s_or_saveexec_b32 s30, s30
	v_mov_b32_e32 v75, s17
	s_xor_b32 exec_lo, exec_lo, s30
	s_cbranch_execz .LBB6_8262
.LBB6_8669:                             ;   in Loop: Header=BB6_8048 Depth=3
	v_cmp_ne_u16_e32 vcc_lo, 0, v77
	v_mov_b32_e32 v75, 0
	s_and_not1_b32 s13, s13, exec_lo
	s_and_b32 s17, vcc_lo, exec_lo
	s_delay_alu instid0(SALU_CYCLE_1)
	s_or_b32 s13, s13, s17
	s_or_b32 exec_lo, exec_lo, s30
	s_and_saveexec_b32 s17, s13
	s_cbranch_execnz .LBB6_8263
	s_branch .LBB6_8264
.LBB6_8670:                             ;   in Loop: Header=BB6_8048 Depth=3
	s_mov_b32 s13, -1
	s_mov_b32 s31, exec_lo
                                        ; implicit-def: $sgpr17
	v_cmpx_eq_u16_e32 0x80, v76
; %bb.8671:                             ;   in Loop: Header=BB6_8048 Depth=3
	s_mov_b32 s17, 0x7f800001
	s_xor_b32 s13, exec_lo, -1
; %bb.8672:                             ;   in Loop: Header=BB6_8048 Depth=3
	s_or_b32 exec_lo, exec_lo, s31
	s_delay_alu instid0(SALU_CYCLE_1)
	s_and_b32 s13, s13, exec_lo
                                        ; implicit-def: $vgpr76
	s_or_saveexec_b32 s30, s30
	v_mov_b32_e32 v75, s17
	s_xor_b32 exec_lo, exec_lo, s30
	s_cbranch_execz .LBB6_8274
.LBB6_8673:                             ;   in Loop: Header=BB6_8048 Depth=3
	v_cmp_ne_u16_e32 vcc_lo, 0, v76
	v_mov_b32_e32 v75, 0
	s_and_not1_b32 s13, s13, exec_lo
	s_and_b32 s17, vcc_lo, exec_lo
	s_delay_alu instid0(SALU_CYCLE_1)
	s_or_b32 s13, s13, s17
	s_or_b32 exec_lo, exec_lo, s30
	s_and_saveexec_b32 s17, s13
	s_cbranch_execnz .LBB6_8275
	s_branch .LBB6_8276
.LBB6_8674:                             ;   in Loop: Header=BB6_8048 Depth=3
	s_mov_b32 s13, -1
	s_mov_b32 s31, exec_lo
                                        ; implicit-def: $sgpr17
	v_cmpx_eq_u16_e32 0x80, v76
; %bb.8675:                             ;   in Loop: Header=BB6_8048 Depth=3
	s_mov_b32 s17, 0x7f800001
	s_xor_b32 s13, exec_lo, -1
; %bb.8676:                             ;   in Loop: Header=BB6_8048 Depth=3
	s_or_b32 exec_lo, exec_lo, s31
	s_delay_alu instid0(SALU_CYCLE_1)
	s_and_b32 s13, s13, exec_lo
                                        ; implicit-def: $vgpr76
	s_or_saveexec_b32 s30, s30
	v_mov_b32_e32 v74, s17
	s_xor_b32 exec_lo, exec_lo, s30
	s_cbranch_execz .LBB6_8278
.LBB6_8677:                             ;   in Loop: Header=BB6_8048 Depth=3
	v_cmp_ne_u16_e32 vcc_lo, 0, v76
	v_mov_b32_e32 v74, 0
	s_and_not1_b32 s13, s13, exec_lo
	s_and_b32 s17, vcc_lo, exec_lo
	s_delay_alu instid0(SALU_CYCLE_1)
	s_or_b32 s13, s13, s17
	s_or_b32 exec_lo, exec_lo, s30
	s_and_saveexec_b32 s17, s13
	s_cbranch_execnz .LBB6_8279
	s_branch .LBB6_8280
.LBB6_8678:                             ;   in Loop: Header=BB6_8048 Depth=3
	s_mov_b32 s13, -1
	s_mov_b32 s31, exec_lo
                                        ; implicit-def: $sgpr17
	v_cmpx_eq_u16_e32 0x80, v75
; %bb.8679:                             ;   in Loop: Header=BB6_8048 Depth=3
	s_mov_b32 s17, 0x7f800001
	s_xor_b32 s13, exec_lo, -1
; %bb.8680:                             ;   in Loop: Header=BB6_8048 Depth=3
	s_or_b32 exec_lo, exec_lo, s31
	s_delay_alu instid0(SALU_CYCLE_1)
	s_and_b32 s13, s13, exec_lo
                                        ; implicit-def: $vgpr75
	s_or_saveexec_b32 s30, s30
	v_mov_b32_e32 v74, s17
	s_xor_b32 exec_lo, exec_lo, s30
	s_cbranch_execz .LBB6_8290
.LBB6_8681:                             ;   in Loop: Header=BB6_8048 Depth=3
	v_cmp_ne_u16_e32 vcc_lo, 0, v75
	v_mov_b32_e32 v74, 0
	s_and_not1_b32 s13, s13, exec_lo
	s_and_b32 s17, vcc_lo, exec_lo
	s_delay_alu instid0(SALU_CYCLE_1)
	s_or_b32 s13, s13, s17
	s_or_b32 exec_lo, exec_lo, s30
	s_and_saveexec_b32 s17, s13
	s_cbranch_execnz .LBB6_8291
	s_branch .LBB6_8292
.LBB6_8682:                             ;   in Loop: Header=BB6_8048 Depth=3
	s_mov_b32 s13, -1
	s_mov_b32 s31, exec_lo
                                        ; implicit-def: $sgpr17
	v_cmpx_eq_u16_e32 0x80, v75
; %bb.8683:                             ;   in Loop: Header=BB6_8048 Depth=3
	s_mov_b32 s17, 0x7f800001
	s_xor_b32 s13, exec_lo, -1
; %bb.8684:                             ;   in Loop: Header=BB6_8048 Depth=3
	s_or_b32 exec_lo, exec_lo, s31
	s_delay_alu instid0(SALU_CYCLE_1)
	s_and_b32 s13, s13, exec_lo
                                        ; implicit-def: $vgpr75
	s_or_saveexec_b32 s30, s30
	v_mov_b32_e32 v73, s17
	s_xor_b32 exec_lo, exec_lo, s30
	s_cbranch_execz .LBB6_8294
.LBB6_8685:                             ;   in Loop: Header=BB6_8048 Depth=3
	v_cmp_ne_u16_e32 vcc_lo, 0, v75
	v_mov_b32_e32 v73, 0
	s_and_not1_b32 s13, s13, exec_lo
	s_and_b32 s17, vcc_lo, exec_lo
	s_delay_alu instid0(SALU_CYCLE_1)
	s_or_b32 s13, s13, s17
	s_or_b32 exec_lo, exec_lo, s30
	s_and_saveexec_b32 s17, s13
	s_cbranch_execnz .LBB6_8295
	s_branch .LBB6_8296
.LBB6_8686:                             ;   in Loop: Header=BB6_8048 Depth=3
	s_mov_b32 s13, -1
	s_mov_b32 s31, exec_lo
                                        ; implicit-def: $sgpr17
	v_cmpx_eq_u16_e32 0x80, v74
; %bb.8687:                             ;   in Loop: Header=BB6_8048 Depth=3
	s_mov_b32 s17, 0x7f800001
	s_xor_b32 s13, exec_lo, -1
; %bb.8688:                             ;   in Loop: Header=BB6_8048 Depth=3
	s_or_b32 exec_lo, exec_lo, s31
	s_delay_alu instid0(SALU_CYCLE_1)
	s_and_b32 s13, s13, exec_lo
                                        ; implicit-def: $vgpr74
	s_or_saveexec_b32 s30, s30
	v_mov_b32_e32 v73, s17
	s_xor_b32 exec_lo, exec_lo, s30
	s_cbranch_execz .LBB6_8306
.LBB6_8689:                             ;   in Loop: Header=BB6_8048 Depth=3
	v_cmp_ne_u16_e32 vcc_lo, 0, v74
	v_mov_b32_e32 v73, 0
	s_and_not1_b32 s13, s13, exec_lo
	s_and_b32 s17, vcc_lo, exec_lo
	s_delay_alu instid0(SALU_CYCLE_1)
	s_or_b32 s13, s13, s17
	s_or_b32 exec_lo, exec_lo, s30
	s_and_saveexec_b32 s17, s13
	s_cbranch_execnz .LBB6_8307
	s_branch .LBB6_8308
.LBB6_8690:                             ;   in Loop: Header=BB6_8048 Depth=3
	s_mov_b32 s13, -1
	s_mov_b32 s31, exec_lo
                                        ; implicit-def: $sgpr17
	v_cmpx_eq_u16_e32 0x80, v74
; %bb.8691:                             ;   in Loop: Header=BB6_8048 Depth=3
	s_mov_b32 s17, 0x7f800001
	s_xor_b32 s13, exec_lo, -1
; %bb.8692:                             ;   in Loop: Header=BB6_8048 Depth=3
	s_or_b32 exec_lo, exec_lo, s31
	s_delay_alu instid0(SALU_CYCLE_1)
	s_and_b32 s13, s13, exec_lo
                                        ; implicit-def: $vgpr74
	s_or_saveexec_b32 s30, s30
	v_mov_b32_e32 v63, s17
	s_xor_b32 exec_lo, exec_lo, s30
	s_cbranch_execz .LBB6_8310
.LBB6_8693:                             ;   in Loop: Header=BB6_8048 Depth=3
	v_cmp_ne_u16_e32 vcc_lo, 0, v74
	v_mov_b32_e32 v63, 0
	s_and_not1_b32 s13, s13, exec_lo
	s_and_b32 s17, vcc_lo, exec_lo
	s_delay_alu instid0(SALU_CYCLE_1)
	s_or_b32 s13, s13, s17
	s_or_b32 exec_lo, exec_lo, s30
	s_and_saveexec_b32 s17, s13
	s_cbranch_execnz .LBB6_8311
	s_branch .LBB6_8312
.LBB6_8694:                             ;   in Loop: Header=BB6_8048 Depth=3
	s_mov_b32 s13, -1
	s_mov_b32 s31, exec_lo
                                        ; implicit-def: $sgpr17
	v_cmpx_eq_u16_e32 0x80, v73
; %bb.8695:                             ;   in Loop: Header=BB6_8048 Depth=3
	s_mov_b32 s17, 0x7f800001
	s_xor_b32 s13, exec_lo, -1
; %bb.8696:                             ;   in Loop: Header=BB6_8048 Depth=3
	s_or_b32 exec_lo, exec_lo, s31
	s_delay_alu instid0(SALU_CYCLE_1)
	s_and_b32 s13, s13, exec_lo
                                        ; implicit-def: $vgpr73
	s_or_saveexec_b32 s30, s30
	v_mov_b32_e32 v63, s17
	s_xor_b32 exec_lo, exec_lo, s30
	s_cbranch_execz .LBB6_8322
.LBB6_8697:                             ;   in Loop: Header=BB6_8048 Depth=3
	v_cmp_ne_u16_e32 vcc_lo, 0, v73
	v_mov_b32_e32 v63, 0
	s_and_not1_b32 s13, s13, exec_lo
	s_and_b32 s17, vcc_lo, exec_lo
	s_delay_alu instid0(SALU_CYCLE_1)
	s_or_b32 s13, s13, s17
	s_or_b32 exec_lo, exec_lo, s30
	s_and_saveexec_b32 s17, s13
	s_cbranch_execnz .LBB6_8323
	s_branch .LBB6_8324
.LBB6_8698:                             ;   in Loop: Header=BB6_8048 Depth=3
	s_mov_b32 s13, -1
	s_mov_b32 s31, exec_lo
                                        ; implicit-def: $sgpr17
	v_cmpx_eq_u16_e32 0x80, v73
; %bb.8699:                             ;   in Loop: Header=BB6_8048 Depth=3
	s_mov_b32 s17, 0x7f800001
	s_xor_b32 s13, exec_lo, -1
; %bb.8700:                             ;   in Loop: Header=BB6_8048 Depth=3
	s_or_b32 exec_lo, exec_lo, s31
	s_delay_alu instid0(SALU_CYCLE_1)
	s_and_b32 s13, s13, exec_lo
                                        ; implicit-def: $vgpr73
	s_or_saveexec_b32 s30, s30
	v_mov_b32_e32 v60, s17
	s_xor_b32 exec_lo, exec_lo, s30
	s_cbranch_execz .LBB6_8326
.LBB6_8701:                             ;   in Loop: Header=BB6_8048 Depth=3
	v_cmp_ne_u16_e32 vcc_lo, 0, v73
	v_mov_b32_e32 v60, 0
	s_and_not1_b32 s13, s13, exec_lo
	s_and_b32 s17, vcc_lo, exec_lo
	s_delay_alu instid0(SALU_CYCLE_1)
	s_or_b32 s13, s13, s17
	s_or_b32 exec_lo, exec_lo, s30
	s_and_saveexec_b32 s17, s13
	s_cbranch_execnz .LBB6_8327
	s_branch .LBB6_8328
.LBB6_8702:                             ;   in Loop: Header=BB6_8048 Depth=3
	s_mov_b32 s13, -1
	s_mov_b32 s31, exec_lo
                                        ; implicit-def: $sgpr17
	v_cmpx_eq_u16_e32 0x80, v63
; %bb.8703:                             ;   in Loop: Header=BB6_8048 Depth=3
	s_mov_b32 s17, 0x7f800001
	s_xor_b32 s13, exec_lo, -1
; %bb.8704:                             ;   in Loop: Header=BB6_8048 Depth=3
	s_or_b32 exec_lo, exec_lo, s31
	s_delay_alu instid0(SALU_CYCLE_1)
	s_and_b32 s13, s13, exec_lo
                                        ; implicit-def: $vgpr63
	s_or_saveexec_b32 s30, s30
	v_mov_b32_e32 v60, s17
	s_xor_b32 exec_lo, exec_lo, s30
	s_cbranch_execz .LBB6_8338
.LBB6_8705:                             ;   in Loop: Header=BB6_8048 Depth=3
	v_cmp_ne_u16_e32 vcc_lo, 0, v63
	v_mov_b32_e32 v60, 0
	s_and_not1_b32 s13, s13, exec_lo
	s_and_b32 s17, vcc_lo, exec_lo
	s_delay_alu instid0(SALU_CYCLE_1)
	s_or_b32 s13, s13, s17
	s_or_b32 exec_lo, exec_lo, s30
	s_and_saveexec_b32 s17, s13
	s_cbranch_execnz .LBB6_8339
	s_branch .LBB6_8340
.LBB6_8706:                             ;   in Loop: Header=BB6_8048 Depth=3
	s_mov_b32 s13, -1
	s_mov_b32 s31, exec_lo
                                        ; implicit-def: $sgpr17
	v_cmpx_eq_u16_e32 0x80, v63
; %bb.8707:                             ;   in Loop: Header=BB6_8048 Depth=3
	s_mov_b32 s17, 0x7f800001
	s_xor_b32 s13, exec_lo, -1
; %bb.8708:                             ;   in Loop: Header=BB6_8048 Depth=3
	s_or_b32 exec_lo, exec_lo, s31
	s_delay_alu instid0(SALU_CYCLE_1)
	s_and_b32 s13, s13, exec_lo
                                        ; implicit-def: $vgpr63
	s_or_saveexec_b32 s30, s30
	v_mov_b32_e32 v57, s17
	s_xor_b32 exec_lo, exec_lo, s30
	s_cbranch_execz .LBB6_8342
.LBB6_8709:                             ;   in Loop: Header=BB6_8048 Depth=3
	v_cmp_ne_u16_e32 vcc_lo, 0, v63
	v_mov_b32_e32 v57, 0
	s_and_not1_b32 s13, s13, exec_lo
	s_and_b32 s17, vcc_lo, exec_lo
	s_delay_alu instid0(SALU_CYCLE_1)
	s_or_b32 s13, s13, s17
	s_or_b32 exec_lo, exec_lo, s30
	s_and_saveexec_b32 s17, s13
	s_cbranch_execnz .LBB6_8343
	s_branch .LBB6_8344
.LBB6_8710:                             ;   in Loop: Header=BB6_8048 Depth=3
	s_mov_b32 s13, -1
	s_mov_b32 s31, exec_lo
                                        ; implicit-def: $sgpr17
	v_cmpx_eq_u16_e32 0x80, v60
; %bb.8711:                             ;   in Loop: Header=BB6_8048 Depth=3
	s_mov_b32 s17, 0x7f800001
	s_xor_b32 s13, exec_lo, -1
; %bb.8712:                             ;   in Loop: Header=BB6_8048 Depth=3
	s_or_b32 exec_lo, exec_lo, s31
	s_delay_alu instid0(SALU_CYCLE_1)
	s_and_b32 s13, s13, exec_lo
                                        ; implicit-def: $vgpr60
	s_or_saveexec_b32 s30, s30
	v_mov_b32_e32 v57, s17
	s_xor_b32 exec_lo, exec_lo, s30
	s_cbranch_execz .LBB6_8354
.LBB6_8713:                             ;   in Loop: Header=BB6_8048 Depth=3
	v_cmp_ne_u16_e32 vcc_lo, 0, v60
	v_mov_b32_e32 v57, 0
	s_and_not1_b32 s13, s13, exec_lo
	s_and_b32 s17, vcc_lo, exec_lo
	s_delay_alu instid0(SALU_CYCLE_1)
	s_or_b32 s13, s13, s17
	s_or_b32 exec_lo, exec_lo, s30
	s_and_saveexec_b32 s17, s13
	s_cbranch_execnz .LBB6_8355
	s_branch .LBB6_8356
.LBB6_8714:                             ;   in Loop: Header=BB6_8048 Depth=3
	s_mov_b32 s13, -1
	s_mov_b32 s31, exec_lo
                                        ; implicit-def: $sgpr17
	v_cmpx_eq_u16_e32 0x80, v60
; %bb.8715:                             ;   in Loop: Header=BB6_8048 Depth=3
	s_mov_b32 s17, 0x7f800001
	s_xor_b32 s13, exec_lo, -1
; %bb.8716:                             ;   in Loop: Header=BB6_8048 Depth=3
	s_or_b32 exec_lo, exec_lo, s31
	s_delay_alu instid0(SALU_CYCLE_1)
	s_and_b32 s13, s13, exec_lo
                                        ; implicit-def: $vgpr60
	s_or_saveexec_b32 s30, s30
	v_mov_b32_e32 v46, s17
	s_xor_b32 exec_lo, exec_lo, s30
	s_cbranch_execz .LBB6_8358
.LBB6_8717:                             ;   in Loop: Header=BB6_8048 Depth=3
	v_cmp_ne_u16_e32 vcc_lo, 0, v60
	v_mov_b32_e32 v46, 0
	s_and_not1_b32 s13, s13, exec_lo
	s_and_b32 s17, vcc_lo, exec_lo
	s_delay_alu instid0(SALU_CYCLE_1)
	s_or_b32 s13, s13, s17
	s_or_b32 exec_lo, exec_lo, s30
	s_and_saveexec_b32 s17, s13
	s_cbranch_execnz .LBB6_8359
	s_branch .LBB6_8360
.LBB6_8718:                             ;   in Loop: Header=BB6_8048 Depth=3
	s_mov_b32 s13, -1
	s_mov_b32 s31, exec_lo
                                        ; implicit-def: $sgpr17
	v_cmpx_eq_u16_e32 0x80, v57
; %bb.8719:                             ;   in Loop: Header=BB6_8048 Depth=3
	s_mov_b32 s17, 0x7f800001
	s_xor_b32 s13, exec_lo, -1
; %bb.8720:                             ;   in Loop: Header=BB6_8048 Depth=3
	s_or_b32 exec_lo, exec_lo, s31
	s_delay_alu instid0(SALU_CYCLE_1)
	s_and_b32 s13, s13, exec_lo
                                        ; implicit-def: $vgpr57
	s_or_saveexec_b32 s30, s30
	v_mov_b32_e32 v46, s17
	s_xor_b32 exec_lo, exec_lo, s30
	s_cbranch_execz .LBB6_8370
.LBB6_8721:                             ;   in Loop: Header=BB6_8048 Depth=3
	v_cmp_ne_u16_e32 vcc_lo, 0, v57
	v_mov_b32_e32 v46, 0
	s_and_not1_b32 s13, s13, exec_lo
	s_and_b32 s17, vcc_lo, exec_lo
	s_delay_alu instid0(SALU_CYCLE_1)
	s_or_b32 s13, s13, s17
	s_or_b32 exec_lo, exec_lo, s30
	s_and_saveexec_b32 s17, s13
	s_cbranch_execnz .LBB6_8371
	s_branch .LBB6_8372
.LBB6_8722:                             ;   in Loop: Header=BB6_8048 Depth=3
	s_mov_b32 s13, -1
	s_mov_b32 s31, exec_lo
                                        ; implicit-def: $sgpr17
	v_cmpx_eq_u16_e32 0x80, v57
; %bb.8723:                             ;   in Loop: Header=BB6_8048 Depth=3
	s_mov_b32 s17, 0x7f800001
	s_xor_b32 s13, exec_lo, -1
; %bb.8724:                             ;   in Loop: Header=BB6_8048 Depth=3
	s_or_b32 exec_lo, exec_lo, s31
	s_delay_alu instid0(SALU_CYCLE_1)
	s_and_b32 s13, s13, exec_lo
                                        ; implicit-def: $vgpr57
	s_or_saveexec_b32 s30, s30
	v_mov_b32_e32 v43, s17
	s_xor_b32 exec_lo, exec_lo, s30
	s_cbranch_execz .LBB6_8374
.LBB6_8725:                             ;   in Loop: Header=BB6_8048 Depth=3
	v_cmp_ne_u16_e32 vcc_lo, 0, v57
	v_mov_b32_e32 v43, 0
	s_and_not1_b32 s13, s13, exec_lo
	s_and_b32 s17, vcc_lo, exec_lo
	s_delay_alu instid0(SALU_CYCLE_1)
	s_or_b32 s13, s13, s17
	s_or_b32 exec_lo, exec_lo, s30
	s_and_saveexec_b32 s17, s13
	s_cbranch_execnz .LBB6_8375
	s_branch .LBB6_8376
.LBB6_8726:                             ;   in Loop: Header=BB6_8048 Depth=3
	s_mov_b32 s13, -1
	s_mov_b32 s31, exec_lo
                                        ; implicit-def: $sgpr17
	v_cmpx_eq_u16_e32 0x80, v46
; %bb.8727:                             ;   in Loop: Header=BB6_8048 Depth=3
	s_mov_b32 s17, 0x7f800001
	s_xor_b32 s13, exec_lo, -1
; %bb.8728:                             ;   in Loop: Header=BB6_8048 Depth=3
	s_or_b32 exec_lo, exec_lo, s31
	s_delay_alu instid0(SALU_CYCLE_1)
	s_and_b32 s13, s13, exec_lo
                                        ; implicit-def: $vgpr46
	s_or_saveexec_b32 s30, s30
	v_mov_b32_e32 v43, s17
	s_xor_b32 exec_lo, exec_lo, s30
	s_cbranch_execz .LBB6_8386
.LBB6_8729:                             ;   in Loop: Header=BB6_8048 Depth=3
	v_cmp_ne_u16_e32 vcc_lo, 0, v46
	v_mov_b32_e32 v43, 0
	s_and_not1_b32 s13, s13, exec_lo
	s_and_b32 s17, vcc_lo, exec_lo
	s_delay_alu instid0(SALU_CYCLE_1)
	s_or_b32 s13, s13, s17
	s_or_b32 exec_lo, exec_lo, s30
	s_and_saveexec_b32 s17, s13
	s_cbranch_execnz .LBB6_8387
	s_branch .LBB6_8388
.LBB6_8730:                             ;   in Loop: Header=BB6_8048 Depth=3
	s_mov_b32 s13, -1
	s_mov_b32 s31, exec_lo
                                        ; implicit-def: $sgpr17
	v_cmpx_eq_u16_e32 0x80, v46
; %bb.8731:                             ;   in Loop: Header=BB6_8048 Depth=3
	s_mov_b32 s17, 0x7f800001
	s_xor_b32 s13, exec_lo, -1
; %bb.8732:                             ;   in Loop: Header=BB6_8048 Depth=3
	s_or_b32 exec_lo, exec_lo, s31
	s_delay_alu instid0(SALU_CYCLE_1)
	s_and_b32 s13, s13, exec_lo
                                        ; implicit-def: $vgpr46
	s_or_saveexec_b32 s30, s30
	v_mov_b32_e32 v40, s17
	s_xor_b32 exec_lo, exec_lo, s30
	s_cbranch_execz .LBB6_8390
.LBB6_8733:                             ;   in Loop: Header=BB6_8048 Depth=3
	v_cmp_ne_u16_e32 vcc_lo, 0, v46
	v_mov_b32_e32 v40, 0
	s_and_not1_b32 s13, s13, exec_lo
	s_and_b32 s17, vcc_lo, exec_lo
	s_delay_alu instid0(SALU_CYCLE_1)
	s_or_b32 s13, s13, s17
	s_or_b32 exec_lo, exec_lo, s30
	s_and_saveexec_b32 s17, s13
	s_cbranch_execnz .LBB6_8391
	s_branch .LBB6_8392
.LBB6_8734:                             ;   in Loop: Header=BB6_8048 Depth=3
	s_mov_b32 s13, -1
	s_mov_b32 s31, exec_lo
                                        ; implicit-def: $sgpr17
	v_cmpx_eq_u16_e32 0x80, v43
; %bb.8735:                             ;   in Loop: Header=BB6_8048 Depth=3
	s_mov_b32 s17, 0x7f800001
	s_xor_b32 s13, exec_lo, -1
; %bb.8736:                             ;   in Loop: Header=BB6_8048 Depth=3
	s_or_b32 exec_lo, exec_lo, s31
	s_delay_alu instid0(SALU_CYCLE_1)
	s_and_b32 s13, s13, exec_lo
                                        ; implicit-def: $vgpr43
	s_or_saveexec_b32 s30, s30
	v_mov_b32_e32 v40, s17
	s_xor_b32 exec_lo, exec_lo, s30
	s_cbranch_execz .LBB6_8402
.LBB6_8737:                             ;   in Loop: Header=BB6_8048 Depth=3
	v_cmp_ne_u16_e32 vcc_lo, 0, v43
	v_mov_b32_e32 v40, 0
	s_and_not1_b32 s13, s13, exec_lo
	s_and_b32 s17, vcc_lo, exec_lo
	s_delay_alu instid0(SALU_CYCLE_1)
	s_or_b32 s13, s13, s17
	s_or_b32 exec_lo, exec_lo, s30
	s_and_saveexec_b32 s17, s13
	s_cbranch_execnz .LBB6_8403
	s_branch .LBB6_8404
.LBB6_8738:                             ;   in Loop: Header=BB6_8048 Depth=3
	s_mov_b32 s13, -1
	s_mov_b32 s31, exec_lo
                                        ; implicit-def: $sgpr17
	v_cmpx_eq_u16_e32 0x80, v43
; %bb.8739:                             ;   in Loop: Header=BB6_8048 Depth=3
	s_mov_b32 s17, 0x7f800001
	s_xor_b32 s13, exec_lo, -1
; %bb.8740:                             ;   in Loop: Header=BB6_8048 Depth=3
	s_or_b32 exec_lo, exec_lo, s31
	s_delay_alu instid0(SALU_CYCLE_1)
	s_and_b32 s13, s13, exec_lo
                                        ; implicit-def: $vgpr43
	s_or_saveexec_b32 s30, s30
	v_mov_b32_e32 v116, s17
	s_xor_b32 exec_lo, exec_lo, s30
	s_cbranch_execz .LBB6_8406
.LBB6_8741:                             ;   in Loop: Header=BB6_8048 Depth=3
	v_cmp_ne_u16_e32 vcc_lo, 0, v43
	v_mov_b32_e32 v116, 0
	s_and_not1_b32 s13, s13, exec_lo
	s_and_b32 s17, vcc_lo, exec_lo
	s_delay_alu instid0(SALU_CYCLE_1)
	s_or_b32 s13, s13, s17
	s_or_b32 exec_lo, exec_lo, s30
	s_and_saveexec_b32 s17, s13
	s_cbranch_execnz .LBB6_8407
	s_branch .LBB6_8408
.LBB6_8742:                             ;   in Loop: Header=BB6_8048 Depth=3
	s_mov_b32 s13, -1
	s_mov_b32 s31, exec_lo
                                        ; implicit-def: $sgpr17
	v_cmpx_eq_u16_e32 0x80, v40
; %bb.8743:                             ;   in Loop: Header=BB6_8048 Depth=3
	s_mov_b32 s17, 0x7f800001
	s_xor_b32 s13, exec_lo, -1
; %bb.8744:                             ;   in Loop: Header=BB6_8048 Depth=3
	s_or_b32 exec_lo, exec_lo, s31
	s_delay_alu instid0(SALU_CYCLE_1)
	s_and_b32 s13, s13, exec_lo
                                        ; implicit-def: $vgpr40
	s_or_saveexec_b32 s30, s30
	v_mov_b32_e32 v116, s17
	s_xor_b32 exec_lo, exec_lo, s30
	s_cbranch_execz .LBB6_8418
.LBB6_8745:                             ;   in Loop: Header=BB6_8048 Depth=3
	v_cmp_ne_u16_e32 vcc_lo, 0, v40
	v_mov_b32_e32 v116, 0
	s_and_not1_b32 s13, s13, exec_lo
	s_and_b32 s17, vcc_lo, exec_lo
	s_delay_alu instid0(SALU_CYCLE_1)
	s_or_b32 s13, s13, s17
	s_or_b32 exec_lo, exec_lo, s30
	s_and_saveexec_b32 s17, s13
	s_cbranch_execnz .LBB6_8419
	s_branch .LBB6_8420
.LBB6_8746:                             ;   in Loop: Header=BB6_8048 Depth=3
	s_mov_b32 s13, -1
	s_mov_b32 s31, exec_lo
                                        ; implicit-def: $sgpr17
	v_cmpx_eq_u16_e32 0x80, v40
; %bb.8747:                             ;   in Loop: Header=BB6_8048 Depth=3
	s_mov_b32 s17, 0x7f800001
	s_xor_b32 s13, exec_lo, -1
; %bb.8748:                             ;   in Loop: Header=BB6_8048 Depth=3
	s_or_b32 exec_lo, exec_lo, s31
	s_delay_alu instid0(SALU_CYCLE_1)
	s_and_b32 s13, s13, exec_lo
                                        ; implicit-def: $vgpr40
	s_or_saveexec_b32 s30, s30
	v_mov_b32_e32 v113, s17
	s_xor_b32 exec_lo, exec_lo, s30
	s_cbranch_execz .LBB6_8422
.LBB6_8749:                             ;   in Loop: Header=BB6_8048 Depth=3
	v_cmp_ne_u16_e32 vcc_lo, 0, v40
	v_mov_b32_e32 v113, 0
	s_and_not1_b32 s13, s13, exec_lo
	s_and_b32 s17, vcc_lo, exec_lo
	s_delay_alu instid0(SALU_CYCLE_1)
	s_or_b32 s13, s13, s17
	s_or_b32 exec_lo, exec_lo, s30
	s_and_saveexec_b32 s17, s13
	s_cbranch_execnz .LBB6_8423
	s_branch .LBB6_8424
.LBB6_8750:                             ;   in Loop: Header=BB6_8048 Depth=3
	s_mov_b32 s13, -1
	s_mov_b32 s31, exec_lo
                                        ; implicit-def: $sgpr17
	v_cmpx_eq_u16_e32 0x80, v116
; %bb.8751:                             ;   in Loop: Header=BB6_8048 Depth=3
	s_mov_b32 s17, 0x7f800001
	s_xor_b32 s13, exec_lo, -1
; %bb.8752:                             ;   in Loop: Header=BB6_8048 Depth=3
	s_or_b32 exec_lo, exec_lo, s31
	s_delay_alu instid0(SALU_CYCLE_1)
	s_and_b32 s13, s13, exec_lo
                                        ; implicit-def: $vgpr116
	s_or_saveexec_b32 s30, s30
	v_mov_b32_e32 v113, s17
	s_xor_b32 exec_lo, exec_lo, s30
	s_cbranch_execz .LBB6_8434
.LBB6_8753:                             ;   in Loop: Header=BB6_8048 Depth=3
	v_cmp_ne_u16_e32 vcc_lo, 0, v116
	v_mov_b32_e32 v113, 0
	s_and_not1_b32 s13, s13, exec_lo
	s_and_b32 s17, vcc_lo, exec_lo
	s_delay_alu instid0(SALU_CYCLE_1)
	s_or_b32 s13, s13, s17
	s_or_b32 exec_lo, exec_lo, s30
	s_and_saveexec_b32 s17, s13
	s_cbranch_execnz .LBB6_8435
	s_branch .LBB6_8436
.LBB6_8754:                             ;   in Loop: Header=BB6_8048 Depth=3
	s_mov_b32 s13, -1
	s_mov_b32 s31, exec_lo
                                        ; implicit-def: $sgpr17
	v_cmpx_eq_u16_e32 0x80, v116
; %bb.8755:                             ;   in Loop: Header=BB6_8048 Depth=3
	s_mov_b32 s17, 0x7f800001
	s_xor_b32 s13, exec_lo, -1
; %bb.8756:                             ;   in Loop: Header=BB6_8048 Depth=3
	s_or_b32 exec_lo, exec_lo, s31
	s_delay_alu instid0(SALU_CYCLE_1)
	s_and_b32 s13, s13, exec_lo
                                        ; implicit-def: $vgpr116
	s_or_saveexec_b32 s30, s30
	v_mov_b32_e32 v101, s17
	s_xor_b32 exec_lo, exec_lo, s30
	s_cbranch_execz .LBB6_8438
.LBB6_8757:                             ;   in Loop: Header=BB6_8048 Depth=3
	v_cmp_ne_u16_e32 vcc_lo, 0, v116
	v_mov_b32_e32 v101, 0
	s_and_not1_b32 s13, s13, exec_lo
	s_and_b32 s17, vcc_lo, exec_lo
	s_delay_alu instid0(SALU_CYCLE_1)
	s_or_b32 s13, s13, s17
	s_or_b32 exec_lo, exec_lo, s30
	s_and_saveexec_b32 s17, s13
	s_cbranch_execnz .LBB6_8439
	s_branch .LBB6_8440
.LBB6_8758:                             ;   in Loop: Header=BB6_8048 Depth=3
	s_mov_b32 s13, -1
	s_mov_b32 s31, exec_lo
                                        ; implicit-def: $sgpr17
	v_cmpx_eq_u16_e32 0x80, v113
; %bb.8759:                             ;   in Loop: Header=BB6_8048 Depth=3
	s_mov_b32 s17, 0x7f800001
	s_xor_b32 s13, exec_lo, -1
; %bb.8760:                             ;   in Loop: Header=BB6_8048 Depth=3
	s_or_b32 exec_lo, exec_lo, s31
	s_delay_alu instid0(SALU_CYCLE_1)
	s_and_b32 s13, s13, exec_lo
                                        ; implicit-def: $vgpr113
	s_or_saveexec_b32 s30, s30
	v_mov_b32_e32 v101, s17
	s_xor_b32 exec_lo, exec_lo, s30
	s_cbranch_execz .LBB6_8450
.LBB6_8761:                             ;   in Loop: Header=BB6_8048 Depth=3
	v_cmp_ne_u16_e32 vcc_lo, 0, v113
	v_mov_b32_e32 v101, 0
	s_and_not1_b32 s13, s13, exec_lo
	s_and_b32 s17, vcc_lo, exec_lo
	s_delay_alu instid0(SALU_CYCLE_1)
	s_or_b32 s13, s13, s17
	s_or_b32 exec_lo, exec_lo, s30
	s_and_saveexec_b32 s17, s13
	s_cbranch_execnz .LBB6_8451
	s_branch .LBB6_8452
.LBB6_8762:                             ;   in Loop: Header=BB6_8048 Depth=3
	s_mov_b32 s13, -1
	s_mov_b32 s31, exec_lo
                                        ; implicit-def: $sgpr17
	v_cmpx_eq_u16_e32 0x80, v113
; %bb.8763:                             ;   in Loop: Header=BB6_8048 Depth=3
	s_mov_b32 s17, 0x7f800001
	s_xor_b32 s13, exec_lo, -1
; %bb.8764:                             ;   in Loop: Header=BB6_8048 Depth=3
	s_or_b32 exec_lo, exec_lo, s31
	s_delay_alu instid0(SALU_CYCLE_1)
	s_and_b32 s13, s13, exec_lo
                                        ; implicit-def: $vgpr113
	s_or_saveexec_b32 s30, s30
	v_mov_b32_e32 v49, s17
	s_xor_b32 exec_lo, exec_lo, s30
	s_cbranch_execz .LBB6_8454
.LBB6_8765:                             ;   in Loop: Header=BB6_8048 Depth=3
	v_cmp_ne_u16_e32 vcc_lo, 0, v113
	v_mov_b32_e32 v49, 0
	s_and_not1_b32 s13, s13, exec_lo
	s_and_b32 s17, vcc_lo, exec_lo
	s_delay_alu instid0(SALU_CYCLE_1)
	s_or_b32 s13, s13, s17
	s_or_b32 exec_lo, exec_lo, s30
	s_and_saveexec_b32 s17, s13
	s_cbranch_execnz .LBB6_8455
	s_branch .LBB6_8456
.LBB6_8766:                             ;   in Loop: Header=BB6_8048 Depth=3
	s_mov_b32 s13, -1
	s_mov_b32 s31, exec_lo
                                        ; implicit-def: $sgpr17
	v_cmpx_eq_u16_e32 0x80, v101
; %bb.8767:                             ;   in Loop: Header=BB6_8048 Depth=3
	s_mov_b32 s17, 0x7f800001
	s_xor_b32 s13, exec_lo, -1
; %bb.8768:                             ;   in Loop: Header=BB6_8048 Depth=3
	s_or_b32 exec_lo, exec_lo, s31
	s_delay_alu instid0(SALU_CYCLE_1)
	s_and_b32 s13, s13, exec_lo
                                        ; implicit-def: $vgpr101
	s_or_saveexec_b32 s30, s30
	v_mov_b32_e32 v49, s17
	s_xor_b32 exec_lo, exec_lo, s30
	s_cbranch_execz .LBB6_8466
.LBB6_8769:                             ;   in Loop: Header=BB6_8048 Depth=3
	v_cmp_ne_u16_e32 vcc_lo, 0, v101
	v_mov_b32_e32 v49, 0
	s_and_not1_b32 s13, s13, exec_lo
	s_and_b32 s17, vcc_lo, exec_lo
	s_delay_alu instid0(SALU_CYCLE_1)
	s_or_b32 s13, s13, s17
	s_or_b32 exec_lo, exec_lo, s30
	s_and_saveexec_b32 s17, s13
	s_cbranch_execnz .LBB6_8467
	s_branch .LBB6_8468
.LBB6_8770:                             ;   in Loop: Header=BB6_8048 Depth=3
	s_mov_b32 s13, -1
	s_mov_b32 s31, exec_lo
                                        ; implicit-def: $sgpr17
	v_cmpx_eq_u16_e32 0x80, v101
; %bb.8771:                             ;   in Loop: Header=BB6_8048 Depth=3
	s_mov_b32 s17, 0x7f800001
	s_xor_b32 s13, exec_lo, -1
; %bb.8772:                             ;   in Loop: Header=BB6_8048 Depth=3
	s_or_b32 exec_lo, exec_lo, s31
	s_delay_alu instid0(SALU_CYCLE_1)
	s_and_b32 s13, s13, exec_lo
                                        ; implicit-def: $vgpr101
	s_or_saveexec_b32 s30, s30
	v_mov_b32_e32 v38, s17
	s_xor_b32 exec_lo, exec_lo, s30
	s_cbranch_execz .LBB6_8470
.LBB6_8773:                             ;   in Loop: Header=BB6_8048 Depth=3
	v_cmp_ne_u16_e32 vcc_lo, 0, v101
	v_mov_b32_e32 v38, 0
	s_and_not1_b32 s13, s13, exec_lo
	s_and_b32 s17, vcc_lo, exec_lo
	s_delay_alu instid0(SALU_CYCLE_1)
	s_or_b32 s13, s13, s17
	s_or_b32 exec_lo, exec_lo, s30
	s_and_saveexec_b32 s17, s13
	s_cbranch_execnz .LBB6_8471
	s_branch .LBB6_8472
.LBB6_8774:                             ;   in Loop: Header=BB6_8048 Depth=3
	s_mov_b32 s13, -1
	s_mov_b32 s31, exec_lo
                                        ; implicit-def: $sgpr17
	v_cmpx_eq_u16_e32 0x80, v49
; %bb.8775:                             ;   in Loop: Header=BB6_8048 Depth=3
	s_mov_b32 s17, 0x7f800001
	s_xor_b32 s13, exec_lo, -1
; %bb.8776:                             ;   in Loop: Header=BB6_8048 Depth=3
	s_or_b32 exec_lo, exec_lo, s31
	s_delay_alu instid0(SALU_CYCLE_1)
	s_and_b32 s13, s13, exec_lo
                                        ; implicit-def: $vgpr49
	s_or_saveexec_b32 s30, s30
	v_mov_b32_e32 v38, s17
	s_xor_b32 exec_lo, exec_lo, s30
	s_cbranch_execz .LBB6_8482
.LBB6_8777:                             ;   in Loop: Header=BB6_8048 Depth=3
	v_cmp_ne_u16_e32 vcc_lo, 0, v49
	v_mov_b32_e32 v38, 0
	s_and_not1_b32 s13, s13, exec_lo
	s_and_b32 s17, vcc_lo, exec_lo
	s_delay_alu instid0(SALU_CYCLE_1)
	s_or_b32 s13, s13, s17
	s_or_b32 exec_lo, exec_lo, s30
	s_and_saveexec_b32 s17, s13
	s_cbranch_execnz .LBB6_8483
	s_branch .LBB6_8484
.LBB6_8778:                             ;   in Loop: Header=BB6_8048 Depth=3
	s_mov_b32 s13, -1
	s_mov_b32 s31, exec_lo
                                        ; implicit-def: $sgpr17
	v_cmpx_eq_u16_e32 0x80, v49
; %bb.8779:                             ;   in Loop: Header=BB6_8048 Depth=3
	s_mov_b32 s17, 0x7f800001
	s_xor_b32 s13, exec_lo, -1
; %bb.8780:                             ;   in Loop: Header=BB6_8048 Depth=3
	s_or_b32 exec_lo, exec_lo, s31
	s_delay_alu instid0(SALU_CYCLE_1)
	s_and_b32 s13, s13, exec_lo
                                        ; implicit-def: $vgpr49
	s_or_saveexec_b32 s30, s30
	v_mov_b32_e32 v35, s17
	s_xor_b32 exec_lo, exec_lo, s30
	s_cbranch_execz .LBB6_8486
.LBB6_8781:                             ;   in Loop: Header=BB6_8048 Depth=3
	v_cmp_ne_u16_e32 vcc_lo, 0, v49
	v_mov_b32_e32 v35, 0
	s_and_not1_b32 s13, s13, exec_lo
	s_and_b32 s17, vcc_lo, exec_lo
	s_delay_alu instid0(SALU_CYCLE_1)
	s_or_b32 s13, s13, s17
	s_or_b32 exec_lo, exec_lo, s30
	s_and_saveexec_b32 s17, s13
	s_cbranch_execnz .LBB6_8487
	s_branch .LBB6_8488
.LBB6_8782:                             ;   in Loop: Header=BB6_8048 Depth=3
	s_mov_b32 s13, -1
	s_mov_b32 s31, exec_lo
                                        ; implicit-def: $sgpr17
	v_cmpx_eq_u16_e32 0x80, v38
; %bb.8783:                             ;   in Loop: Header=BB6_8048 Depth=3
	s_mov_b32 s17, 0x7f800001
	s_xor_b32 s13, exec_lo, -1
; %bb.8784:                             ;   in Loop: Header=BB6_8048 Depth=3
	s_or_b32 exec_lo, exec_lo, s31
	s_delay_alu instid0(SALU_CYCLE_1)
	s_and_b32 s13, s13, exec_lo
                                        ; implicit-def: $vgpr38
	s_or_saveexec_b32 s30, s30
	v_mov_b32_e32 v35, s17
	s_xor_b32 exec_lo, exec_lo, s30
	s_cbranch_execz .LBB6_8498
.LBB6_8785:                             ;   in Loop: Header=BB6_8048 Depth=3
	v_cmp_ne_u16_e32 vcc_lo, 0, v38
	v_mov_b32_e32 v35, 0
	s_and_not1_b32 s13, s13, exec_lo
	s_and_b32 s17, vcc_lo, exec_lo
	s_delay_alu instid0(SALU_CYCLE_1)
	s_or_b32 s13, s13, s17
	s_or_b32 exec_lo, exec_lo, s30
	s_and_saveexec_b32 s17, s13
	s_cbranch_execnz .LBB6_8499
	s_branch .LBB6_8500
.LBB6_8786:                             ;   in Loop: Header=BB6_8048 Depth=3
	s_mov_b32 s13, -1
	s_mov_b32 s31, exec_lo
                                        ; implicit-def: $sgpr17
	v_cmpx_eq_u16_e32 0x80, v38
; %bb.8787:                             ;   in Loop: Header=BB6_8048 Depth=3
	s_mov_b32 s17, 0x7f800001
	s_xor_b32 s13, exec_lo, -1
; %bb.8788:                             ;   in Loop: Header=BB6_8048 Depth=3
	s_or_b32 exec_lo, exec_lo, s31
	s_delay_alu instid0(SALU_CYCLE_1)
	s_and_b32 s13, s13, exec_lo
                                        ; implicit-def: $vgpr38
	s_or_saveexec_b32 s30, s30
	v_mov_b32_e32 v32, s17
	s_xor_b32 exec_lo, exec_lo, s30
	s_cbranch_execz .LBB6_8502
.LBB6_8789:                             ;   in Loop: Header=BB6_8048 Depth=3
	v_cmp_ne_u16_e32 vcc_lo, 0, v38
	v_mov_b32_e32 v32, 0
	s_and_not1_b32 s13, s13, exec_lo
	s_and_b32 s17, vcc_lo, exec_lo
	s_delay_alu instid0(SALU_CYCLE_1)
	s_or_b32 s13, s13, s17
	s_or_b32 exec_lo, exec_lo, s30
	s_and_saveexec_b32 s17, s13
	s_cbranch_execnz .LBB6_8503
	s_branch .LBB6_8504
.LBB6_8790:                             ;   in Loop: Header=BB6_8048 Depth=3
	s_mov_b32 s13, -1
	s_mov_b32 s31, exec_lo
                                        ; implicit-def: $sgpr17
	v_cmpx_eq_u16_e32 0x80, v35
; %bb.8791:                             ;   in Loop: Header=BB6_8048 Depth=3
	s_mov_b32 s17, 0x7f800001
	s_xor_b32 s13, exec_lo, -1
; %bb.8792:                             ;   in Loop: Header=BB6_8048 Depth=3
	s_or_b32 exec_lo, exec_lo, s31
	s_delay_alu instid0(SALU_CYCLE_1)
	s_and_b32 s13, s13, exec_lo
                                        ; implicit-def: $vgpr35
	s_or_saveexec_b32 s30, s30
	v_mov_b32_e32 v32, s17
	s_xor_b32 exec_lo, exec_lo, s30
	s_cbranch_execz .LBB6_8514
.LBB6_8793:                             ;   in Loop: Header=BB6_8048 Depth=3
	v_cmp_ne_u16_e32 vcc_lo, 0, v35
	v_mov_b32_e32 v32, 0
	s_and_not1_b32 s13, s13, exec_lo
	s_and_b32 s17, vcc_lo, exec_lo
	s_delay_alu instid0(SALU_CYCLE_1)
	s_or_b32 s13, s13, s17
	s_or_b32 exec_lo, exec_lo, s30
	s_and_saveexec_b32 s17, s13
	s_cbranch_execnz .LBB6_8515
	s_branch .LBB6_8516
.LBB6_8794:                             ;   in Loop: Header=BB6_8048 Depth=3
	s_mov_b32 s13, -1
	s_mov_b32 s31, exec_lo
                                        ; implicit-def: $sgpr17
	v_cmpx_eq_u16_e32 0x80, v35
; %bb.8795:                             ;   in Loop: Header=BB6_8048 Depth=3
	s_mov_b32 s17, 0x7f800001
	s_xor_b32 s13, exec_lo, -1
; %bb.8796:                             ;   in Loop: Header=BB6_8048 Depth=3
	s_or_b32 exec_lo, exec_lo, s31
	s_delay_alu instid0(SALU_CYCLE_1)
	s_and_b32 s13, s13, exec_lo
                                        ; implicit-def: $vgpr35
	s_or_saveexec_b32 s30, s30
	v_mov_b32_e32 v25, s17
	s_xor_b32 exec_lo, exec_lo, s30
	s_cbranch_execz .LBB6_8518
.LBB6_8797:                             ;   in Loop: Header=BB6_8048 Depth=3
	v_cmp_ne_u16_e32 vcc_lo, 0, v35
	v_mov_b32_e32 v25, 0
	s_and_not1_b32 s13, s13, exec_lo
	s_and_b32 s17, vcc_lo, exec_lo
	s_delay_alu instid0(SALU_CYCLE_1)
	s_or_b32 s13, s13, s17
	s_or_b32 exec_lo, exec_lo, s30
	s_and_saveexec_b32 s17, s13
	s_cbranch_execnz .LBB6_8519
	s_branch .LBB6_8520
.LBB6_8798:                             ;   in Loop: Header=BB6_8048 Depth=3
	s_mov_b32 s13, -1
	s_mov_b32 s31, exec_lo
                                        ; implicit-def: $sgpr17
	v_cmpx_eq_u16_e32 0x80, v32
; %bb.8799:                             ;   in Loop: Header=BB6_8048 Depth=3
	s_mov_b32 s17, 0x7f800001
	s_xor_b32 s13, exec_lo, -1
; %bb.8800:                             ;   in Loop: Header=BB6_8048 Depth=3
	s_or_b32 exec_lo, exec_lo, s31
	s_delay_alu instid0(SALU_CYCLE_1)
	s_and_b32 s13, s13, exec_lo
                                        ; implicit-def: $vgpr32
	s_or_saveexec_b32 s30, s30
	v_mov_b32_e32 v25, s17
	s_xor_b32 exec_lo, exec_lo, s30
	s_cbranch_execz .LBB6_8530
.LBB6_8801:                             ;   in Loop: Header=BB6_8048 Depth=3
	v_cmp_ne_u16_e32 vcc_lo, 0, v32
	v_mov_b32_e32 v25, 0
	s_and_not1_b32 s13, s13, exec_lo
	s_and_b32 s17, vcc_lo, exec_lo
	s_delay_alu instid0(SALU_CYCLE_1)
	s_or_b32 s13, s13, s17
	s_or_b32 exec_lo, exec_lo, s30
	s_and_saveexec_b32 s17, s13
	s_cbranch_execnz .LBB6_8531
	s_branch .LBB6_8532
.LBB6_8802:                             ;   in Loop: Header=BB6_8048 Depth=3
	s_mov_b32 s13, -1
	s_mov_b32 s31, exec_lo
                                        ; implicit-def: $sgpr17
	v_cmpx_eq_u16_e32 0x80, v32
; %bb.8803:                             ;   in Loop: Header=BB6_8048 Depth=3
	s_mov_b32 s17, 0x7f800001
	s_xor_b32 s13, exec_lo, -1
; %bb.8804:                             ;   in Loop: Header=BB6_8048 Depth=3
	s_or_b32 exec_lo, exec_lo, s31
	s_delay_alu instid0(SALU_CYCLE_1)
	s_and_b32 s13, s13, exec_lo
                                        ; implicit-def: $vgpr32
	s_or_saveexec_b32 s30, s30
	v_mov_b32_e32 v22, s17
	s_xor_b32 exec_lo, exec_lo, s30
	s_cbranch_execz .LBB6_8534
.LBB6_8805:                             ;   in Loop: Header=BB6_8048 Depth=3
	v_cmp_ne_u16_e32 vcc_lo, 0, v32
	v_mov_b32_e32 v22, 0
	s_and_not1_b32 s13, s13, exec_lo
	s_and_b32 s17, vcc_lo, exec_lo
	s_delay_alu instid0(SALU_CYCLE_1)
	s_or_b32 s13, s13, s17
	s_or_b32 exec_lo, exec_lo, s30
	s_and_saveexec_b32 s17, s13
	s_cbranch_execnz .LBB6_8535
	s_branch .LBB6_8536
.LBB6_8806:                             ;   in Loop: Header=BB6_8048 Depth=3
	s_mov_b32 s13, -1
	s_mov_b32 s31, exec_lo
                                        ; implicit-def: $sgpr17
	v_cmpx_eq_u16_e32 0x80, v25
; %bb.8807:                             ;   in Loop: Header=BB6_8048 Depth=3
	s_mov_b32 s17, 0x7f800001
	s_xor_b32 s13, exec_lo, -1
; %bb.8808:                             ;   in Loop: Header=BB6_8048 Depth=3
	s_or_b32 exec_lo, exec_lo, s31
	s_delay_alu instid0(SALU_CYCLE_1)
	s_and_b32 s13, s13, exec_lo
                                        ; implicit-def: $vgpr25
	s_or_saveexec_b32 s30, s30
	v_mov_b32_e32 v22, s17
	s_xor_b32 exec_lo, exec_lo, s30
	s_cbranch_execz .LBB6_8546
.LBB6_8809:                             ;   in Loop: Header=BB6_8048 Depth=3
	v_cmp_ne_u16_e32 vcc_lo, 0, v25
	v_mov_b32_e32 v22, 0
	s_and_not1_b32 s13, s13, exec_lo
	s_and_b32 s17, vcc_lo, exec_lo
	s_delay_alu instid0(SALU_CYCLE_1)
	s_or_b32 s13, s13, s17
	s_or_b32 exec_lo, exec_lo, s30
	s_and_saveexec_b32 s17, s13
	s_cbranch_execnz .LBB6_8547
	s_branch .LBB6_8548
.LBB6_8810:                             ;   in Loop: Header=BB6_8048 Depth=3
	s_mov_b32 s13, -1
	s_mov_b32 s31, exec_lo
                                        ; implicit-def: $sgpr17
	v_cmpx_eq_u16_e32 0x80, v25
; %bb.8811:                             ;   in Loop: Header=BB6_8048 Depth=3
	s_mov_b32 s17, 0x7f800001
	s_xor_b32 s13, exec_lo, -1
; %bb.8812:                             ;   in Loop: Header=BB6_8048 Depth=3
	s_or_b32 exec_lo, exec_lo, s31
	s_delay_alu instid0(SALU_CYCLE_1)
	s_and_b32 s13, s13, exec_lo
                                        ; implicit-def: $vgpr25
	s_or_saveexec_b32 s30, s30
	v_mov_b32_e32 v19, s17
	s_xor_b32 exec_lo, exec_lo, s30
	s_cbranch_execz .LBB6_8550
.LBB6_8813:                             ;   in Loop: Header=BB6_8048 Depth=3
	v_cmp_ne_u16_e32 vcc_lo, 0, v25
	v_mov_b32_e32 v19, 0
	s_and_not1_b32 s13, s13, exec_lo
	s_and_b32 s17, vcc_lo, exec_lo
	s_delay_alu instid0(SALU_CYCLE_1)
	s_or_b32 s13, s13, s17
	s_or_b32 exec_lo, exec_lo, s30
	s_and_saveexec_b32 s17, s13
	s_cbranch_execnz .LBB6_8551
	s_branch .LBB6_8552
.LBB6_8814:                             ;   in Loop: Header=BB6_3271 Depth=2
	s_or_b32 exec_lo, exec_lo, s16
.LBB6_8815:                             ;   in Loop: Header=BB6_3271 Depth=2
	s_delay_alu instid0(SALU_CYCLE_1) | instskip(SKIP_2) | instid1(VALU_DEP_1)
	s_or_b32 exec_lo, exec_lo, s15
	v_lshlrev_b32_e32 v8, 10, v17
	s_mov_b32 s15, exec_lo
	v_cmpx_ne_u32_e64 v15, v8
	s_cbranch_execz .LBB6_8844
; %bb.8816:                             ;   in Loop: Header=BB6_3271 Depth=2
	v_ashrrev_i32_e32 v9, 31, v16
	v_lshlrev_b32_e32 v2, 5, v2
	s_delay_alu instid0(VALU_DEP_2) | instskip(NEXT) | instid1(VALU_DEP_1)
	v_lshrrev_b32_e32 v9, 27, v9
	v_add_nc_u32_e32 v9, v16, v9
	s_delay_alu instid0(VALU_DEP_1) | instskip(NEXT) | instid1(VALU_DEP_1)
	v_and_b32_e32 v9, 0xffffffe0, v9
	v_sub_nc_u32_e32 v9, v16, v9
	s_delay_alu instid0(VALU_DEP_1) | instskip(NEXT) | instid1(VALU_DEP_1)
	v_sub_nc_u32_e32 v2, v9, v2
	v_add_nc_u32_e32 v8, v8, v2
	s_delay_alu instid0(VALU_DEP_1) | instskip(NEXT) | instid1(VALU_DEP_1)
	v_sub_nc_u32_e32 v2, v15, v8
	v_cmp_lt_i32_e32 vcc_lo, 0, v2
	s_and_b32 exec_lo, exec_lo, vcc_lo
	s_cbranch_execz .LBB6_8844
; %bb.8817:                             ;   in Loop: Header=BB6_3271 Depth=2
	s_cbranch_execnz .LBB6_9969
; %bb.8818:                             ;   in Loop: Header=BB6_3271 Depth=2
	ds_load_b128 v[9:12], v0
	ds_load_b64 v[15:16], v0
	v_add_nc_u32_e32 v13, v8, v14
	s_mov_b32 s16, 0
	s_delay_alu instid0(VALU_DEP_1) | instskip(SKIP_2) | instid1(VALU_DEP_2)
	v_ashrrev_i32_e32 v14, 31, v13
	s_waitcnt lgkmcnt(1)
	v_add_co_u32 v8, vcc_lo, v9, v13
	v_add_co_ci_u32_e32 v9, vcc_lo, v10, v14, vcc_lo
	v_add_co_u32 v10, vcc_lo, v11, v13
	v_add_co_ci_u32_e32 v11, vcc_lo, v12, v14, vcc_lo
	s_waitcnt lgkmcnt(0)
	v_add_co_u32 v12, vcc_lo, v15, v13
	v_add_co_ci_u32_e32 v13, vcc_lo, v16, v14, vcc_lo
	s_branch .LBB6_8822
.LBB6_8819:                             ;   in Loop: Header=BB6_8822 Depth=3
	s_or_b32 exec_lo, exec_lo, s13
	s_delay_alu instid0(VALU_DEP_1) | instskip(NEXT) | instid1(VALU_DEP_2)
	v_lshrrev_b32_e32 v16, 20, v16
	v_cmp_gt_i32_e32 vcc_lo, 16, v15
	v_min_i32_e32 v17, 15, v15
	v_lshrrev_b32_e32 v14, 24, v14
	s_delay_alu instid0(VALU_DEP_2) | instskip(NEXT) | instid1(VALU_DEP_2)
	v_dual_cndmask_b32 v16, 7, v16 :: v_dual_lshlrev_b32 v17, 3, v17
	v_and_b32_e32 v14, 0x80, v14
	s_delay_alu instid0(VALU_DEP_2) | instskip(NEXT) | instid1(VALU_DEP_1)
	v_or_b32_e32 v15, v15, v16
	v_cmp_ne_u32_e32 vcc_lo, 0, v15
	v_and_b32_e32 v18, 7, v16
	s_delay_alu instid0(VALU_DEP_1) | instskip(NEXT) | instid1(VALU_DEP_1)
	v_or3_b32 v14, v17, v14, v18
	v_cndmask_b32_e32 v15, 0, v14, vcc_lo
.LBB6_8820:                             ;   in Loop: Header=BB6_8822 Depth=3
	s_or_b32 exec_lo, exec_lo, s30
.LBB6_8821:                             ;   in Loop: Header=BB6_8822 Depth=3
	s_delay_alu instid0(SALU_CYCLE_1)
	s_or_b32 exec_lo, exec_lo, s17
	v_add_co_u32 v8, vcc_lo, v8, v162
	v_sub_nc_u32_e32 v2, v2, v147
	v_add_co_ci_u32_e32 v9, vcc_lo, v9, v163, vcc_lo
	v_add_co_u32 v10, vcc_lo, v10, v162
	v_add_co_ci_u32_e32 v11, vcc_lo, v11, v163, vcc_lo
	flat_store_b8 v[12:13], v15 glc slc dlc
	v_cmp_gt_i32_e32 vcc_lo, 1, v2
	v_add_co_u32 v12, s13, v12, v162
	s_delay_alu instid0(VALU_DEP_1) | instskip(SKIP_1) | instid1(SALU_CYCLE_1)
	v_add_co_ci_u32_e64 v13, s13, v13, v163, s13
	s_or_b32 s16, vcc_lo, s16
	s_and_not1_b32 exec_lo, exec_lo, s16
	s_cbranch_execz .LBB6_8844
.LBB6_8822:                             ;   Parent Loop BB6_51 Depth=1
                                        ;     Parent Loop BB6_3271 Depth=2
                                        ; =>    This Inner Loop Header: Depth=3
	flat_load_u8 v16, v[8:9] slc dlc
	flat_load_u8 v14, v[10:11] slc dlc
	s_mov_b32 s13, 0
	s_mov_b32 s30, exec_lo
                                        ; implicit-def: $sgpr17
	s_waitcnt vmcnt(1) lgkmcnt(1)
	v_cmpx_lt_i16_e32 0x7f, v16
	s_xor_b32 s30, exec_lo, s30
	s_cbranch_execnz .LBB6_8836
; %bb.8823:                             ;   in Loop: Header=BB6_8822 Depth=3
	s_or_saveexec_b32 s30, s30
	v_mov_b32_e32 v15, s17
	s_xor_b32 exec_lo, exec_lo, s30
	s_cbranch_execnz .LBB6_8839
.LBB6_8824:                             ;   in Loop: Header=BB6_8822 Depth=3
	s_or_b32 exec_lo, exec_lo, s30
	s_and_saveexec_b32 s17, s13
	s_cbranch_execz .LBB6_8826
.LBB6_8825:                             ;   in Loop: Header=BB6_8822 Depth=3
	v_and_b32_e32 v15, 0xffff, v16
	s_delay_alu instid0(VALU_DEP_1) | instskip(NEXT) | instid1(VALU_DEP_1)
	v_and_b32_e32 v17, 7, v15
	v_clz_i32_u32_e32 v18, v17
	s_delay_alu instid0(VALU_DEP_1) | instskip(NEXT) | instid1(VALU_DEP_1)
	v_min_u32_e32 v18, 32, v18
	v_subrev_nc_u32_e32 v19, 28, v18
	v_sub_nc_u32_e32 v18, 29, v18
	s_delay_alu instid0(VALU_DEP_2) | instskip(SKIP_1) | instid1(VALU_DEP_2)
	v_lshlrev_b32_e32 v19, v19, v15
	v_bfe_u32 v15, v15, 3, 4
	v_and_b32_e32 v19, 7, v19
	s_delay_alu instid0(VALU_DEP_2) | instskip(SKIP_1) | instid1(VALU_DEP_1)
	v_cmp_eq_u32_e32 vcc_lo, 0, v15
	v_dual_cndmask_b32 v15, v15, v18 :: v_dual_lshlrev_b32 v16, 24, v16
	v_dual_cndmask_b32 v17, v17, v19 :: v_dual_and_b32 v16, 0x80000000, v16
	s_delay_alu instid0(VALU_DEP_2) | instskip(NEXT) | instid1(VALU_DEP_2)
	v_lshl_add_u32 v15, v15, 23, 0x3b800000
	v_lshlrev_b32_e32 v17, 20, v17
	s_delay_alu instid0(VALU_DEP_1)
	v_or3_b32 v15, v16, v15, v17
.LBB6_8826:                             ;   in Loop: Header=BB6_8822 Depth=3
	s_or_b32 exec_lo, exec_lo, s17
	s_waitcnt vmcnt(0) lgkmcnt(0)
	v_and_b32_e32 v17, 0xff, v14
	s_mov_b32 s13, 0
	s_mov_b32 s30, exec_lo
                                        ; implicit-def: $sgpr17
	s_delay_alu instid0(VALU_DEP_1)
	v_cmpx_lt_i16_e32 0x7f, v17
	s_xor_b32 s30, exec_lo, s30
	s_cbranch_execnz .LBB6_8840
; %bb.8827:                             ;   in Loop: Header=BB6_8822 Depth=3
	s_or_saveexec_b32 s30, s30
	v_mov_b32_e32 v16, s17
	s_xor_b32 exec_lo, exec_lo, s30
	s_cbranch_execnz .LBB6_8843
.LBB6_8828:                             ;   in Loop: Header=BB6_8822 Depth=3
	s_or_b32 exec_lo, exec_lo, s30
	s_and_saveexec_b32 s17, s13
	s_cbranch_execz .LBB6_8830
.LBB6_8829:                             ;   in Loop: Header=BB6_8822 Depth=3
	v_lshrrev_b16 v19, 3, v14
	s_delay_alu instid0(VALU_DEP_1) | instskip(NEXT) | instid1(VALU_DEP_1)
	v_and_b32_e32 v19, 15, v19
	v_cmp_eq_u32_e32 vcc_lo, 0, v19
	v_and_b32_e32 v16, 7, v14
	s_delay_alu instid0(VALU_DEP_1) | instskip(NEXT) | instid1(VALU_DEP_1)
	v_clz_i32_u32_e32 v17, v16
	v_min_u32_e32 v17, 32, v17
	s_delay_alu instid0(VALU_DEP_1) | instskip(SKIP_1) | instid1(VALU_DEP_1)
	v_subrev_nc_u32_e32 v18, 28, v17
	v_sub_nc_u32_e32 v17, 29, v17
	v_dual_cndmask_b32 v17, v19, v17 :: v_dual_lshlrev_b32 v18, v18, v14
	v_lshlrev_b32_e32 v14, 24, v14
	s_delay_alu instid0(VALU_DEP_2) | instskip(NEXT) | instid1(VALU_DEP_3)
	v_and_b32_e32 v18, 7, v18
	v_lshl_add_u32 v17, v17, 23, 0x3b800000
	s_delay_alu instid0(VALU_DEP_3) | instskip(NEXT) | instid1(VALU_DEP_3)
	v_and_b32_e32 v14, 0x80000000, v14
	v_cndmask_b32_e32 v16, v16, v18, vcc_lo
	s_delay_alu instid0(VALU_DEP_1) | instskip(NEXT) | instid1(VALU_DEP_1)
	v_lshlrev_b32_e32 v16, 20, v16
	v_or3_b32 v16, v14, v17, v16
.LBB6_8830:                             ;   in Loop: Header=BB6_8822 Depth=3
	s_or_b32 exec_lo, exec_lo, s17
	s_delay_alu instid0(VALU_DEP_1) | instskip(NEXT) | instid1(VALU_DEP_1)
	v_add_f32_e32 v14, v15, v16
	v_and_b32_e32 v15, 0x7f800000, v14
	s_delay_alu instid0(VALU_DEP_1)
	v_cmp_ne_u32_e32 vcc_lo, 0x7f800000, v15
	v_mov_b32_e32 v15, 0x80
	s_and_saveexec_b32 s17, vcc_lo
	s_cbranch_execz .LBB6_8821
; %bb.8831:                             ;   in Loop: Header=BB6_8822 Depth=3
	v_mov_b32_e32 v15, 0
	s_mov_b32 s30, exec_lo
	v_cmpx_ne_u32_e32 0, v14
	s_cbranch_execz .LBB6_8820
; %bb.8832:                             ;   in Loop: Header=BB6_8822 Depth=3
	v_bfe_u32 v15, v14, 23, 8
	s_delay_alu instid0(VALU_DEP_1) | instskip(SKIP_1) | instid1(VALU_DEP_2)
	v_sub_nc_u32_e32 v17, 0x78, v15
	v_cmp_gt_u32_e32 vcc_lo, 0x79, v15
	v_dual_cndmask_b32 v17, 0, v17 :: v_dual_and_b32 v16, 0x7fffff, v14
	s_delay_alu instid0(VALU_DEP_1) | instskip(SKIP_2) | instid1(VALU_DEP_4)
	v_or_b32_e32 v18, 0x800000, v16
	v_cmp_eq_u32_e32 vcc_lo, 0, v15
	v_add_nc_u32_e32 v15, 0xffffff89, v15
	v_cndmask_b32_e64 v17, v17, 0x77, vcc_lo
	s_delay_alu instid0(VALU_DEP_4) | instskip(NEXT) | instid1(VALU_DEP_3)
	v_cndmask_b32_e32 v16, v18, v16, vcc_lo
	v_cndmask_b32_e64 v15, v15, 0xffffff8a, vcc_lo
	s_delay_alu instid0(VALU_DEP_3) | instskip(NEXT) | instid1(VALU_DEP_3)
	v_lshl_add_u32 v18, 0x100000, v17, -1
	v_lshrrev_b32_e32 v19, v17, v16
	v_lshlrev_b32_e64 v21, v17, 0x80000
	s_delay_alu instid0(VALU_DEP_4) | instskip(NEXT) | instid1(VALU_DEP_4)
	v_add_nc_u32_e32 v17, v17, v15
	v_and_b32_e32 v16, v18, v16
	s_delay_alu instid0(VALU_DEP_4) | instskip(NEXT) | instid1(VALU_DEP_2)
	v_bfe_u32 v20, v19, 20, 1
	v_cmp_eq_u32_e64 s13, v16, v21
	s_delay_alu instid0(VALU_DEP_2) | instskip(NEXT) | instid1(VALU_DEP_1)
	v_add_nc_u32_e32 v18, -1, v20
	v_cndmask_b32_e64 v16, 0, v18, s13
	v_lshrrev_b32_e32 v18, 23, v19
	s_mov_b32 s13, exec_lo
	s_delay_alu instid0(VALU_DEP_2) | instskip(NEXT) | instid1(VALU_DEP_2)
	v_add_nc_u32_e32 v16, v16, v19
	v_xor_b32_e32 v18, 1, v18
	s_delay_alu instid0(VALU_DEP_2) | instskip(NEXT) | instid1(VALU_DEP_1)
	v_and_b32_e32 v15, 0xfffff, v16
	v_add_nc_u32_e32 v16, v15, v19
                                        ; implicit-def: $vgpr15
	s_delay_alu instid0(VALU_DEP_3)
	v_cmpx_ne_u32_e64 v17, v18
	s_xor_b32 s13, exec_lo, s13
; %bb.8833:                             ;   in Loop: Header=BB6_8822 Depth=3
	s_delay_alu instid0(VALU_DEP_2) | instskip(SKIP_2) | instid1(VALU_DEP_2)
	v_cmp_lt_u32_e32 vcc_lo, 0xffffff, v16
	v_sub_nc_u32_e32 v15, v17, v18
	v_cndmask_b32_e64 v17, 0, 1, vcc_lo
	v_add_co_ci_u32_e32 v15, vcc_lo, 0, v15, vcc_lo
	s_delay_alu instid0(VALU_DEP_2)
	v_lshrrev_b32_e32 v16, v17, v16
; %bb.8834:                             ;   in Loop: Header=BB6_8822 Depth=3
	s_and_not1_saveexec_b32 s13, s13
	s_cbranch_execz .LBB6_8819
; %bb.8835:                             ;   in Loop: Header=BB6_8822 Depth=3
	s_delay_alu instid0(VALU_DEP_1)
	v_bfe_u32 v15, v16, 23, 1
	s_branch .LBB6_8819
.LBB6_8836:                             ;   in Loop: Header=BB6_8822 Depth=3
	s_mov_b32 s13, -1
	s_mov_b32 s31, exec_lo
                                        ; implicit-def: $sgpr17
	v_cmpx_eq_u16_e32 0x80, v16
; %bb.8837:                             ;   in Loop: Header=BB6_8822 Depth=3
	s_mov_b32 s17, 0x7f800001
	s_xor_b32 s13, exec_lo, -1
; %bb.8838:                             ;   in Loop: Header=BB6_8822 Depth=3
	s_or_b32 exec_lo, exec_lo, s31
	s_delay_alu instid0(SALU_CYCLE_1)
	s_and_b32 s13, s13, exec_lo
	s_or_saveexec_b32 s30, s30
	v_mov_b32_e32 v15, s17
	s_xor_b32 exec_lo, exec_lo, s30
	s_cbranch_execz .LBB6_8824
.LBB6_8839:                             ;   in Loop: Header=BB6_8822 Depth=3
	v_cmp_ne_u16_e32 vcc_lo, 0, v16
	v_mov_b32_e32 v15, 0
	s_and_not1_b32 s13, s13, exec_lo
	s_and_b32 s17, vcc_lo, exec_lo
	s_delay_alu instid0(SALU_CYCLE_1)
	s_or_b32 s13, s13, s17
	s_or_b32 exec_lo, exec_lo, s30
	s_and_saveexec_b32 s17, s13
	s_cbranch_execnz .LBB6_8825
	s_branch .LBB6_8826
.LBB6_8840:                             ;   in Loop: Header=BB6_8822 Depth=3
	s_mov_b32 s13, -1
	s_mov_b32 s31, exec_lo
                                        ; implicit-def: $sgpr17
	v_cmpx_eq_u16_e32 0x80, v17
; %bb.8841:                             ;   in Loop: Header=BB6_8822 Depth=3
	s_mov_b32 s17, 0x7f800001
	s_xor_b32 s13, exec_lo, -1
; %bb.8842:                             ;   in Loop: Header=BB6_8822 Depth=3
	s_or_b32 exec_lo, exec_lo, s31
	s_delay_alu instid0(SALU_CYCLE_1)
	s_and_b32 s13, s13, exec_lo
                                        ; implicit-def: $vgpr17
	s_or_saveexec_b32 s30, s30
	v_mov_b32_e32 v16, s17
	s_xor_b32 exec_lo, exec_lo, s30
	s_cbranch_execz .LBB6_8828
.LBB6_8843:                             ;   in Loop: Header=BB6_8822 Depth=3
	v_cmp_ne_u16_e32 vcc_lo, 0, v17
	v_mov_b32_e32 v16, 0
	s_and_not1_b32 s13, s13, exec_lo
	s_and_b32 s17, vcc_lo, exec_lo
	s_delay_alu instid0(SALU_CYCLE_1)
	s_or_b32 s13, s13, s17
	s_or_b32 exec_lo, exec_lo, s30
	s_and_saveexec_b32 s17, s13
	s_cbranch_execnz .LBB6_8829
	s_branch .LBB6_8830
.LBB6_8844:                             ;   in Loop: Header=BB6_3271 Depth=2
	s_or_b32 exec_lo, exec_lo, s15
.LBB6_8845:                             ;   in Loop: Header=BB6_3271 Depth=2
	s_delay_alu instid0(SALU_CYCLE_1)
	s_or_b32 exec_lo, exec_lo, s14
.LBB6_8846:                             ;   in Loop: Header=BB6_3271 Depth=2
	s_and_saveexec_b32 s13, s3
	s_cbranch_execz .LBB6_8868
; %bb.8847:                             ;   in Loop: Header=BB6_3271 Depth=2
	s_and_saveexec_b32 s14, s4
	s_delay_alu instid0(SALU_CYCLE_1)
	s_xor_b32 s14, exec_lo, s14
	s_cbranch_execz .LBB6_8865
; %bb.8848:                             ;   in Loop: Header=BB6_3271 Depth=2
	s_and_saveexec_b32 s15, s1
	s_cbranch_execz .LBB6_8864
; %bb.8849:                             ;   in Loop: Header=BB6_3271 Depth=2
	s_mov_b32 s17, exec_lo
	s_mov_b32 s16, exec_lo
	v_mbcnt_lo_u32_b32 v2, s17, 0
	s_waitcnt lgkmcnt(0)
	s_waitcnt_vscnt null, 0x0
	buffer_gl1_inv
	buffer_gl0_inv
	v_cmpx_eq_u32_e32 0, v2
	s_cbranch_execz .LBB6_8851
; %bb.8850:                             ;   in Loop: Header=BB6_3271 Depth=2
	s_bcnt1_i32_b32 s17, s17
	s_delay_alu instid0(SALU_CYCLE_1)
	v_mov_b32_e32 v2, s17
	ds_add_u64 v0, v[2:3]
	s_cbranch_execnz .LBB6_9873
.LBB6_8851:                             ;   in Loop: Header=BB6_3271 Depth=2
	s_or_b32 exec_lo, exec_lo, s16
	s_cbranch_execnz .LBB6_9845
; %bb.8852:                             ;   in Loop: Header=BB6_3271 Depth=2
	ds_load_b64 v[8:9], v0
	v_add_co_u32 v80, vcc_lo, v80, v129
	v_add_co_ci_u32_e32 v81, vcc_lo, 0, v81, vcc_lo
	s_mov_b32 s16, exec_lo
	s_waitcnt lgkmcnt(0)
	s_delay_alu instid0(VALU_DEP_1)
	v_cmpx_lt_u64_e64 v[8:9], v[80:81]
	s_cbranch_execz .LBB6_8863
; %bb.8853:                             ;   in Loop: Header=BB6_3271 Depth=2
	s_mov_b32 s17, 0
	s_mov_b32 s34, 0
                                        ; implicit-def: $sgpr30
                                        ; implicit-def: $sgpr31
	s_branch .LBB6_8855
.LBB6_8854:                             ;   in Loop: Header=BB6_8855 Depth=3
	s_or_b32 exec_lo, exec_lo, s36
	s_delay_alu instid0(SALU_CYCLE_1) | instskip(NEXT) | instid1(SALU_CYCLE_1)
	s_and_b32 vcc_lo, exec_lo, vcc_lo
	s_or_b32 s17, vcc_lo, s17
	s_and_not1_b32 vcc_lo, s30, exec_lo
	s_and_b32 s30, s31, exec_lo
	s_delay_alu instid0(SALU_CYCLE_1)
	s_or_b32 s30, vcc_lo, s30
	s_and_not1_b32 exec_lo, exec_lo, s17
	s_cbranch_execz .LBB6_8861
.LBB6_8855:                             ;   Parent Loop BB6_51 Depth=1
                                        ;     Parent Loop BB6_3271 Depth=2
                                        ; =>    This Inner Loop Header: Depth=3
	s_add_i32 s34, s34, 1
                                        ; implicit-def: $sgpr36
	s_delay_alu instid0(SALU_CYCLE_1) | instskip(SKIP_1) | instid1(SALU_CYCLE_1)
	s_cmpk_lg_i32 s34, 0x2710
	s_cselect_b32 s35, -1, 0
	s_and_b32 vcc_lo, exec_lo, s35
	s_cbranch_vccz .LBB6_8859
.LBB6_8856:                             ;   in Loop: Header=BB6_8855 Depth=3
	s_and_not1_b32 s31, s31, exec_lo
	s_and_b32 s36, s36, exec_lo
	s_mov_b32 vcc_lo, -1
	s_or_b32 s31, s31, s36
	s_and_saveexec_b32 s36, s35
	s_cbranch_execz .LBB6_8854
; %bb.8857:                             ;   in Loop: Header=BB6_8855 Depth=3
	s_sleep 1
	s_cbranch_execnz .LBB6_9925
; %bb.8858:                             ;   in Loop: Header=BB6_8855 Depth=3
	ds_load_b64 v[8:9], v0
	s_and_not1_b32 s31, s31, exec_lo
	s_waitcnt lgkmcnt(0)
	v_cmp_ge_u64_e32 vcc_lo, v[8:9], v[80:81]
	s_or_not1_b32 vcc_lo, vcc_lo, exec_lo
	s_branch .LBB6_8854
.LBB6_8859:                             ;   in Loop: Header=BB6_8855 Depth=3
	s_cbranch_execnz .LBB6_9943
; %bb.8860:                             ;   in Loop: Header=BB6_8855 Depth=3
	ds_load_b64 v[8:9], v0
	s_and_not1_b32 s35, s35, exec_lo
	s_mov_b32 s34, 0
	s_mov_b32 s36, -1
	s_waitcnt lgkmcnt(0)
	flat_load_b32 v2, v[8:9] glc
	s_waitcnt vmcnt(0) lgkmcnt(0)
	buffer_gl1_inv
	buffer_gl0_inv
	v_cmp_eq_u32_e32 vcc_lo, 0, v2
	s_and_b32 vcc_lo, vcc_lo, exec_lo
	s_delay_alu instid0(SALU_CYCLE_1)
	s_or_b32 s35, s35, vcc_lo
	s_branch .LBB6_8856
.LBB6_8861:                             ;   in Loop: Header=BB6_3271 Depth=2
	s_or_b32 exec_lo, exec_lo, s17
	s_and_saveexec_b32 s17, s30
	s_delay_alu instid0(SALU_CYCLE_1)
	s_xor_b32 s17, exec_lo, s17
	s_cbranch_execz .LBB6_8863
; %bb.8862:                             ;   in Loop: Header=BB6_3271 Depth=2
	ds_store_b32 v0, v176
	s_cbranch_execnz .LBB6_10049
.LBB6_8863:                             ;   in Loop: Header=BB6_3271 Depth=2
	s_or_b32 exec_lo, exec_lo, s16
	;;#ASMSTART
	s_wakeup
	;;#ASMEND
.LBB6_8864:                             ;   in Loop: Header=BB6_3271 Depth=2
	s_or_b32 exec_lo, exec_lo, s15
.LBB6_8865:                             ;   in Loop: Header=BB6_3271 Depth=2
	s_and_not1_saveexec_b32 s14, s14
	s_cbranch_execz .LBB6_8867
; %bb.8866:                             ;   in Loop: Header=BB6_3271 Depth=2
	s_waitcnt lgkmcnt(0)
	s_waitcnt_vscnt null, 0x0
	buffer_gl1_inv
	buffer_gl0_inv
	s_barrier
.LBB6_8867:                             ;   in Loop: Header=BB6_3271 Depth=2
	s_or_b32 exec_lo, exec_lo, s14
.LBB6_8868:                             ;   in Loop: Header=BB6_3271 Depth=2
	s_delay_alu instid0(SALU_CYCLE_1) | instskip(SKIP_1) | instid1(SALU_CYCLE_1)
	s_or_b32 exec_lo, exec_lo, s13
                                        ; implicit-def: $vgpr2
	s_and_saveexec_b32 s13, s7
	s_xor_b32 s14, exec_lo, s13
	s_cbranch_execz .LBB6_8872
; %bb.8869:                             ;   in Loop: Header=BB6_3271 Depth=2
	v_and_b32_e32 v2, 16, v30
	v_cmp_lt_i32_e32 vcc_lo, 0, v182
	s_delay_alu instid0(VALU_DEP_2) | instskip(SKIP_1) | instid1(VALU_DEP_2)
	v_cmp_ne_u32_e64 s13, 0, v2
	v_and_b32_e32 v2, 16, v30
	s_and_b32 s15, s13, vcc_lo
	s_delay_alu instid0(SALU_CYCLE_1)
	s_and_saveexec_b32 s13, s15
	s_cbranch_execz .LBB6_8871
; %bb.8870:                             ;   in Loop: Header=BB6_3271 Depth=2
	v_mov_b32_e32 v2, 1
	s_waitcnt lgkmcnt(0)
	s_waitcnt_vscnt null, 0x0
	buffer_gl1_inv
	buffer_gl0_inv
.LBB6_8871:                             ;   in Loop: Header=BB6_3271 Depth=2
	s_or_b32 exec_lo, exec_lo, s13
.LBB6_8872:                             ;   in Loop: Header=BB6_3271 Depth=2
	s_and_not1_saveexec_b32 s13, s14
	s_cbranch_execz .LBB6_8894
; %bb.8873:                             ;   in Loop: Header=BB6_3271 Depth=2
	s_and_saveexec_b32 s14, s4
	s_delay_alu instid0(SALU_CYCLE_1)
	s_xor_b32 s14, exec_lo, s14
	s_cbranch_execz .LBB6_8891
; %bb.8874:                             ;   in Loop: Header=BB6_3271 Depth=2
	s_and_saveexec_b32 s15, s1
	s_cbranch_execz .LBB6_8890
; %bb.8875:                             ;   in Loop: Header=BB6_3271 Depth=2
	s_mov_b32 s17, exec_lo
	s_mov_b32 s16, exec_lo
	v_mbcnt_lo_u32_b32 v2, s17, 0
	;;#ASMSTART
	s_waitcnt lgkmcnt(0) vmcnt(0)
	;;#ASMEND
	s_delay_alu instid0(VALU_DEP_1)
	v_cmpx_eq_u32_e32 0, v2
	s_cbranch_execz .LBB6_8877
; %bb.8876:                             ;   in Loop: Header=BB6_3271 Depth=2
	s_bcnt1_i32_b32 s17, s17
	s_delay_alu instid0(SALU_CYCLE_1)
	v_mov_b32_e32 v2, s17
	ds_add_u64 v0, v[2:3]
	s_cbranch_execnz .LBB6_9877
.LBB6_8877:                             ;   in Loop: Header=BB6_3271 Depth=2
	s_or_b32 exec_lo, exec_lo, s16
	s_cbranch_execnz .LBB6_9853
; %bb.8878:                             ;   in Loop: Header=BB6_3271 Depth=2
	ds_load_b64 v[8:9], v0
	v_add_co_u32 v80, vcc_lo, v80, v129
	v_add_co_ci_u32_e32 v81, vcc_lo, 0, v81, vcc_lo
	s_mov_b32 s16, exec_lo
	s_waitcnt lgkmcnt(0)
	s_delay_alu instid0(VALU_DEP_1)
	v_cmpx_lt_u64_e64 v[8:9], v[80:81]
	s_cbranch_execz .LBB6_8889
; %bb.8879:                             ;   in Loop: Header=BB6_3271 Depth=2
	s_mov_b32 s17, 0
	s_mov_b32 s34, 0
                                        ; implicit-def: $sgpr30
                                        ; implicit-def: $sgpr31
	s_branch .LBB6_8881
.LBB6_8880:                             ;   in Loop: Header=BB6_8881 Depth=3
	s_or_b32 exec_lo, exec_lo, s36
	s_delay_alu instid0(SALU_CYCLE_1) | instskip(NEXT) | instid1(SALU_CYCLE_1)
	s_and_b32 vcc_lo, exec_lo, vcc_lo
	s_or_b32 s17, vcc_lo, s17
	s_and_not1_b32 vcc_lo, s30, exec_lo
	s_and_b32 s30, s31, exec_lo
	s_delay_alu instid0(SALU_CYCLE_1)
	s_or_b32 s30, vcc_lo, s30
	s_and_not1_b32 exec_lo, exec_lo, s17
	s_cbranch_execz .LBB6_8887
.LBB6_8881:                             ;   Parent Loop BB6_51 Depth=1
                                        ;     Parent Loop BB6_3271 Depth=2
                                        ; =>    This Inner Loop Header: Depth=3
	s_add_i32 s34, s34, 1
                                        ; implicit-def: $sgpr36
	s_delay_alu instid0(SALU_CYCLE_1) | instskip(SKIP_1) | instid1(SALU_CYCLE_1)
	s_cmpk_lg_i32 s34, 0x2710
	s_cselect_b32 s35, -1, 0
	s_and_b32 vcc_lo, exec_lo, s35
	s_cbranch_vccz .LBB6_8885
.LBB6_8882:                             ;   in Loop: Header=BB6_8881 Depth=3
	s_and_not1_b32 s31, s31, exec_lo
	s_and_b32 s36, s36, exec_lo
	s_mov_b32 vcc_lo, -1
	s_or_b32 s31, s31, s36
	s_and_saveexec_b32 s36, s35
	s_cbranch_execz .LBB6_8880
; %bb.8883:                             ;   in Loop: Header=BB6_8881 Depth=3
	s_sleep 1
	s_cbranch_execnz .LBB6_9935
; %bb.8884:                             ;   in Loop: Header=BB6_8881 Depth=3
	ds_load_b64 v[8:9], v0
	s_and_not1_b32 s31, s31, exec_lo
	s_waitcnt lgkmcnt(0)
	v_cmp_ge_u64_e32 vcc_lo, v[8:9], v[80:81]
	s_or_not1_b32 vcc_lo, vcc_lo, exec_lo
	s_branch .LBB6_8880
.LBB6_8885:                             ;   in Loop: Header=BB6_8881 Depth=3
	s_cbranch_execnz .LBB6_9951
; %bb.8886:                             ;   in Loop: Header=BB6_8881 Depth=3
	ds_load_b64 v[8:9], v0
	s_and_not1_b32 s35, s35, exec_lo
	s_mov_b32 s34, 0
	s_mov_b32 s36, -1
	s_waitcnt lgkmcnt(0)
	s_waitcnt_vscnt null, 0x0
	flat_load_b32 v2, v[8:9] glc
	s_waitcnt vmcnt(0) lgkmcnt(0)
	buffer_gl1_inv
	buffer_gl0_inv
	v_cmp_eq_u32_e32 vcc_lo, 0, v2
	s_and_b32 vcc_lo, vcc_lo, exec_lo
	s_delay_alu instid0(SALU_CYCLE_1)
	s_or_b32 s35, s35, vcc_lo
	s_branch .LBB6_8882
.LBB6_8887:                             ;   in Loop: Header=BB6_3271 Depth=2
	s_or_b32 exec_lo, exec_lo, s17
	s_and_saveexec_b32 s17, s30
	s_delay_alu instid0(SALU_CYCLE_1)
	s_xor_b32 s17, exec_lo, s17
	s_cbranch_execz .LBB6_8889
; %bb.8888:                             ;   in Loop: Header=BB6_3271 Depth=2
	ds_store_b32 v0, v176
	s_cbranch_execnz .LBB6_10053
.LBB6_8889:                             ;   in Loop: Header=BB6_3271 Depth=2
	s_or_b32 exec_lo, exec_lo, s16
	;;#ASMSTART
	s_wakeup
	;;#ASMEND
.LBB6_8890:                             ;   in Loop: Header=BB6_3271 Depth=2
	s_or_b32 exec_lo, exec_lo, s15
.LBB6_8891:                             ;   in Loop: Header=BB6_3271 Depth=2
	s_and_not1_saveexec_b32 s14, s14
	s_cbranch_execz .LBB6_8893
; %bb.8892:                             ;   in Loop: Header=BB6_3271 Depth=2
	;;#ASMSTART
	s_waitcnt lgkmcnt(0) vmcnt(0)
	;;#ASMEND
	s_waitcnt lgkmcnt(0)
	s_waitcnt_vscnt null, 0x0
	s_barrier
.LBB6_8893:                             ;   in Loop: Header=BB6_3271 Depth=2
	s_or_b32 exec_lo, exec_lo, s14
	v_and_b32_e32 v2, 16, v30
.LBB6_8894:                             ;   in Loop: Header=BB6_3271 Depth=2
	s_or_b32 exec_lo, exec_lo, s13
	s_delay_alu instid0(VALU_DEP_1) | instskip(SKIP_1) | instid1(SALU_CYCLE_1)
	v_cmp_ne_u32_e32 vcc_lo, 0, v2
	s_xor_b32 s13, s10, -1
	s_and_b32 s14, vcc_lo, s13
	s_delay_alu instid0(SALU_CYCLE_1)
	s_and_saveexec_b32 s13, s14
	s_cbranch_execz .LBB6_8896
; %bb.8895:                             ;   in Loop: Header=BB6_3271 Depth=2
	s_waitcnt lgkmcnt(0)
	s_waitcnt_vscnt null, 0x0
	flat_store_b32 v[70:71], v176
.LBB6_8896:                             ;   in Loop: Header=BB6_3271 Depth=2
	s_or_b32 exec_lo, exec_lo, s13
	v_and_b32_e32 v2, 48, v30
	s_mov_b32 s13, exec_lo
	s_delay_alu instid0(VALU_DEP_1)
	v_cmpx_ne_u32_e32 0, v2
	s_cbranch_execz .LBB6_8898
; %bb.8897:                             ;   in Loop: Header=BB6_3271 Depth=2
	v_add_co_u32 v66, vcc_lo, v66, 2
	v_add_co_ci_u32_e32 v67, vcc_lo, 0, v67, vcc_lo
	s_waitcnt lgkmcnt(0)
	s_waitcnt_vscnt null, 0x0
	flat_store_b64 v[64:65], v[66:67]
.LBB6_8898:                             ;   in Loop: Header=BB6_3271 Depth=2
	s_or_b32 exec_lo, exec_lo, s13
	v_add_nc_u32_e32 v179, v100, v179
	v_readlane_b32 s13, v122, 1
	v_readlane_b32 s37, v122, 3
	;; [unrolled: 1-line block ×4, first 2 shown]
	v_cmp_ge_i32_e32 vcc_lo, v179, v103
	s_xor_b32 s13, s13, -1
	v_readlane_b32 s30, v122, 8
	v_readlane_b32 s35, v122, 7
	s_mov_b32 s17, 0
	s_or_b32 s13, s13, vcc_lo
	s_mov_b32 s16, 2
	s_and_b32 s14, exec_lo, s13
	v_readlane_b32 s13, v122, 2
	s_or_b32 s37, s14, s37
	v_readlane_b32 s14, v122, 4
	s_mov_b32 s36, s12
	s_delay_alu instid0(VALU_DEP_2)
	v_mov_b32_e32 v2, s13
	s_and_not1_b32 exec_lo, exec_lo, s37
	s_cbranch_execz .LBB6_8899
; %bb.10327:                            ;   in Loop: Header=BB6_3271 Depth=2
	s_getpc_b64 s[48:49]
.Lpost_getpc339:
	s_add_u32 s48, s48, (.LBB6_3271-.Lpost_getpc339)&4294967295
	s_addc_u32 s49, s49, (.LBB6_3271-.Lpost_getpc339)>>32
	s_setpc_b64 s[48:49]
.LBB6_8899:                             ;   in Loop: Header=BB6_51 Depth=1
	s_or_b32 exec_lo, exec_lo, s37
	v_readlane_b32 s12, v122, 0
.LBB6_8900:                             ;   in Loop: Header=BB6_51 Depth=1
	s_delay_alu instid0(VALU_DEP_1) | instskip(NEXT) | instid1(SALU_CYCLE_1)
	s_or_b32 exec_lo, exec_lo, s12
	s_mov_b32 s15, exec_lo
	v_cmpx_gt_i32_e32 2, v2
	s_cbranch_execz .LBB6_8986
; %bb.8901:                             ;   in Loop: Header=BB6_51 Depth=1
	v_cmp_eq_u32_e64 s13, 0, v2
	s_mov_b32 s12, 0
.LBB6_8902:                             ;   Parent Loop BB6_51 Depth=1
                                        ; =>  This Loop Header: Depth=2
                                        ;       Child Loop BB6_8908 Depth 3
                                        ;       Child Loop BB6_8940 Depth 3
	;; [unrolled: 1-line block ×3, first 2 shown]
	v_and_b32_e32 v2, 12, v30
	s_mov_b32 s17, -1
	s_mov_b32 s16, exec_lo
	s_delay_alu instid0(VALU_DEP_1)
	v_cmpx_ne_u32_e32 0, v2
	s_cbranch_execz .LBB6_8916
; %bb.8903:                             ;   in Loop: Header=BB6_8902 Depth=2
	v_and_b32_e32 v2, 8, v30
	s_delay_alu instid0(VALU_DEP_1) | instskip(SKIP_3) | instid1(VALU_DEP_1)
	v_add_co_u32 v10, vcc_lo, v82, v2
	v_add_co_ci_u32_e32 v11, vcc_lo, 0, v83, vcc_lo
	v_add_co_u32 v8, vcc_lo, v66, 2
	v_add_co_ci_u32_e32 v9, vcc_lo, 0, v67, vcc_lo
	v_cmp_lt_u64_e32 vcc_lo, v[10:11], v[8:9]
	v_mov_b32_e32 v10, 1
	s_and_saveexec_b32 s17, vcc_lo
	s_cbranch_execz .LBB6_8915
; %bb.8904:                             ;   in Loop: Header=BB6_8902 Depth=2
	v_mov_b32_e32 v10, 0
	s_mov_b32 s37, 0
                                        ; implicit-def: $sgpr38
	s_branch .LBB6_8908
.LBB6_8905:                             ;   in Loop: Header=BB6_8908 Depth=3
	s_or_b32 exec_lo, exec_lo, s42
	v_mov_b32_e32 v11, 0
	s_or_not1_b32 s41, s41, exec_lo
.LBB6_8906:                             ;   in Loop: Header=BB6_8908 Depth=3
	s_or_b32 exec_lo, exec_lo, s40
	s_delay_alu instid0(VALU_DEP_1) | instskip(SKIP_2) | instid1(SALU_CYCLE_1)
	v_mov_b32_e32 v10, v11
	s_and_not1_b32 vcc_lo, s38, exec_lo
	s_and_b32 s38, s41, exec_lo
	s_or_b32 s38, vcc_lo, s38
.LBB6_8907:                             ;   in Loop: Header=BB6_8908 Depth=3
	s_or_b32 exec_lo, exec_lo, s39
	s_waitcnt vmcnt(0) lgkmcnt(0)
	v_add_co_u32 v11, vcc_lo, v82, v2
	v_add_co_ci_u32_e32 v12, vcc_lo, 0, v83, vcc_lo
	s_xor_b32 s39, s38, -1
	s_delay_alu instid0(VALU_DEP_1) | instskip(SKIP_1) | instid1(SALU_CYCLE_1)
	v_cmp_ge_u64_e32 vcc_lo, v[11:12], v[8:9]
	s_or_b32 vcc_lo, s39, vcc_lo
	s_and_b32 vcc_lo, exec_lo, vcc_lo
	s_delay_alu instid0(SALU_CYCLE_1) | instskip(NEXT) | instid1(SALU_CYCLE_1)
	s_or_b32 s37, vcc_lo, s37
	s_and_not1_b32 exec_lo, exec_lo, s37
	s_cbranch_execz .LBB6_8914
.LBB6_8908:                             ;   Parent Loop BB6_51 Depth=1
                                        ;     Parent Loop BB6_8902 Depth=2
                                        ; =>    This Inner Loop Header: Depth=3
	s_sleep 1
	flat_load_b64 v[82:83], v[64:65] glc
	v_and_b32_e32 v11, 64, v30
	s_and_not1_b32 s38, s38, exec_lo
	s_mov_b32 s39, exec_lo
	s_delay_alu instid0(VALU_DEP_1)
	v_cmpx_eq_u32_e32 0, v11
	s_cbranch_execz .LBB6_8907
; %bb.8909:                             ;   in Loop: Header=BB6_8908 Depth=3
	v_add_nc_u32_e32 v11, 1, v10
	s_mov_b32 s41, -1
	s_mov_b32 s40, exec_lo
	v_cmpx_lt_i32_e32 0x270e, v10
	s_cbranch_execz .LBB6_8906
; %bb.8910:                             ;   in Loop: Header=BB6_8908 Depth=3
	s_cbranch_execnz .LBB6_9649
; %bb.8911:                             ;   in Loop: Header=BB6_8908 Depth=3
	ds_load_b64 v[10:11], v0
	s_mov_b32 s42, exec_lo
	s_waitcnt vmcnt(0) lgkmcnt(0)
	s_waitcnt_vscnt null, 0x0
	flat_load_b32 v10, v[10:11] glc
	s_waitcnt vmcnt(0) lgkmcnt(0)
	buffer_gl1_inv
	buffer_gl0_inv
	v_cmpx_ne_u32_e32 0, v10
	s_cbranch_execz .LBB6_8905
; %bb.8912:                             ;   in Loop: Header=BB6_8908 Depth=3
	ds_store_b32 v0, v10
	s_cbranch_execnz .LBB6_9703
; %bb.8913:                             ;   in Loop: Header=BB6_8908 Depth=3
	v_or_b32_e32 v30, 64, v30
	s_xor_b32 s41, exec_lo, -1
	s_branch .LBB6_8905
.LBB6_8914:                             ;   in Loop: Header=BB6_8902 Depth=2
	s_or_b32 exec_lo, exec_lo, s37
	v_and_b32_e32 v10, 12, v30
.LBB6_8915:                             ;   in Loop: Header=BB6_8902 Depth=2
	s_or_b32 exec_lo, exec_lo, s17
	s_delay_alu instid0(VALU_DEP_1)
	v_cmp_eq_u32_e32 vcc_lo, 0, v10
	;;#ASMSTART
	s_wakeup
	;;#ASMEND
	s_or_not1_b32 s17, vcc_lo, exec_lo
.LBB6_8916:                             ;   in Loop: Header=BB6_8902 Depth=2
	s_or_b32 exec_lo, exec_lo, s16
	v_sub_nc_u32_e32 v2, v103, v179
	s_xor_b32 s13, s13, -1
	s_delay_alu instid0(SALU_CYCLE_1) | instskip(NEXT) | instid1(SALU_CYCLE_1)
	s_and_b32 s13, exec_lo, s13
	s_or_b32 s12, s13, s12
	s_delay_alu instid0(VALU_DEP_1) | instskip(SKIP_1) | instid1(SALU_CYCLE_1)
	v_min_i32_e32 v100, v100, v2
	s_xor_b32 s13, s17, -1
	s_and_saveexec_b32 s16, s13
	s_cbranch_execz .LBB6_8931
; %bb.8917:                             ;   in Loop: Header=BB6_8902 Depth=2
	v_and_b32_e32 v2, 0x108, v30
	s_mov_b32 s13, exec_lo
	s_delay_alu instid0(VALU_DEP_1)
	v_cmpx_ne_u32_e32 0x108, v2
	s_xor_b32 s13, exec_lo, s13
                                        ; implicit-def: $vgpr8_vgpr9
; %bb.8918:                             ;   in Loop: Header=BB6_8902 Depth=2
	v_and_b32_e32 v8, 7, v66
; %bb.8919:                             ;   in Loop: Header=BB6_8902 Depth=2
	s_and_not1_saveexec_b32 s13, s13
	s_cbranch_execz .LBB6_8921
; %bb.8920:                             ;   in Loop: Header=BB6_8902 Depth=2
	v_and_b32_e32 v8, 7, v66
	v_ashrrev_i32_e32 v101, 31, v100
	s_delay_alu instid0(VALU_DEP_2)
	v_mad_u64_u32 v[9:10], null, v8, 24, v[6:7]
	flat_store_b64 v[9:10], v[100:101] offset:8
.LBB6_8921:                             ;   in Loop: Header=BB6_8902 Depth=2
	s_or_b32 exec_lo, exec_lo, s13
	v_and_b32_e32 v2, 0x100, v30
	s_mov_b32 s13, -1
	s_mov_b32 s17, exec_lo
                                        ; implicit-def: $vgpr9_vgpr10
	s_delay_alu instid0(VALU_DEP_1)
	v_cmpx_ne_u32_e32 0, v2
	s_cbranch_execnz .LBB6_8924
; %bb.8922:                             ;   in Loop: Header=BB6_8902 Depth=2
	s_or_b32 exec_lo, exec_lo, s17
	s_and_saveexec_b32 s17, s13
	s_cbranch_execnz .LBB6_8927
.LBB6_8923:                             ;   in Loop: Header=BB6_8902 Depth=2
	s_or_b32 exec_lo, exec_lo, s17
	s_cbranch_execnz .LBB6_9645
	s_branch .LBB6_8928
.LBB6_8924:                             ;   in Loop: Header=BB6_8902 Depth=2
	v_mad_u64_u32 v[11:12], null, v8, 24, v[6:7]
	s_mov_b32 s37, exec_lo
	s_delay_alu instid0(VALU_DEP_1) | instskip(NEXT) | instid1(VALU_DEP_1)
	v_mov_b32_e32 v2, v12
	v_mad_u64_u32 v[9:10], null, v3, 24, v[2:3]
	s_delay_alu instid0(VALU_DEP_1)
	v_mov_b32_e32 v12, v9
                                        ; implicit-def: $vgpr9_vgpr10
	flat_load_b32 v2, v[11:12]
	s_waitcnt vmcnt(0) lgkmcnt(0)
	v_cmp_ne_u32_e32 vcc_lo, 1, v2
	v_cmpx_eq_u32_e32 1, v2
	s_cbranch_execz .LBB6_8926
; %bb.8925:                             ;   in Loop: Header=BB6_8902 Depth=2
	flat_load_b32 v9, v[11:12] offset:4 glc
	s_waitcnt vmcnt(0) lgkmcnt(0)
	v_ashrrev_i32_e32 v10, 31, v9
.LBB6_8926:                             ;   in Loop: Header=BB6_8902 Depth=2
	s_or_b32 exec_lo, exec_lo, s37
	s_delay_alu instid0(SALU_CYCLE_1)
	s_or_not1_b32 s13, vcc_lo, exec_lo
	s_or_b32 exec_lo, exec_lo, s17
	s_and_saveexec_b32 s17, s13
	s_cbranch_execz .LBB6_8923
.LBB6_8927:                             ;   in Loop: Header=BB6_8902 Depth=2
	v_mul_lo_u32 v2, v3, v118
	v_mul_lo_u32 v11, v8, v128
	v_mad_u64_u32 v[9:10], null, v8, v118, 0
	s_delay_alu instid0(VALU_DEP_1)
	v_add3_u32 v10, v10, v11, v2
	s_or_b32 exec_lo, exec_lo, s17
	s_cbranch_execnz .LBB6_9645
.LBB6_8928:                             ;   in Loop: Header=BB6_8902 Depth=2
	s_delay_alu instid0(VALU_DEP_2)
	v_add_co_u32 v8, vcc_lo, v68, v9
	v_and_b32_e32 v2, 0x2000, v30
	v_add_co_ci_u32_e32 v9, vcc_lo, v69, v10, vcc_lo
	s_mov_b32 s13, exec_lo
	ds_store_b64 v0, v[8:9]
	v_cmpx_ne_u32_e32 0, v2
	s_cbranch_execz .LBB6_8930
; %bb.8929:                             ;   in Loop: Header=BB6_8902 Depth=2
	ds_load_b64 v[8:9], v0 offset:584
	s_waitcnt lgkmcnt(0)
	v_add_co_u32 v8, vcc_lo, v8, 1
	v_add_co_ci_u32_e32 v9, vcc_lo, 0, v9, vcc_lo
	ds_store_b64 v0, v[8:9] offset:584
.LBB6_8930:                             ;   in Loop: Header=BB6_8902 Depth=2
	s_or_b32 exec_lo, exec_lo, s13
	v_add_co_u32 v66, vcc_lo, v66, 2
	v_add_co_ci_u32_e32 v67, vcc_lo, 0, v67, vcc_lo
.LBB6_8931:                             ;   in Loop: Header=BB6_8902 Depth=2
	s_or_b32 exec_lo, exec_lo, s16
	s_and_saveexec_b32 s13, s3
	s_cbranch_execz .LBB6_8953
; %bb.8932:                             ;   in Loop: Header=BB6_8902 Depth=2
	s_and_saveexec_b32 s16, s4
	s_delay_alu instid0(SALU_CYCLE_1)
	s_xor_b32 s16, exec_lo, s16
	s_cbranch_execz .LBB6_8950
; %bb.8933:                             ;   in Loop: Header=BB6_8902 Depth=2
	s_and_saveexec_b32 s17, s1
	s_cbranch_execz .LBB6_8949
; %bb.8934:                             ;   in Loop: Header=BB6_8902 Depth=2
	s_mov_b32 s38, exec_lo
	s_mov_b32 s37, exec_lo
	v_mbcnt_lo_u32_b32 v2, s38, 0
	s_waitcnt lgkmcnt(0)
	s_waitcnt_vscnt null, 0x0
	buffer_gl1_inv
	buffer_gl0_inv
	v_cmpx_eq_u32_e32 0, v2
	s_cbranch_execz .LBB6_8936
; %bb.8935:                             ;   in Loop: Header=BB6_8902 Depth=2
	s_bcnt1_i32_b32 vcc_lo, s38
	s_delay_alu instid0(SALU_CYCLE_1)
	v_mov_b32_e32 v2, vcc_lo
	ds_add_u64 v0, v[2:3]
	s_cbranch_execnz .LBB6_9759
.LBB6_8936:                             ;   in Loop: Header=BB6_8902 Depth=2
	s_or_b32 exec_lo, exec_lo, s37
	s_cbranch_execnz .LBB6_9733
; %bb.8937:                             ;   in Loop: Header=BB6_8902 Depth=2
	ds_load_b64 v[8:9], v0
	v_add_co_u32 v80, vcc_lo, v80, v129
	v_add_co_ci_u32_e32 v81, vcc_lo, 0, v81, vcc_lo
	s_mov_b32 s37, exec_lo
	s_waitcnt lgkmcnt(0)
	s_delay_alu instid0(VALU_DEP_1)
	v_cmpx_lt_u64_e64 v[8:9], v[80:81]
	s_cbranch_execz .LBB6_8948
; %bb.8938:                             ;   in Loop: Header=BB6_8902 Depth=2
	s_mov_b32 s38, 0
	s_mov_b32 s41, 0
                                        ; implicit-def: $sgpr39
                                        ; implicit-def: $sgpr40
	s_branch .LBB6_8940
.LBB6_8939:                             ;   in Loop: Header=BB6_8940 Depth=3
	s_or_b32 exec_lo, exec_lo, s43
	s_delay_alu instid0(SALU_CYCLE_1) | instskip(NEXT) | instid1(SALU_CYCLE_1)
	s_and_b32 vcc_lo, exec_lo, vcc_lo
	s_or_b32 s38, vcc_lo, s38
	s_and_not1_b32 vcc_lo, s39, exec_lo
	s_and_b32 s39, s40, exec_lo
	s_delay_alu instid0(SALU_CYCLE_1)
	s_or_b32 s39, vcc_lo, s39
	s_and_not1_b32 exec_lo, exec_lo, s38
	s_cbranch_execz .LBB6_8946
.LBB6_8940:                             ;   Parent Loop BB6_51 Depth=1
                                        ;     Parent Loop BB6_8902 Depth=2
                                        ; =>    This Inner Loop Header: Depth=3
	s_add_i32 s41, s41, 1
                                        ; implicit-def: $sgpr43
	s_delay_alu instid0(SALU_CYCLE_1) | instskip(SKIP_1) | instid1(SALU_CYCLE_1)
	s_cmpk_lg_i32 s41, 0x2710
	s_cselect_b32 s42, -1, 0
	s_and_b32 vcc_lo, exec_lo, s42
	s_cbranch_vccz .LBB6_8944
.LBB6_8941:                             ;   in Loop: Header=BB6_8940 Depth=3
	s_and_not1_b32 s40, s40, exec_lo
	s_and_b32 s43, s43, exec_lo
	s_mov_b32 vcc_lo, -1
	s_or_b32 s40, s40, s43
	s_and_saveexec_b32 s43, s42
	s_cbranch_execz .LBB6_8939
; %bb.8942:                             ;   in Loop: Header=BB6_8940 Depth=3
	s_sleep 1
	s_cbranch_execnz .LBB6_9807
; %bb.8943:                             ;   in Loop: Header=BB6_8940 Depth=3
	ds_load_b64 v[8:9], v0
	s_and_not1_b32 s40, s40, exec_lo
	s_waitcnt lgkmcnt(0)
	v_cmp_ge_u64_e32 vcc_lo, v[8:9], v[80:81]
	s_or_not1_b32 vcc_lo, vcc_lo, exec_lo
	s_branch .LBB6_8939
.LBB6_8944:                             ;   in Loop: Header=BB6_8940 Depth=3
	s_cbranch_execnz .LBB6_9823
; %bb.8945:                             ;   in Loop: Header=BB6_8940 Depth=3
	ds_load_b64 v[8:9], v0
	s_and_not1_b32 s42, s42, exec_lo
	s_mov_b32 s41, 0
	s_mov_b32 s43, -1
	s_waitcnt lgkmcnt(0)
	flat_load_b32 v2, v[8:9] glc
	s_waitcnt vmcnt(0) lgkmcnt(0)
	buffer_gl1_inv
	buffer_gl0_inv
	v_cmp_eq_u32_e32 vcc_lo, 0, v2
	s_and_b32 vcc_lo, vcc_lo, exec_lo
	s_delay_alu instid0(SALU_CYCLE_1)
	s_or_b32 s42, s42, vcc_lo
	s_branch .LBB6_8941
.LBB6_8946:                             ;   in Loop: Header=BB6_8902 Depth=2
	s_or_b32 exec_lo, exec_lo, s38
	s_and_saveexec_b32 vcc_lo, s39
	s_delay_alu instid0(SALU_CYCLE_1)
	s_xor_b32 vcc_lo, exec_lo, vcc_lo
	s_cbranch_execz .LBB6_8948
; %bb.8947:                             ;   in Loop: Header=BB6_8902 Depth=2
	ds_store_b32 v0, v176
	s_cbranch_execnz .LBB6_10013
.LBB6_8948:                             ;   in Loop: Header=BB6_8902 Depth=2
	s_or_b32 exec_lo, exec_lo, s37
	;;#ASMSTART
	s_wakeup
	;;#ASMEND
.LBB6_8949:                             ;   in Loop: Header=BB6_8902 Depth=2
	s_or_b32 exec_lo, exec_lo, s17
.LBB6_8950:                             ;   in Loop: Header=BB6_8902 Depth=2
	s_and_not1_saveexec_b32 s16, s16
	s_cbranch_execz .LBB6_8952
; %bb.8951:                             ;   in Loop: Header=BB6_8902 Depth=2
	s_waitcnt lgkmcnt(0)
	s_waitcnt_vscnt null, 0x0
	buffer_gl1_inv
	buffer_gl0_inv
	s_barrier
.LBB6_8952:                             ;   in Loop: Header=BB6_8902 Depth=2
	s_or_b32 exec_lo, exec_lo, s16
.LBB6_8953:                             ;   in Loop: Header=BB6_8902 Depth=2
	s_delay_alu instid0(SALU_CYCLE_1) | instskip(SKIP_1) | instid1(SALU_CYCLE_1)
	s_or_b32 exec_lo, exec_lo, s13
                                        ; implicit-def: $vgpr2
	s_and_saveexec_b32 s13, s7
	s_xor_b32 s16, exec_lo, s13
	s_cbranch_execz .LBB6_8958
; %bb.8954:                             ;   in Loop: Header=BB6_8902 Depth=2
	s_cbranch_execnz .LBB6_9659
; %bb.8955:                             ;   in Loop: Header=BB6_8902 Depth=2
	ds_load_b32 v2, v0
	v_cmp_lt_i32_e32 vcc_lo, 0, v100
	s_waitcnt lgkmcnt(0)
	v_readfirstlane_b32 s13, v2
	v_and_b32_e32 v2, 16, v30
	s_delay_alu instid0(VALU_DEP_2) | instskip(NEXT) | instid1(VALU_DEP_1)
	s_cmp_eq_u32 s13, 0
	v_cmp_ne_u32_e64 s13, 0, v2
	s_cselect_b32 s17, -1, 0
	v_and_b32_e32 v2, 16, v30
	s_and_b32 s17, vcc_lo, s17
	s_delay_alu instid0(VALU_DEP_2) | instid1(SALU_CYCLE_1)
	s_and_b32 s17, s13, s17
	s_delay_alu instid0(SALU_CYCLE_1)
	s_and_saveexec_b32 s13, s17
	s_cbranch_execz .LBB6_8957
; %bb.8956:                             ;   in Loop: Header=BB6_8902 Depth=2
	v_mov_b32_e32 v2, 1
	s_waitcnt_vscnt null, 0x0
	buffer_gl1_inv
	buffer_gl0_inv
.LBB6_8957:                             ;   in Loop: Header=BB6_8902 Depth=2
	s_or_b32 exec_lo, exec_lo, s13
.LBB6_8958:                             ;   in Loop: Header=BB6_8902 Depth=2
	s_and_not1_saveexec_b32 s13, s16
	s_cbranch_execz .LBB6_8980
; %bb.8959:                             ;   in Loop: Header=BB6_8902 Depth=2
	s_and_saveexec_b32 s16, s4
	s_delay_alu instid0(SALU_CYCLE_1)
	s_xor_b32 s16, exec_lo, s16
	s_cbranch_execz .LBB6_8977
; %bb.8960:                             ;   in Loop: Header=BB6_8902 Depth=2
	s_and_saveexec_b32 s17, s1
	s_cbranch_execz .LBB6_8976
; %bb.8961:                             ;   in Loop: Header=BB6_8902 Depth=2
	s_mov_b32 s38, exec_lo
	s_mov_b32 s37, exec_lo
	v_mbcnt_lo_u32_b32 v2, s38, 0
	;;#ASMSTART
	s_waitcnt lgkmcnt(0) vmcnt(0)
	;;#ASMEND
	s_delay_alu instid0(VALU_DEP_1)
	v_cmpx_eq_u32_e32 0, v2
	s_cbranch_execz .LBB6_8963
; %bb.8962:                             ;   in Loop: Header=BB6_8902 Depth=2
	s_bcnt1_i32_b32 vcc_lo, s38
	s_delay_alu instid0(SALU_CYCLE_1)
	v_mov_b32_e32 v2, vcc_lo
	ds_add_u64 v0, v[2:3]
	s_cbranch_execnz .LBB6_9769
.LBB6_8963:                             ;   in Loop: Header=BB6_8902 Depth=2
	s_or_b32 exec_lo, exec_lo, s37
	s_cbranch_execnz .LBB6_9757
; %bb.8964:                             ;   in Loop: Header=BB6_8902 Depth=2
	ds_load_b64 v[8:9], v0
	v_add_co_u32 v80, vcc_lo, v80, v129
	v_add_co_ci_u32_e32 v81, vcc_lo, 0, v81, vcc_lo
	s_mov_b32 s37, exec_lo
	s_waitcnt lgkmcnt(0)
	s_delay_alu instid0(VALU_DEP_1)
	v_cmpx_lt_u64_e64 v[8:9], v[80:81]
	s_cbranch_execz .LBB6_8975
; %bb.8965:                             ;   in Loop: Header=BB6_8902 Depth=2
	s_mov_b32 s38, 0
	s_mov_b32 s41, 0
                                        ; implicit-def: $sgpr39
                                        ; implicit-def: $sgpr40
	s_branch .LBB6_8967
.LBB6_8966:                             ;   in Loop: Header=BB6_8967 Depth=3
	s_or_b32 exec_lo, exec_lo, s43
	s_delay_alu instid0(SALU_CYCLE_1) | instskip(NEXT) | instid1(SALU_CYCLE_1)
	s_and_b32 vcc_lo, exec_lo, vcc_lo
	s_or_b32 s38, vcc_lo, s38
	s_and_not1_b32 vcc_lo, s39, exec_lo
	s_and_b32 s39, s40, exec_lo
	s_delay_alu instid0(SALU_CYCLE_1)
	s_or_b32 s39, vcc_lo, s39
	s_and_not1_b32 exec_lo, exec_lo, s38
	s_cbranch_execz .LBB6_8973
.LBB6_8967:                             ;   Parent Loop BB6_51 Depth=1
                                        ;     Parent Loop BB6_8902 Depth=2
                                        ; =>    This Inner Loop Header: Depth=3
	s_add_i32 s41, s41, 1
                                        ; implicit-def: $sgpr43
	s_delay_alu instid0(SALU_CYCLE_1) | instskip(SKIP_1) | instid1(SALU_CYCLE_1)
	s_cmpk_lg_i32 s41, 0x2710
	s_cselect_b32 s42, -1, 0
	s_and_b32 vcc_lo, exec_lo, s42
	s_cbranch_vccz .LBB6_8971
.LBB6_8968:                             ;   in Loop: Header=BB6_8967 Depth=3
	s_and_not1_b32 s40, s40, exec_lo
	s_and_b32 s43, s43, exec_lo
	s_mov_b32 vcc_lo, -1
	s_or_b32 s40, s40, s43
	s_and_saveexec_b32 s43, s42
	s_cbranch_execz .LBB6_8966
; %bb.8969:                             ;   in Loop: Header=BB6_8967 Depth=3
	s_sleep 1
	s_cbranch_execnz .LBB6_9831
; %bb.8970:                             ;   in Loop: Header=BB6_8967 Depth=3
	ds_load_b64 v[8:9], v0
	s_and_not1_b32 s40, s40, exec_lo
	s_waitcnt lgkmcnt(0)
	v_cmp_ge_u64_e32 vcc_lo, v[8:9], v[80:81]
	s_or_not1_b32 vcc_lo, vcc_lo, exec_lo
	s_branch .LBB6_8966
.LBB6_8971:                             ;   in Loop: Header=BB6_8967 Depth=3
	s_cbranch_execnz .LBB6_9843
; %bb.8972:                             ;   in Loop: Header=BB6_8967 Depth=3
	ds_load_b64 v[8:9], v0
	s_and_not1_b32 s42, s42, exec_lo
	s_mov_b32 s41, 0
	s_mov_b32 s43, -1
	s_waitcnt lgkmcnt(0)
	s_waitcnt_vscnt null, 0x0
	flat_load_b32 v2, v[8:9] glc
	s_waitcnt vmcnt(0) lgkmcnt(0)
	buffer_gl1_inv
	buffer_gl0_inv
	v_cmp_eq_u32_e32 vcc_lo, 0, v2
	s_and_b32 vcc_lo, vcc_lo, exec_lo
	s_delay_alu instid0(SALU_CYCLE_1)
	s_or_b32 s42, s42, vcc_lo
	s_branch .LBB6_8968
.LBB6_8973:                             ;   in Loop: Header=BB6_8902 Depth=2
	s_or_b32 exec_lo, exec_lo, s38
	s_and_saveexec_b32 vcc_lo, s39
	s_delay_alu instid0(SALU_CYCLE_1)
	s_xor_b32 vcc_lo, exec_lo, vcc_lo
	s_cbranch_execz .LBB6_8975
; %bb.8974:                             ;   in Loop: Header=BB6_8902 Depth=2
	ds_store_b32 v0, v176
	s_cbranch_execnz .LBB6_10025
.LBB6_8975:                             ;   in Loop: Header=BB6_8902 Depth=2
	s_or_b32 exec_lo, exec_lo, s37
	;;#ASMSTART
	s_wakeup
	;;#ASMEND
.LBB6_8976:                             ;   in Loop: Header=BB6_8902 Depth=2
	s_or_b32 exec_lo, exec_lo, s17
.LBB6_8977:                             ;   in Loop: Header=BB6_8902 Depth=2
	s_and_not1_saveexec_b32 s16, s16
	s_cbranch_execz .LBB6_8979
; %bb.8978:                             ;   in Loop: Header=BB6_8902 Depth=2
	;;#ASMSTART
	s_waitcnt lgkmcnt(0) vmcnt(0)
	;;#ASMEND
	s_waitcnt lgkmcnt(0)
	s_waitcnt_vscnt null, 0x0
	s_barrier
.LBB6_8979:                             ;   in Loop: Header=BB6_8902 Depth=2
	s_or_b32 exec_lo, exec_lo, s16
	v_and_b32_e32 v2, 16, v30
.LBB6_8980:                             ;   in Loop: Header=BB6_8902 Depth=2
	s_or_b32 exec_lo, exec_lo, s13
	s_delay_alu instid0(VALU_DEP_1) | instskip(SKIP_1) | instid1(SALU_CYCLE_1)
	v_cmp_ne_u32_e32 vcc_lo, 0, v2
	s_xor_b32 s13, s10, -1
	s_and_b32 s16, vcc_lo, s13
	s_delay_alu instid0(SALU_CYCLE_1)
	s_and_saveexec_b32 s13, s16
	s_cbranch_execz .LBB6_8982
; %bb.8981:                             ;   in Loop: Header=BB6_8902 Depth=2
	s_waitcnt lgkmcnt(0)
	s_waitcnt_vscnt null, 0x0
	flat_store_b32 v[70:71], v176
.LBB6_8982:                             ;   in Loop: Header=BB6_8902 Depth=2
	s_or_b32 exec_lo, exec_lo, s13
	v_and_b32_e32 v2, 48, v30
	s_mov_b32 s13, exec_lo
	s_delay_alu instid0(VALU_DEP_1)
	v_cmpx_ne_u32_e32 0, v2
	s_cbranch_execz .LBB6_8984
; %bb.8983:                             ;   in Loop: Header=BB6_8902 Depth=2
	v_add_co_u32 v66, vcc_lo, v66, 2
	v_add_co_ci_u32_e32 v67, vcc_lo, 0, v67, vcc_lo
	s_waitcnt lgkmcnt(0)
	s_waitcnt_vscnt null, 0x0
	flat_store_b64 v[64:65], v[66:67]
.LBB6_8984:                             ;   in Loop: Header=BB6_8902 Depth=2
	s_or_b32 exec_lo, exec_lo, s13
	v_add_nc_u32_e32 v179, v100, v179
	s_mov_b32 s13, 0
	s_and_not1_b32 exec_lo, exec_lo, s12
	s_cbranch_execnz .LBB6_8902
; %bb.8985:                             ;   in Loop: Header=BB6_51 Depth=1
	s_or_b32 exec_lo, exec_lo, s12
.LBB6_8986:                             ;   in Loop: Header=BB6_51 Depth=1
	v_writelane_b32 v122, s34, 6
	v_writelane_b32 v122, s36, 9
	;; [unrolled: 1-line block ×3, first 2 shown]
	s_or_b32 exec_lo, exec_lo, s15
	s_mov_b32 s12, s14
	s_and_not1_b32 vcc_lo, exec_lo, s29
	s_cbranch_vccnz .LBB6_9283
; %bb.8987:                             ;   in Loop: Header=BB6_51 Depth=1
	s_mov_b32 s34, 1
.LBB6_8988:                             ;   Parent Loop BB6_51 Depth=1
                                        ; =>  This Loop Header: Depth=2
                                        ;       Child Loop BB6_8990 Depth 3
                                        ;         Child Loop BB6_8999 Depth 4
                                        ;         Child Loop BB6_9029 Depth 4
	;; [unrolled: 1-line block ×5, first 2 shown]
                                        ;           Child Loop BB6_9084 Depth 5
                                        ;         Child Loop BB6_9095 Depth 4
                                        ;         Child Loop BB6_9101 Depth 4
                                        ;           Child Loop BB6_9102 Depth 5
                                        ;         Child Loop BB6_9116 Depth 4
                                        ;         Child Loop BB6_9122 Depth 4
                                        ;         Child Loop BB6_9132 Depth 4
                                        ;         Child Loop BB6_9138 Depth 4
                                        ;         Child Loop BB6_9150 Depth 4
                                        ;         Child Loop BB6_9176 Depth 4
                                        ;       Child Loop BB6_9197 Depth 3
                                        ;         Child Loop BB6_9203 Depth 4
                                        ;         Child Loop BB6_9235 Depth 4
	;; [unrolled: 1-line block ×3, first 2 shown]
	s_delay_alu instid0(SALU_CYCLE_1) | instskip(SKIP_4) | instid1(SALU_CYCLE_1)
	s_sub_i32 s13, s25, s34
	v_mov_b32_e32 v16, 0
	s_cmp_le_i32 s19, s13
	s_mov_b32 s36, 0
	s_cselect_b32 s14, s19, 0
	s_sub_i32 s13, s13, s14
	s_delay_alu instid0(SALU_CYCLE_1) | instskip(SKIP_3) | instid1(VALU_DEP_1)
	s_ashr_i32 s14, s13, 31
	v_mul_lo_u32 v2, v97, s13
	v_mad_u64_u32 v[8:9], null, v96, s13, 0
	v_mul_lo_u32 v10, v96, s14
	v_add3_u32 v9, v9, v10, v2
	s_delay_alu instid0(VALU_DEP_3) | instskip(NEXT) | instid1(VALU_DEP_2)
	v_sub_co_u32 v10, vcc_lo, v98, v8
	v_sub_co_ci_u32_e32 v11, vcc_lo, v99, v9, vcc_lo
	s_delay_alu instid0(VALU_DEP_1) | instskip(SKIP_1) | instid1(VALU_DEP_1)
	v_cmp_lt_i64_e32 vcc_lo, v[96:97], v[10:11]
	v_cndmask_b32_e32 v10, v10, v96, vcc_lo
	v_max_i32_e32 v15, 0, v10
	s_delay_alu instid0(VALU_DEP_1) | instskip(NEXT) | instid1(VALU_DEP_1)
	v_add_nc_u32_e32 v2, 31, v15
	v_lshrrev_b32_e32 v2, 1, v2
	s_delay_alu instid0(VALU_DEP_1) | instskip(SKIP_2) | instid1(VALU_DEP_3)
	v_and_b32_e32 v11, 0x3ffffff0, v2
	v_cmp_lt_i32_e32 vcc_lo, 0, v10
	v_mov_b32_e32 v2, 0
	v_max_i32_e32 v12, s28, v11
	s_and_b32 s13, s30, vcc_lo
	s_delay_alu instid0(SALU_CYCLE_1)
	s_and_saveexec_b32 s35, s13
	s_cbranch_execz .LBB6_9195
; %bb.8989:                             ;   in Loop: Header=BB6_8988 Depth=2
	v_add_co_u32 v17, vcc_lo, v8, v177
	v_add_co_ci_u32_e32 v18, vcc_lo, v9, v178, vcc_lo
	v_mov_b32_e32 v16, 0
	s_mov_b32 s38, 1
	s_mov_b32 s37, -1
.LBB6_8990:                             ;   Parent Loop BB6_51 Depth=1
                                        ;     Parent Loop BB6_8988 Depth=2
                                        ; =>    This Loop Header: Depth=3
                                        ;         Child Loop BB6_8999 Depth 4
                                        ;         Child Loop BB6_9029 Depth 4
	;; [unrolled: 1-line block ×5, first 2 shown]
                                        ;           Child Loop BB6_9084 Depth 5
                                        ;         Child Loop BB6_9095 Depth 4
                                        ;         Child Loop BB6_9101 Depth 4
                                        ;           Child Loop BB6_9102 Depth 5
                                        ;         Child Loop BB6_9116 Depth 4
                                        ;         Child Loop BB6_9122 Depth 4
	;; [unrolled: 1-line block ×6, first 2 shown]
	s_and_saveexec_b32 s14, s0
	s_cbranch_execz .LBB6_8993
; %bb.8991:                             ;   in Loop: Header=BB6_8990 Depth=3
	s_cbranch_execnz .LBB6_9685
; %bb.8992:                             ;   in Loop: Header=BB6_8990 Depth=3
	ds_load_b128 v[8:11], v0
	v_ashrrev_i32_e32 v2, 31, v16
	s_waitcnt lgkmcnt(0)
	v_add_co_u32 v13, vcc_lo, v10, v17
	v_add_co_ci_u32_e32 v14, vcc_lo, v11, v18, vcc_lo
	v_add_co_u32 v8, vcc_lo, v8, v17
	v_add_co_ci_u32_e32 v9, vcc_lo, v9, v18, vcc_lo
	s_delay_alu instid0(VALU_DEP_4) | instskip(NEXT) | instid1(VALU_DEP_4)
	v_add_co_u32 v13, vcc_lo, v13, v16
	v_add_co_ci_u32_e32 v14, vcc_lo, v14, v2, vcc_lo
	v_cmp_ne_u64_e32 vcc_lo, 0, v[10:11]
	v_add_co_u32 v8, s13, v8, v16
	s_delay_alu instid0(VALU_DEP_1) | instskip(NEXT) | instid1(VALU_DEP_4)
	v_add_co_ci_u32_e64 v9, s13, v9, v2, s13
	v_dual_cndmask_b32 v11, 0, v14 :: v_dual_cndmask_b32 v10, 0, v13
	ds_store_b64 v0, v[8:9]
	ds_store_b64 v0, v[10:11]
.LBB6_8993:                             ;   in Loop: Header=BB6_8990 Depth=3
	s_or_b32 exec_lo, exec_lo, s14
	v_and_b32_e32 v2, 12, v30
	s_mov_b32 s14, -1
	s_mov_b32 s13, exec_lo
	s_delay_alu instid0(VALU_DEP_1)
	v_cmpx_ne_u32_e32 0, v2
	s_cbranch_execz .LBB6_9007
; %bb.8994:                             ;   in Loop: Header=BB6_8990 Depth=3
	v_and_b32_e32 v2, 8, v30
	s_delay_alu instid0(VALU_DEP_1) | instskip(SKIP_3) | instid1(VALU_DEP_1)
	v_add_co_u32 v10, vcc_lo, v82, v2
	v_add_co_ci_u32_e32 v11, vcc_lo, 0, v83, vcc_lo
	v_add_co_u32 v8, vcc_lo, v66, 2
	v_add_co_ci_u32_e32 v9, vcc_lo, 0, v67, vcc_lo
	v_cmp_lt_u64_e32 vcc_lo, v[10:11], v[8:9]
	v_mov_b32_e32 v10, 1
	s_and_saveexec_b32 s14, vcc_lo
	s_cbranch_execz .LBB6_9006
; %bb.8995:                             ;   in Loop: Header=BB6_8990 Depth=3
	v_mov_b32_e32 v10, 0
	s_mov_b32 s15, 0
                                        ; implicit-def: $sgpr16
	s_branch .LBB6_8999
.LBB6_8996:                             ;   in Loop: Header=BB6_8999 Depth=4
	s_or_b32 exec_lo, exec_lo, s41
	v_mov_b32_e32 v11, 0
	s_or_not1_b32 s40, s40, exec_lo
.LBB6_8997:                             ;   in Loop: Header=BB6_8999 Depth=4
	s_or_b32 exec_lo, exec_lo, s39
	s_delay_alu instid0(VALU_DEP_1) | instskip(SKIP_2) | instid1(SALU_CYCLE_1)
	v_mov_b32_e32 v10, v11
	s_and_not1_b32 s16, s16, exec_lo
	s_and_b32 vcc_lo, s40, exec_lo
	s_or_b32 s16, s16, vcc_lo
.LBB6_8998:                             ;   in Loop: Header=BB6_8999 Depth=4
	s_or_b32 exec_lo, exec_lo, s17
	s_waitcnt vmcnt(0) lgkmcnt(0)
	v_add_co_u32 v13, vcc_lo, v82, v2
	v_add_co_ci_u32_e32 v14, vcc_lo, 0, v83, vcc_lo
	s_xor_b32 s17, s16, -1
	s_delay_alu instid0(VALU_DEP_1) | instskip(SKIP_1) | instid1(SALU_CYCLE_1)
	v_cmp_ge_u64_e32 vcc_lo, v[13:14], v[8:9]
	s_or_b32 s17, s17, vcc_lo
	s_and_b32 s17, exec_lo, s17
	s_delay_alu instid0(SALU_CYCLE_1) | instskip(NEXT) | instid1(SALU_CYCLE_1)
	s_or_b32 s15, s17, s15
	s_and_not1_b32 exec_lo, exec_lo, s15
	s_cbranch_execz .LBB6_9005
.LBB6_8999:                             ;   Parent Loop BB6_51 Depth=1
                                        ;     Parent Loop BB6_8988 Depth=2
                                        ;       Parent Loop BB6_8990 Depth=3
                                        ; =>      This Inner Loop Header: Depth=4
	s_sleep 1
	flat_load_b64 v[82:83], v[64:65] glc
	v_and_b32_e32 v11, 64, v30
	s_and_not1_b32 s16, s16, exec_lo
	s_mov_b32 s17, exec_lo
	s_delay_alu instid0(VALU_DEP_1)
	v_cmpx_eq_u32_e32 0, v11
	s_cbranch_execz .LBB6_8998
; %bb.9000:                             ;   in Loop: Header=BB6_8999 Depth=4
	v_add_nc_u32_e32 v11, 1, v10
	s_mov_b32 s40, -1
	s_mov_b32 s39, exec_lo
	v_cmpx_lt_i32_e32 0x270e, v10
	s_cbranch_execz .LBB6_8997
; %bb.9001:                             ;   in Loop: Header=BB6_8999 Depth=4
	s_cbranch_execnz .LBB6_9723
; %bb.9002:                             ;   in Loop: Header=BB6_8999 Depth=4
	ds_load_b64 v[10:11], v0
	s_mov_b32 s41, exec_lo
	s_waitcnt vmcnt(0) lgkmcnt(0)
	s_waitcnt_vscnt null, 0x0
	flat_load_b32 v10, v[10:11] glc
	s_waitcnt vmcnt(0) lgkmcnt(0)
	buffer_gl1_inv
	buffer_gl0_inv
	v_cmpx_ne_u32_e32 0, v10
	s_cbranch_execz .LBB6_8996
; %bb.9003:                             ;   in Loop: Header=BB6_8999 Depth=4
	ds_store_b32 v0, v10
	s_cbranch_execnz .LBB6_9805
; %bb.9004:                             ;   in Loop: Header=BB6_8999 Depth=4
	v_or_b32_e32 v30, 64, v30
	s_xor_b32 s40, exec_lo, -1
	s_branch .LBB6_8996
.LBB6_9005:                             ;   in Loop: Header=BB6_8990 Depth=3
	s_or_b32 exec_lo, exec_lo, s15
	v_and_b32_e32 v10, 12, v30
.LBB6_9006:                             ;   in Loop: Header=BB6_8990 Depth=3
	s_or_b32 exec_lo, exec_lo, s14
	s_delay_alu instid0(VALU_DEP_1)
	v_cmp_eq_u32_e32 vcc_lo, 0, v10
	;;#ASMSTART
	s_wakeup
	;;#ASMEND
	s_or_not1_b32 s14, vcc_lo, exec_lo
.LBB6_9007:                             ;   in Loop: Header=BB6_8990 Depth=3
	s_or_b32 exec_lo, exec_lo, s13
	v_sub_nc_u32_e32 v2, v15, v16
	s_xor_b32 s13, s14, -1
	s_delay_alu instid0(VALU_DEP_1)
	v_min_i32_e32 v12, v12, v2
	s_and_saveexec_b32 s14, s13
	s_cbranch_execz .LBB6_9020
; %bb.9008:                             ;   in Loop: Header=BB6_8990 Depth=3
	v_and_b32_e32 v2, 0x108, v30
	s_delay_alu instid0(VALU_DEP_1) | instskip(SKIP_2) | instid1(SALU_CYCLE_1)
	v_cmp_ne_u32_e32 vcc_lo, 0x108, v2
	v_and_b32_e32 v2, 7, v66
	s_and_saveexec_b32 s13, vcc_lo
	s_xor_b32 s13, exec_lo, s13
	s_delay_alu instid0(SALU_CYCLE_1)
	s_and_not1_saveexec_b32 s13, s13
	s_cbranch_execz .LBB6_9010
; %bb.9009:                             ;   in Loop: Header=BB6_8990 Depth=3
	v_mad_u64_u32 v[8:9], null, v2, 24, v[6:7]
	v_ashrrev_i32_e32 v13, 31, v12
	flat_store_b64 v[8:9], v[12:13] offset:8
.LBB6_9010:                             ;   in Loop: Header=BB6_8990 Depth=3
	s_or_b32 exec_lo, exec_lo, s13
	v_and_b32_e32 v8, 0x100, v30
	s_mov_b32 s13, -1
	s_delay_alu instid0(VALU_DEP_1)
	v_cmp_ne_u32_e32 vcc_lo, 0, v8
                                        ; implicit-def: $vgpr8_vgpr9
	s_and_saveexec_b32 s15, vcc_lo
	s_cbranch_execnz .LBB6_9013
; %bb.9011:                             ;   in Loop: Header=BB6_8990 Depth=3
	s_or_b32 exec_lo, exec_lo, s15
	s_and_saveexec_b32 s15, s13
	s_cbranch_execnz .LBB6_9016
.LBB6_9012:                             ;   in Loop: Header=BB6_8990 Depth=3
	s_or_b32 exec_lo, exec_lo, s15
	s_cbranch_execnz .LBB6_9713
	s_branch .LBB6_9017
.LBB6_9013:                             ;   in Loop: Header=BB6_8990 Depth=3
	v_mad_u64_u32 v[10:11], null, v2, 24, v[6:7]
	s_delay_alu instid0(VALU_DEP_1) | instskip(NEXT) | instid1(VALU_DEP_1)
	v_mov_b32_e32 v8, v11
	v_mad_u64_u32 v[13:14], null, v3, 24, v[8:9]
	s_delay_alu instid0(VALU_DEP_1) | instskip(SKIP_4) | instid1(VALU_DEP_1)
	v_mov_b32_e32 v11, v13
	flat_load_b32 v8, v[10:11]
	s_waitcnt vmcnt(0) lgkmcnt(0)
	v_cmp_ne_u32_e32 vcc_lo, 1, v8
	v_cmp_eq_u32_e64 s13, 1, v8
                                        ; implicit-def: $vgpr8_vgpr9
	s_and_saveexec_b32 s16, s13
	s_cbranch_execz .LBB6_9015
; %bb.9014:                             ;   in Loop: Header=BB6_8990 Depth=3
	flat_load_b32 v8, v[10:11] offset:4 glc
	s_waitcnt vmcnt(0) lgkmcnt(0)
	v_ashrrev_i32_e32 v9, 31, v8
.LBB6_9015:                             ;   in Loop: Header=BB6_8990 Depth=3
	s_or_b32 exec_lo, exec_lo, s16
	s_delay_alu instid0(SALU_CYCLE_1)
	s_or_not1_b32 s13, vcc_lo, exec_lo
	s_or_b32 exec_lo, exec_lo, s15
	s_and_saveexec_b32 s15, s13
	s_cbranch_execz .LBB6_9012
.LBB6_9016:                             ;   in Loop: Header=BB6_8990 Depth=3
	v_mul_lo_u32 v10, v3, v118
	v_mul_lo_u32 v11, v2, v128
	v_mad_u64_u32 v[8:9], null, v2, v118, 0
	s_delay_alu instid0(VALU_DEP_1)
	v_add3_u32 v9, v9, v11, v10
	s_or_b32 exec_lo, exec_lo, s15
	s_cbranch_execnz .LBB6_9713
.LBB6_9017:                             ;   in Loop: Header=BB6_8990 Depth=3
	s_delay_alu instid0(VALU_DEP_2)
	v_add_co_u32 v8, vcc_lo, v68, v8
	v_and_b32_e32 v2, 0x2000, v30
	v_add_co_ci_u32_e32 v9, vcc_lo, v69, v9, vcc_lo
	s_mov_b32 s13, exec_lo
	ds_store_b64 v0, v[8:9]
	v_cmpx_ne_u32_e32 0, v2
	s_cbranch_execz .LBB6_9019
; %bb.9018:                             ;   in Loop: Header=BB6_8990 Depth=3
	ds_load_b64 v[8:9], v0 offset:584
	s_waitcnt lgkmcnt(0)
	v_add_co_u32 v8, vcc_lo, v8, 1
	v_add_co_ci_u32_e32 v9, vcc_lo, 0, v9, vcc_lo
	ds_store_b64 v0, v[8:9] offset:584
.LBB6_9019:                             ;   in Loop: Header=BB6_8990 Depth=3
	s_or_b32 exec_lo, exec_lo, s13
	v_add_co_u32 v66, vcc_lo, v66, 2
	v_add_co_ci_u32_e32 v67, vcc_lo, 0, v67, vcc_lo
.LBB6_9020:                             ;   in Loop: Header=BB6_8990 Depth=3
	s_or_b32 exec_lo, exec_lo, s14
	s_and_saveexec_b32 s13, s3
	s_cbranch_execz .LBB6_9042
; %bb.9021:                             ;   in Loop: Header=BB6_8990 Depth=3
	s_and_saveexec_b32 s14, s4
	s_delay_alu instid0(SALU_CYCLE_1)
	s_xor_b32 s14, exec_lo, s14
	s_cbranch_execz .LBB6_9039
; %bb.9022:                             ;   in Loop: Header=BB6_8990 Depth=3
	s_and_saveexec_b32 s15, s1
	s_cbranch_execz .LBB6_9038
; %bb.9023:                             ;   in Loop: Header=BB6_8990 Depth=3
	s_mov_b32 s17, exec_lo
	s_mov_b32 s16, exec_lo
	v_mbcnt_lo_u32_b32 v2, s17, 0
	s_waitcnt lgkmcnt(0)
	s_waitcnt_vscnt null, 0x0
	buffer_gl1_inv
	buffer_gl0_inv
	v_cmpx_eq_u32_e32 0, v2
	s_cbranch_execz .LBB6_9025
; %bb.9024:                             ;   in Loop: Header=BB6_8990 Depth=3
	s_bcnt1_i32_b32 s17, s17
	s_delay_alu instid0(SALU_CYCLE_1)
	v_mov_b32_e32 v2, s17
	ds_add_u64 v0, v[2:3]
	s_cbranch_execnz .LBB6_9861
.LBB6_9025:                             ;   in Loop: Header=BB6_8990 Depth=3
	s_or_b32 exec_lo, exec_lo, s16
	s_cbranch_execnz .LBB6_9833
; %bb.9026:                             ;   in Loop: Header=BB6_8990 Depth=3
	ds_load_b64 v[8:9], v0
	v_add_co_u32 v80, vcc_lo, v80, v129
	v_add_co_ci_u32_e32 v81, vcc_lo, 0, v81, vcc_lo
	s_mov_b32 s16, exec_lo
	s_waitcnt lgkmcnt(0)
	s_delay_alu instid0(VALU_DEP_1)
	v_cmpx_lt_u64_e64 v[8:9], v[80:81]
	s_cbranch_execz .LBB6_9037
; %bb.9027:                             ;   in Loop: Header=BB6_8990 Depth=3
	s_mov_b32 s17, 0
	s_mov_b32 s41, 0
                                        ; implicit-def: $sgpr39
                                        ; implicit-def: $sgpr40
	s_branch .LBB6_9029
.LBB6_9028:                             ;   in Loop: Header=BB6_9029 Depth=4
	s_or_b32 exec_lo, exec_lo, s43
	s_delay_alu instid0(SALU_CYCLE_1) | instskip(NEXT) | instid1(SALU_CYCLE_1)
	s_and_b32 vcc_lo, exec_lo, vcc_lo
	s_or_b32 s17, vcc_lo, s17
	s_and_not1_b32 vcc_lo, s39, exec_lo
	s_and_b32 s39, s40, exec_lo
	s_delay_alu instid0(SALU_CYCLE_1)
	s_or_b32 s39, vcc_lo, s39
	s_and_not1_b32 exec_lo, exec_lo, s17
	s_cbranch_execz .LBB6_9035
.LBB6_9029:                             ;   Parent Loop BB6_51 Depth=1
                                        ;     Parent Loop BB6_8988 Depth=2
                                        ;       Parent Loop BB6_8990 Depth=3
                                        ; =>      This Inner Loop Header: Depth=4
	s_add_i32 s41, s41, 1
                                        ; implicit-def: $sgpr43
	s_delay_alu instid0(SALU_CYCLE_1) | instskip(SKIP_1) | instid1(SALU_CYCLE_1)
	s_cmpk_lg_i32 s41, 0x2710
	s_cselect_b32 s42, -1, 0
	s_and_b32 vcc_lo, exec_lo, s42
	s_cbranch_vccz .LBB6_9033
.LBB6_9030:                             ;   in Loop: Header=BB6_9029 Depth=4
	s_and_not1_b32 s40, s40, exec_lo
	s_and_b32 s43, s43, exec_lo
	s_mov_b32 vcc_lo, -1
	s_or_b32 s40, s40, s43
	s_and_saveexec_b32 s43, s42
	s_cbranch_execz .LBB6_9028
; %bb.9031:                             ;   in Loop: Header=BB6_9029 Depth=4
	s_sleep 1
	s_cbranch_execnz .LBB6_9911
; %bb.9032:                             ;   in Loop: Header=BB6_9029 Depth=4
	ds_load_b64 v[8:9], v0
	s_and_not1_b32 s40, s40, exec_lo
	s_waitcnt lgkmcnt(0)
	v_cmp_ge_u64_e32 vcc_lo, v[8:9], v[80:81]
	s_or_not1_b32 vcc_lo, vcc_lo, exec_lo
	s_branch .LBB6_9028
.LBB6_9033:                             ;   in Loop: Header=BB6_9029 Depth=4
	s_cbranch_execnz .LBB6_9931
; %bb.9034:                             ;   in Loop: Header=BB6_9029 Depth=4
	ds_load_b64 v[8:9], v0
	s_and_not1_b32 s42, s42, exec_lo
	s_mov_b32 s41, 0
	s_mov_b32 s43, -1
	s_waitcnt lgkmcnt(0)
	flat_load_b32 v2, v[8:9] glc
	s_waitcnt vmcnt(0) lgkmcnt(0)
	buffer_gl1_inv
	buffer_gl0_inv
	v_cmp_eq_u32_e32 vcc_lo, 0, v2
	s_and_b32 vcc_lo, vcc_lo, exec_lo
	s_delay_alu instid0(SALU_CYCLE_1)
	s_or_b32 s42, s42, vcc_lo
	s_branch .LBB6_9030
.LBB6_9035:                             ;   in Loop: Header=BB6_8990 Depth=3
	s_or_b32 exec_lo, exec_lo, s17
	s_and_saveexec_b32 s17, s39
	s_delay_alu instid0(SALU_CYCLE_1)
	s_xor_b32 s17, exec_lo, s17
	s_cbranch_execz .LBB6_9037
; %bb.9036:                             ;   in Loop: Header=BB6_8990 Depth=3
	ds_store_b32 v0, v176
	s_cbranch_execnz .LBB6_10045
.LBB6_9037:                             ;   in Loop: Header=BB6_8990 Depth=3
	s_or_b32 exec_lo, exec_lo, s16
	;;#ASMSTART
	s_wakeup
	;;#ASMEND
.LBB6_9038:                             ;   in Loop: Header=BB6_8990 Depth=3
	s_or_b32 exec_lo, exec_lo, s15
.LBB6_9039:                             ;   in Loop: Header=BB6_8990 Depth=3
	s_and_not1_saveexec_b32 s14, s14
	s_cbranch_execz .LBB6_9041
; %bb.9040:                             ;   in Loop: Header=BB6_8990 Depth=3
	s_waitcnt lgkmcnt(0)
	s_waitcnt_vscnt null, 0x0
	buffer_gl1_inv
	buffer_gl0_inv
	s_barrier
.LBB6_9041:                             ;   in Loop: Header=BB6_8990 Depth=3
	s_or_b32 exec_lo, exec_lo, s14
.LBB6_9042:                             ;   in Loop: Header=BB6_8990 Depth=3
	s_delay_alu instid0(SALU_CYCLE_1)
	s_or_b32 exec_lo, exec_lo, s13
	s_cbranch_execnz .LBB6_9697
; %bb.9043:                             ;   in Loop: Header=BB6_8990 Depth=3
	ds_load_b32 v8, v0
	v_and_b32_e32 v2, 0x4000, v30
	s_xor_b32 s13, s2, -1
	s_delay_alu instid0(VALU_DEP_1) | instskip(SKIP_1) | instid1(SALU_CYCLE_1)
	v_cmp_ne_u32_e32 vcc_lo, 0, v2
	s_and_b32 s14, s13, vcc_lo
	s_and_saveexec_b32 s13, s14
	s_cbranch_execz .LBB6_9065
; %bb.9044:                             ;   in Loop: Header=BB6_8990 Depth=3
	s_and_saveexec_b32 s14, s4
	s_delay_alu instid0(SALU_CYCLE_1)
	s_xor_b32 s14, exec_lo, s14
	s_cbranch_execz .LBB6_9062
; %bb.9045:                             ;   in Loop: Header=BB6_8990 Depth=3
	s_and_saveexec_b32 s15, s1
	s_cbranch_execz .LBB6_9061
; %bb.9046:                             ;   in Loop: Header=BB6_8990 Depth=3
	s_mov_b32 s17, exec_lo
	s_mov_b32 s16, exec_lo
	v_mbcnt_lo_u32_b32 v2, s17, 0
	s_waitcnt lgkmcnt(0)
	s_waitcnt_vscnt null, 0x0
	buffer_gl1_inv
	buffer_gl0_inv
	v_cmpx_eq_u32_e32 0, v2
	s_cbranch_execz .LBB6_9048
; %bb.9047:                             ;   in Loop: Header=BB6_8990 Depth=3
	s_bcnt1_i32_b32 s17, s17
	s_delay_alu instid0(SALU_CYCLE_1)
	v_mov_b32_e32 v2, s17
	ds_add_u64 v0, v[2:3]
	s_cbranch_execnz .LBB6_9901
.LBB6_9048:                             ;   in Loop: Header=BB6_8990 Depth=3
	s_or_b32 exec_lo, exec_lo, s16
	s_cbranch_execnz .LBB6_9881
; %bb.9049:                             ;   in Loop: Header=BB6_8990 Depth=3
	ds_load_b64 v[9:10], v0
	v_add_co_u32 v80, vcc_lo, v80, v129
	v_add_co_ci_u32_e32 v81, vcc_lo, 0, v81, vcc_lo
	s_mov_b32 s16, exec_lo
	s_waitcnt lgkmcnt(0)
	s_delay_alu instid0(VALU_DEP_1)
	v_cmpx_lt_u64_e64 v[9:10], v[80:81]
	s_cbranch_execz .LBB6_9060
; %bb.9050:                             ;   in Loop: Header=BB6_8990 Depth=3
	s_mov_b32 s17, 0
	s_mov_b32 s41, 0
                                        ; implicit-def: $sgpr39
                                        ; implicit-def: $sgpr40
	s_branch .LBB6_9052
.LBB6_9051:                             ;   in Loop: Header=BB6_9052 Depth=4
	s_or_b32 exec_lo, exec_lo, s43
	s_delay_alu instid0(SALU_CYCLE_1) | instskip(NEXT) | instid1(SALU_CYCLE_1)
	s_and_b32 vcc_lo, exec_lo, vcc_lo
	s_or_b32 s17, vcc_lo, s17
	s_and_not1_b32 vcc_lo, s39, exec_lo
	s_and_b32 s39, s40, exec_lo
	s_delay_alu instid0(SALU_CYCLE_1)
	s_or_b32 s39, vcc_lo, s39
	s_and_not1_b32 exec_lo, exec_lo, s17
	s_cbranch_execz .LBB6_9058
.LBB6_9052:                             ;   Parent Loop BB6_51 Depth=1
                                        ;     Parent Loop BB6_8988 Depth=2
                                        ;       Parent Loop BB6_8990 Depth=3
                                        ; =>      This Inner Loop Header: Depth=4
	s_add_i32 s41, s41, 1
                                        ; implicit-def: $sgpr43
	s_delay_alu instid0(SALU_CYCLE_1) | instskip(SKIP_1) | instid1(SALU_CYCLE_1)
	s_cmpk_lg_i32 s41, 0x2710
	s_cselect_b32 s42, -1, 0
	s_and_b32 vcc_lo, exec_lo, s42
	s_cbranch_vccz .LBB6_9056
.LBB6_9053:                             ;   in Loop: Header=BB6_9052 Depth=4
	s_and_not1_b32 s40, s40, exec_lo
	s_and_b32 s43, s43, exec_lo
	s_mov_b32 vcc_lo, -1
	s_or_b32 s40, s40, s43
	s_and_saveexec_b32 s43, s42
	s_cbranch_execz .LBB6_9051
; %bb.9054:                             ;   in Loop: Header=BB6_9052 Depth=4
	s_sleep 1
	s_cbranch_execnz .LBB6_9965
; %bb.9055:                             ;   in Loop: Header=BB6_9052 Depth=4
	ds_load_b64 v[9:10], v0
	s_and_not1_b32 s40, s40, exec_lo
	s_waitcnt lgkmcnt(0)
	v_cmp_ge_u64_e32 vcc_lo, v[9:10], v[80:81]
	s_or_not1_b32 vcc_lo, vcc_lo, exec_lo
	s_branch .LBB6_9051
.LBB6_9056:                             ;   in Loop: Header=BB6_9052 Depth=4
	s_cbranch_execnz .LBB6_9973
; %bb.9057:                             ;   in Loop: Header=BB6_9052 Depth=4
	ds_load_b64 v[9:10], v0
	s_and_not1_b32 s42, s42, exec_lo
	s_mov_b32 s41, 0
	s_mov_b32 s43, -1
	s_waitcnt lgkmcnt(0)
	flat_load_b32 v2, v[9:10] glc
	s_waitcnt vmcnt(0) lgkmcnt(0)
	buffer_gl1_inv
	buffer_gl0_inv
	v_cmp_eq_u32_e32 vcc_lo, 0, v2
	s_and_b32 vcc_lo, vcc_lo, exec_lo
	s_delay_alu instid0(SALU_CYCLE_1)
	s_or_b32 s42, s42, vcc_lo
	s_branch .LBB6_9053
.LBB6_9058:                             ;   in Loop: Header=BB6_8990 Depth=3
	s_or_b32 exec_lo, exec_lo, s17
	s_and_saveexec_b32 s17, s39
	s_delay_alu instid0(SALU_CYCLE_1)
	s_xor_b32 s17, exec_lo, s17
	s_cbranch_execz .LBB6_9060
; %bb.9059:                             ;   in Loop: Header=BB6_8990 Depth=3
	ds_store_b32 v0, v176
	s_cbranch_execnz .LBB6_10059
.LBB6_9060:                             ;   in Loop: Header=BB6_8990 Depth=3
	s_or_b32 exec_lo, exec_lo, s16
	;;#ASMSTART
	s_wakeup
	;;#ASMEND
.LBB6_9061:                             ;   in Loop: Header=BB6_8990 Depth=3
	s_or_b32 exec_lo, exec_lo, s15
.LBB6_9062:                             ;   in Loop: Header=BB6_8990 Depth=3
	s_and_not1_saveexec_b32 s14, s14
	s_cbranch_execz .LBB6_9064
; %bb.9063:                             ;   in Loop: Header=BB6_8990 Depth=3
	s_waitcnt lgkmcnt(0)
	s_waitcnt_vscnt null, 0x0
	buffer_gl1_inv
	buffer_gl0_inv
	s_barrier
.LBB6_9064:                             ;   in Loop: Header=BB6_8990 Depth=3
	s_or_b32 exec_lo, exec_lo, s14
.LBB6_9065:                             ;   in Loop: Header=BB6_8990 Depth=3
	s_delay_alu instid0(SALU_CYCLE_1)
	s_or_b32 exec_lo, exec_lo, s13
	s_cbranch_execnz .LBB6_9753
; %bb.9066:                             ;   in Loop: Header=BB6_8990 Depth=3
	ds_load_b64 v[9:10], v0
	v_mov_b32_e32 v19, 0
	s_waitcnt lgkmcnt(0)
	v_cmp_eq_u64_e32 vcc_lo, 0, v[9:10]
	s_or_b32 s13, vcc_lo, vcc_lo
	s_delay_alu instid0(SALU_CYCLE_1)
	s_and_b32 vcc_lo, exec_lo, s13
	s_cbranch_vccnz .LBB6_9141
; %bb.9067:                             ;   in Loop: Header=BB6_8990 Depth=3
	v_cmp_eq_u32_e32 vcc_lo, 0, v8
	s_cbranch_execnz .LBB6_9827
; %bb.9068:                             ;   in Loop: Header=BB6_8990 Depth=3
	ds_load_b64 v[8:9], v0
	v_cndmask_b32_e32 v19, 0, v12, vcc_lo
	s_waitcnt lgkmcnt(0)
	v_cmp_ne_u64_e64 s13, 0, v[8:9]
	s_delay_alu instid0(VALU_DEP_1)
	s_and_b32 vcc_lo, exec_lo, s13
	s_cbranch_vccz .LBB6_9106
; %bb.9069:                             ;   in Loop: Header=BB6_8990 Depth=3
	s_mov_b32 s13, -1
	s_and_saveexec_b32 s14, s6
	s_cbranch_execz .LBB6_9071
; %bb.9070:                             ;   in Loop: Header=BB6_8990 Depth=3
	ds_load_b32 v2, v0 offset:720
	s_waitcnt lgkmcnt(0)
	v_and_b32_e32 v2, 15, v2
	s_delay_alu instid0(VALU_DEP_1)
	v_cmp_eq_u32_e32 vcc_lo, 0, v2
	s_or_not1_b32 s13, vcc_lo, exec_lo
.LBB6_9071:                             ;   in Loop: Header=BB6_8990 Depth=3
	s_or_b32 exec_lo, exec_lo, s14
	s_delay_alu instid0(SALU_CYCLE_1) | instskip(SKIP_1) | instid1(VALU_DEP_1)
	s_mov_b32 s14, exec_lo
	v_readlane_b32 s15, v122, 9
	s_and_b32 s15, s14, s15
	s_delay_alu instid0(SALU_CYCLE_1)
	s_mov_b32 exec_lo, s15
	s_cbranch_execz .LBB6_9073
; %bb.9072:                             ;   in Loop: Header=BB6_8990 Depth=3
	ds_load_b32 v2, v0 offset:784
	s_waitcnt lgkmcnt(0)
	v_and_b32_e32 v2, 15, v2
	s_delay_alu instid0(VALU_DEP_1) | instskip(SKIP_3) | instid1(SALU_CYCLE_1)
	v_cmp_eq_u32_e32 vcc_lo, 0, v2
	s_and_b32 s15, s13, vcc_lo
	s_and_not1_b32 s13, s13, exec_lo
	s_and_b32 s15, s15, exec_lo
	s_or_b32 s13, s13, s15
.LBB6_9073:                             ;   in Loop: Header=BB6_8990 Depth=3
	s_or_b32 exec_lo, exec_lo, s14
	s_xor_b32 s13, s13, -1
	v_mov_b32_e32 v20, v19
	v_cndmask_b32_e64 v2, 0, 1, s13
	;;#ASMSTART
	;;#ASMEND
	s_delay_alu instid0(VALU_DEP_1)
	v_cmp_ne_u32_e32 vcc_lo, 0, v2
	v_dual_mov_b32 v2, 0 :: v_dual_mov_b32 v21, v0
	v_mov_b32_e32 v8, v130
	s_mov_b32 s13, -1
	s_cbranch_vccnz .LBB6_9091
; %bb.9074:                             ;   in Loop: Header=BB6_8990 Depth=3
	v_ashrrev_i32_e32 v2, 31, v19
	s_mov_b32 s14, exec_lo
	s_delay_alu instid0(VALU_DEP_1) | instskip(NEXT) | instid1(VALU_DEP_1)
	v_lshrrev_b32_e32 v2, 21, v2
	v_add_nc_u32_e32 v2, v19, v2
	s_delay_alu instid0(VALU_DEP_1) | instskip(NEXT) | instid1(VALU_DEP_1)
	v_ashrrev_i32_e32 v2, 11, v2
	v_sub_nc_u32_e32 v23, v2, v130
	s_delay_alu instid0(VALU_DEP_1)
	v_cmpx_lt_i32_e32 0, v23
	s_cbranch_execz .LBB6_9079
; %bb.9075:                             ;   in Loop: Header=BB6_8990 Depth=3
	s_cbranch_execnz .LBB6_9989
; %bb.9076:                             ;   in Loop: Header=BB6_8990 Depth=3
	ds_load_b64 v[8:9], v0
	ds_load_b128 v[24:27], v0
	s_mov_b32 s15, 0
	s_waitcnt lgkmcnt(1)
	v_add_co_u32 v8, vcc_lo, v8, v164
	v_add_co_ci_u32_e32 v9, vcc_lo, v9, v165, vcc_lo
	s_waitcnt lgkmcnt(0)
	v_add_co_u32 v10, vcc_lo, v24, v164
	v_add_co_ci_u32_e32 v11, vcc_lo, v25, v165, vcc_lo
	v_add_co_u32 v13, vcc_lo, v26, v164
	v_add_co_ci_u32_e32 v14, vcc_lo, v27, v165, vcc_lo
	s_set_inst_prefetch_distance 0x1
.LBB6_9077:                             ;   Parent Loop BB6_51 Depth=1
                                        ;     Parent Loop BB6_8988 Depth=2
                                        ;       Parent Loop BB6_8990 Depth=3
                                        ; =>      This Inner Loop Header: Depth=4
	s_clause 0x3
	global_load_b128 v[24:27], v[8:9], off slc dlc
	global_load_b128 v[32:35], v[8:9], off offset:512 slc dlc
	global_load_b128 v[36:39], v[8:9], off offset:1024 slc dlc
	;; [unrolled: 1-line block ×3, first 2 shown]
	v_sub_nc_u32_e32 v23, v23, v129
	v_add_co_u32 v8, vcc_lo, v8, v166
	v_add_co_ci_u32_e32 v9, vcc_lo, v9, v167, vcc_lo
	s_delay_alu instid0(VALU_DEP_3)
	v_cmp_gt_i32_e32 vcc_lo, 1, v23
	s_waitcnt vmcnt(3)
	global_store_b128 v[10:11], v[24:27], off glc slc dlc
	s_waitcnt vmcnt(2)
	global_store_b128 v[10:11], v[32:35], off offset:512 glc slc dlc
	s_waitcnt vmcnt(1)
	global_store_b128 v[10:11], v[36:39], off offset:1024 glc slc dlc
	;; [unrolled: 2-line block ×3, first 2 shown]
	s_clause 0x3
	global_store_b128 v[13:14], v[24:27], off glc slc dlc
	global_store_b128 v[13:14], v[32:35], off offset:512 glc slc dlc
	global_store_b128 v[13:14], v[36:39], off offset:1024 glc slc dlc
	;; [unrolled: 1-line block ×3, first 2 shown]
	v_add_co_u32 v10, s13, v10, v166
	s_delay_alu instid0(VALU_DEP_1) | instskip(SKIP_1) | instid1(VALU_DEP_1)
	v_add_co_ci_u32_e64 v11, s13, v11, v167, s13
	v_add_co_u32 v13, s13, v13, v166
	v_add_co_ci_u32_e64 v14, s13, v14, v167, s13
	s_or_b32 s15, vcc_lo, s15
	s_delay_alu instid0(SALU_CYCLE_1)
	s_and_not1_b32 exec_lo, exec_lo, s15
	s_cbranch_execnz .LBB6_9077
; %bb.9078:                             ;   in Loop: Header=BB6_8990 Depth=3
	s_set_inst_prefetch_distance 0x2
	s_or_b32 exec_lo, exec_lo, s15
.LBB6_9079:                             ;   in Loop: Header=BB6_8990 Depth=3
	s_delay_alu instid0(SALU_CYCLE_1) | instskip(SKIP_4) | instid1(VALU_DEP_2)
	s_or_b32 exec_lo, exec_lo, s14
	v_lshlrev_b32_e32 v22, 11, v2
	v_mov_b32_e32 v2, 0
	s_mov_b32 s13, 0
	s_mov_b32 s16, exec_lo
                                        ; implicit-def: $vgpr20
                                        ; implicit-def: $vgpr21
                                        ; implicit-def: $vgpr8
	v_cmpx_ne_u32_e64 v19, v22
	s_cbranch_execz .LBB6_9090
; %bb.9080:                             ;   in Loop: Header=BB6_8990 Depth=3
	v_lshlrev_b32_e32 v2, 5, v23
	v_sub_nc_u32_e32 v9, v19, v22
	s_mov_b32 s17, exec_lo
	s_delay_alu instid0(VALU_DEP_2) | instskip(NEXT) | instid1(VALU_DEP_2)
	v_sub_nc_u32_e32 v2, v131, v2
	v_ashrrev_i32_e32 v10, 31, v9
	s_delay_alu instid0(VALU_DEP_2) | instskip(NEXT) | instid1(VALU_DEP_2)
	v_ashrrev_i32_e32 v8, 31, v2
	v_lshrrev_b32_e32 v10, 23, v10
	s_delay_alu instid0(VALU_DEP_2) | instskip(NEXT) | instid1(VALU_DEP_2)
	v_lshrrev_b32_e32 v8, 27, v8
	v_add_nc_u32_e32 v10, v9, v10
	s_delay_alu instid0(VALU_DEP_2) | instskip(NEXT) | instid1(VALU_DEP_2)
	v_add_nc_u32_e32 v8, v2, v8
	v_and_b32_e32 v23, 0xfffffe00, v10
	v_ashrrev_i32_e32 v10, 9, v10
	s_delay_alu instid0(VALU_DEP_3) | instskip(NEXT) | instid1(VALU_DEP_3)
	v_and_b32_e32 v11, 0xffffffe0, v8
	v_sub_nc_u32_e32 v25, v9, v23
	s_delay_alu instid0(VALU_DEP_2) | instskip(SKIP_1) | instid1(VALU_DEP_3)
	v_sub_nc_u32_e32 v24, v2, v11
	v_ashrrev_i32_e32 v11, 5, v8
	v_cmp_lt_i32_e64 s13, 15, v25
	s_delay_alu instid0(VALU_DEP_3) | instskip(NEXT) | instid1(VALU_DEP_2)
	v_lshlrev_b32_e32 v2, 4, v24
	v_add_co_ci_u32_e64 v10, vcc_lo, 0, v10, s13
	s_delay_alu instid0(VALU_DEP_2) | instskip(NEXT) | instid1(VALU_DEP_2)
	v_lshl_add_u32 v8, v11, 9, v2
	v_sub_nc_u32_e32 v26, v10, v11
	s_delay_alu instid0(VALU_DEP_2) | instskip(NEXT) | instid1(VALU_DEP_1)
	v_sub_nc_u32_e32 v2, v9, v8
	v_cmpx_lt_i32_e32 15, v2
	s_cbranch_execz .LBB6_9087
; %bb.9081:                             ;   in Loop: Header=BB6_8990 Depth=3
	s_cbranch_execnz .LBB6_10027
; %bb.9082:                             ;   in Loop: Header=BB6_8990 Depth=3
	ds_load_b64 v[9:10], v0
	ds_load_b128 v[32:35], v0
	v_add_nc_u32_e32 v8, v8, v22
	s_mov_b32 s39, 0
	s_delay_alu instid0(VALU_DEP_1) | instskip(SKIP_2) | instid1(VALU_DEP_2)
	v_ashrrev_i32_e32 v11, 31, v8
	s_waitcnt lgkmcnt(1)
	v_add_co_u32 v13, vcc_lo, v9, v8
	v_add_co_ci_u32_e32 v14, vcc_lo, v10, v11, vcc_lo
	s_waitcnt lgkmcnt(0)
	v_add_co_u32 v20, vcc_lo, v32, v8
	v_add_co_ci_u32_e32 v21, vcc_lo, v33, v11, vcc_lo
	v_add_co_u32 v27, vcc_lo, v34, v8
	v_add_co_ci_u32_e32 v32, vcc_lo, v35, v11, vcc_lo
.LBB6_9083:                             ;   Parent Loop BB6_51 Depth=1
                                        ;     Parent Loop BB6_8988 Depth=2
                                        ;       Parent Loop BB6_8990 Depth=3
                                        ; =>      This Loop Header: Depth=4
                                        ;           Child Loop BB6_9084 Depth 5
	global_load_b128 v[8:11], v[13:14], off slc dlc
	s_mov_b64 s[14:15], 0
	s_mov_b32 s40, -1
.LBB6_9084:                             ;   Parent Loop BB6_51 Depth=1
                                        ;     Parent Loop BB6_8988 Depth=2
                                        ;       Parent Loop BB6_8990 Depth=3
                                        ;         Parent Loop BB6_9083 Depth=4
                                        ; =>        This Inner Loop Header: Depth=5
	s_cmp_eq_u32 s14, 0
	v_cndmask_b32_e64 v35, 0, 1, s40
	s_cselect_b32 vcc_lo, -1, 0
	s_cmp_eq_u32 s14, 1
	s_mov_b32 s40, 0
	s_cselect_b32 s14, -1, 0
	s_delay_alu instid0(SALU_CYCLE_1) | instskip(SKIP_1) | instid1(VALU_DEP_2)
	v_cndmask_b32_e64 v33, v20, v27, s14
	v_cndmask_b32_e64 v34, v21, v32, s14
	v_add_co_u32 v36, s15, 0x200, v33
	s_delay_alu instid0(VALU_DEP_1) | instskip(SKIP_1) | instid1(VALU_DEP_3)
	v_add_co_ci_u32_e64 v37, s15, 0, v34, s15
	v_cmp_ne_u32_e64 s15, 1, v35
	v_cndmask_b32_e64 v27, v27, v36, s14
	v_cndmask_b32_e32 v20, v20, v36, vcc_lo
	s_delay_alu instid0(VALU_DEP_4)
	v_cndmask_b32_e64 v32, v32, v37, s14
	v_cndmask_b32_e32 v21, v21, v37, vcc_lo
	s_and_b32 vcc_lo, exec_lo, s15
	s_mov_b64 s[14:15], 1
	s_waitcnt vmcnt(0)
	global_store_b128 v[33:34], v[8:11], off glc slc dlc
	s_cbranch_vccz .LBB6_9084
; %bb.9085:                             ;   in Loop: Header=BB6_9083 Depth=4
	v_add_co_u32 v20, vcc_lo, v20, v134
	v_sub_nc_u32_e32 v2, v2, v132
	v_add_co_ci_u32_e32 v21, vcc_lo, v21, v146, vcc_lo
	v_add_co_u32 v27, vcc_lo, v27, v134
	v_add_co_ci_u32_e32 v32, vcc_lo, v32, v146, vcc_lo
	s_delay_alu instid0(VALU_DEP_4) | instskip(SKIP_1) | instid1(VALU_DEP_1)
	v_cmp_gt_i32_e32 vcc_lo, 16, v2
	v_add_co_u32 v13, s14, v148, v13
	v_add_co_ci_u32_e64 v14, s14, v149, v14, s14
	v_sub_nc_u32_e32 v26, v26, v129
	s_or_b32 s39, vcc_lo, s39
	s_delay_alu instid0(SALU_CYCLE_1)
	s_and_not1_b32 exec_lo, exec_lo, s39
	s_cbranch_execnz .LBB6_9083
; %bb.9086:                             ;   in Loop: Header=BB6_8990 Depth=3
	s_or_b32 exec_lo, exec_lo, s39
.LBB6_9087:                             ;   in Loop: Header=BB6_8990 Depth=3
	s_delay_alu instid0(SALU_CYCLE_1) | instskip(SKIP_3) | instid1(VALU_DEP_1)
	s_or_b32 exec_lo, exec_lo, s17
	v_dual_mov_b32 v2, 0 :: v_dual_and_b32 v9, 15, v19
	s_mov_b32 s14, 0
	s_mov_b32 s15, exec_lo
                                        ; implicit-def: $vgpr21
                                        ; implicit-def: $vgpr8
	v_cndmask_b32_e64 v20, v25, v9, s13
	s_delay_alu instid0(VALU_DEP_1)
	v_cmpx_ne_u32_e32 0, v20
	s_cbranch_execz .LBB6_9089
; %bb.9088:                             ;   in Loop: Header=BB6_8990 Depth=3
	v_cmp_lt_i32_e32 vcc_lo, 0, v26
	v_sub_nc_u32_e32 v8, v25, v9
	s_mov_b32 s14, exec_lo
	v_cndmask_b32_e32 v2, 0, v129, vcc_lo
	s_delay_alu instid0(VALU_DEP_2) | instskip(NEXT) | instid1(VALU_DEP_2)
	v_cndmask_b32_e64 v8, 0, v8, s13
	v_sub_nc_u32_e32 v2, v2, v26
	s_delay_alu instid0(VALU_DEP_1) | instskip(NEXT) | instid1(VALU_DEP_1)
	v_lshl_add_u32 v21, v2, 5, v24
	v_ashrrev_i32_e32 v2, 31, v21
	s_delay_alu instid0(VALU_DEP_1) | instskip(NEXT) | instid1(VALU_DEP_1)
	v_lshrrev_b32_e32 v2, 27, v2
	v_add_nc_u32_e32 v9, v21, v2
	v_add3_u32 v2, v23, v22, v8
	s_delay_alu instid0(VALU_DEP_2)
	v_ashrrev_i32_e32 v8, 5, v9
.LBB6_9089:                             ;   in Loop: Header=BB6_8990 Depth=3
	s_or_b32 exec_lo, exec_lo, s15
	s_delay_alu instid0(SALU_CYCLE_1)
	s_and_b32 s13, s14, exec_lo
.LBB6_9090:                             ;   in Loop: Header=BB6_8990 Depth=3
	s_or_b32 exec_lo, exec_lo, s16
.LBB6_9091:                             ;   in Loop: Header=BB6_8990 Depth=3
	s_and_saveexec_b32 s15, s13
	s_cbranch_execz .LBB6_9105
; %bb.9092:                             ;   in Loop: Header=BB6_8990 Depth=3
	v_ashrrev_i32_e32 v9, 31, v20
	s_mov_b32 s14, exec_lo
	s_delay_alu instid0(VALU_DEP_1) | instskip(NEXT) | instid1(VALU_DEP_1)
	v_lshrrev_b32_e32 v9, 22, v9
	v_add_nc_u32_e32 v9, v20, v9
	s_delay_alu instid0(VALU_DEP_1) | instskip(NEXT) | instid1(VALU_DEP_1)
	v_ashrrev_i32_e32 v23, 10, v9
	v_sub_nc_u32_e32 v22, v23, v8
	s_delay_alu instid0(VALU_DEP_1)
	v_cmpx_lt_i32_e32 0, v22
	s_cbranch_execz .LBB6_9097
; %bb.9093:                             ;   in Loop: Header=BB6_8990 Depth=3
	s_cbranch_execnz .LBB6_9985
; %bb.9094:                             ;   in Loop: Header=BB6_8990 Depth=3
	v_ashrrev_i32_e32 v9, 31, v21
	v_lshlrev_b32_e32 v8, 10, v8
	s_mov_b32 s16, 0
	ds_load_b128 v[24:27], v0
	v_lshrrev_b32_e32 v9, 27, v9
	s_delay_alu instid0(VALU_DEP_1) | instskip(SKIP_2) | instid1(VALU_DEP_1)
	v_add_nc_u32_e32 v11, v21, v9
	ds_load_b64 v[9:10], v0
	v_and_b32_e32 v11, 0xffffffe0, v11
	v_sub_nc_u32_e32 v11, v21, v11
	s_delay_alu instid0(VALU_DEP_1) | instskip(NEXT) | instid1(VALU_DEP_1)
	v_add3_u32 v13, v2, v11, v8
	v_ashrrev_i32_e32 v14, 31, v13
	s_waitcnt lgkmcnt(0)
	v_add_co_u32 v32, vcc_lo, 0x3e0, v9
	v_add_co_ci_u32_e32 v33, vcc_lo, 0, v10, vcc_lo
	v_add_co_u32 v8, vcc_lo, v24, v13
	v_add_co_ci_u32_e32 v9, vcc_lo, v25, v14, vcc_lo
	;; [unrolled: 2-line block ×4, first 2 shown]
.LBB6_9095:                             ;   Parent Loop BB6_51 Depth=1
                                        ;     Parent Loop BB6_8988 Depth=2
                                        ;       Parent Loop BB6_8990 Depth=3
                                        ; =>      This Inner Loop Header: Depth=4
	s_delay_alu instid0(VALU_DEP_2) | instskip(NEXT) | instid1(VALU_DEP_2)
	v_add_co_u32 v24, vcc_lo, 0xfffffc20, v13
	v_add_co_ci_u32_e32 v25, vcc_lo, -1, v14, vcc_lo
	v_add_co_u32 v26, vcc_lo, 0xfffffc40, v13
	v_add_co_ci_u32_e32 v27, vcc_lo, -1, v14, vcc_lo
	;; [unrolled: 2-line block ×31, first 2 shown]
	flat_load_u8 v183, v[13:14] slc dlc
	flat_load_u8 v24, v[24:25] slc dlc
	;; [unrolled: 1-line block ×32, first 2 shown]
	v_sub_nc_u32_e32 v22, v22, v129
	v_add_co_u32 v13, vcc_lo, v13, v151
	v_add_co_ci_u32_e32 v14, vcc_lo, v14, v160, vcc_lo
	s_delay_alu instid0(VALU_DEP_3)
	v_cmp_gt_i32_e32 vcc_lo, 1, v22
	s_waitcnt vmcnt(30) lgkmcnt(30)
	flat_store_b8 v[8:9], v24 glc slc dlc
	s_waitcnt vmcnt(29) lgkmcnt(30)
	flat_store_b8 v[8:9], v25 offset:32 glc slc dlc
	s_waitcnt vmcnt(28) lgkmcnt(30)
	flat_store_b8 v[8:9], v26 offset:64 glc slc dlc
	;; [unrolled: 2-line block ×29, first 2 shown]
	s_waitcnt vmcnt(0) lgkmcnt(30)
	s_clause 0x1
	flat_store_b8 v[8:9], v40 offset:960 glc slc dlc
	flat_store_b8 v[8:9], v183 offset:992 glc slc dlc
	s_clause 0x1f
	flat_store_b8 v[10:11], v24 glc slc dlc
	flat_store_b8 v[10:11], v25 offset:32 glc slc dlc
	flat_store_b8 v[10:11], v26 offset:64 glc slc dlc
	;; [unrolled: 1-line block ×31, first 2 shown]
	v_add_co_u32 v8, s13, v8, v151
	s_delay_alu instid0(VALU_DEP_1) | instskip(SKIP_1) | instid1(VALU_DEP_1)
	v_add_co_ci_u32_e64 v9, s13, v9, v160, s13
	v_add_co_u32 v10, s13, v10, v151
	v_add_co_ci_u32_e64 v11, s13, v11, v160, s13
	s_or_b32 s16, vcc_lo, s16
	s_delay_alu instid0(SALU_CYCLE_1)
	s_and_not1_b32 exec_lo, exec_lo, s16
	s_cbranch_execnz .LBB6_9095
; %bb.9096:                             ;   in Loop: Header=BB6_8990 Depth=3
	s_or_b32 exec_lo, exec_lo, s16
.LBB6_9097:                             ;   in Loop: Header=BB6_8990 Depth=3
	s_delay_alu instid0(SALU_CYCLE_1) | instskip(SKIP_2) | instid1(VALU_DEP_1)
	s_or_b32 exec_lo, exec_lo, s14
	v_lshlrev_b32_e32 v8, 10, v23
	s_mov_b32 s39, exec_lo
	v_cmpx_ne_u32_e64 v20, v8
	s_cbranch_execz .LBB6_9104
; %bb.9098:                             ;   in Loop: Header=BB6_8990 Depth=3
	v_ashrrev_i32_e32 v9, 31, v21
	v_lshlrev_b32_e32 v10, 5, v22
	s_delay_alu instid0(VALU_DEP_2) | instskip(NEXT) | instid1(VALU_DEP_1)
	v_lshrrev_b32_e32 v9, 27, v9
	v_add_nc_u32_e32 v9, v21, v9
	s_delay_alu instid0(VALU_DEP_1) | instskip(NEXT) | instid1(VALU_DEP_1)
	v_and_b32_e32 v9, 0xffffffe0, v9
	v_sub_nc_u32_e32 v9, v21, v9
	s_delay_alu instid0(VALU_DEP_1) | instskip(NEXT) | instid1(VALU_DEP_1)
	v_sub_nc_u32_e32 v9, v9, v10
	v_add_nc_u32_e32 v8, v8, v9
	s_delay_alu instid0(VALU_DEP_1) | instskip(NEXT) | instid1(VALU_DEP_1)
	v_sub_nc_u32_e32 v10, v20, v8
	v_cmp_lt_i32_e32 vcc_lo, 0, v10
	s_and_b32 exec_lo, exec_lo, vcc_lo
	s_cbranch_execz .LBB6_9104
; %bb.9099:                             ;   in Loop: Header=BB6_8990 Depth=3
	s_cbranch_execnz .LBB6_10021
; %bb.9100:                             ;   in Loop: Header=BB6_8990 Depth=3
	ds_load_b64 v[13:14], v0
	ds_load_b128 v[20:23], v0
	v_add_nc_u32_e32 v24, v8, v2
	s_mov_b32 s40, 0
	s_delay_alu instid0(VALU_DEP_1) | instskip(SKIP_2) | instid1(VALU_DEP_2)
	v_ashrrev_i32_e32 v25, 31, v24
	s_waitcnt lgkmcnt(1)
	v_add_co_u32 v8, vcc_lo, v13, v24
	v_add_co_ci_u32_e32 v9, vcc_lo, v14, v25, vcc_lo
	s_waitcnt lgkmcnt(0)
	v_add_co_u32 v2, vcc_lo, v20, v24
	v_add_co_ci_u32_e32 v11, vcc_lo, v21, v25, vcc_lo
	v_add_co_u32 v13, vcc_lo, v22, v24
	v_add_co_ci_u32_e32 v14, vcc_lo, v23, v25, vcc_lo
	s_set_inst_prefetch_distance 0x1
.LBB6_9101:                             ;   Parent Loop BB6_51 Depth=1
                                        ;     Parent Loop BB6_8988 Depth=2
                                        ;       Parent Loop BB6_8990 Depth=3
                                        ; =>      This Loop Header: Depth=4
                                        ;           Child Loop BB6_9102 Depth 5
	flat_load_u8 v20, v[8:9] slc dlc
	s_mov_b64 s[16:17], 0
	s_mov_b32 s41, -1
.LBB6_9102:                             ;   Parent Loop BB6_51 Depth=1
                                        ;     Parent Loop BB6_8988 Depth=2
                                        ;       Parent Loop BB6_8990 Depth=3
                                        ;         Parent Loop BB6_9101 Depth=4
                                        ; =>        This Inner Loop Header: Depth=5
	s_cmp_eq_u32 s16, 1
	s_cselect_b32 vcc_lo, -1, 0
	s_cmp_eq_u32 s16, 0
	v_dual_cndmask_b32 v22, v11, v14 :: v_dual_cndmask_b32 v21, v2, v13
	s_mov_b64 s[16:17], 1
	s_delay_alu instid0(VALU_DEP_1) | instskip(NEXT) | instid1(VALU_DEP_1)
	v_add_co_u32 v23, s13, v21, 32
	v_add_co_ci_u32_e64 v24, s13, 0, v22, s13
	s_cselect_b32 s13, -1, 0
	s_and_b32 s14, exec_lo, s41
	s_delay_alu instid0(VALU_DEP_1)
	v_dual_cndmask_b32 v13, v13, v23 :: v_dual_cndmask_b32 v14, v14, v24
	v_cndmask_b32_e64 v11, v11, v24, s13
	v_cndmask_b32_e64 v2, v2, v23, s13
	s_mov_b32 s41, 0
	s_mov_b32 vcc_lo, s14
	s_waitcnt vmcnt(0) lgkmcnt(0)
	flat_store_b8 v[21:22], v20 glc slc dlc
	s_cbranch_vccnz .LBB6_9102
; %bb.9103:                             ;   in Loop: Header=BB6_9101 Depth=4
	v_add_co_u32 v2, vcc_lo, v2, v150
	v_sub_nc_u32_e32 v10, v10, v147
	v_add_co_ci_u32_e32 v11, vcc_lo, v11, v161, vcc_lo
	v_add_co_u32 v13, vcc_lo, v13, v150
	v_add_co_ci_u32_e32 v14, vcc_lo, v14, v161, vcc_lo
	s_delay_alu instid0(VALU_DEP_4) | instskip(SKIP_1) | instid1(VALU_DEP_1)
	v_cmp_gt_i32_e32 vcc_lo, 1, v10
	v_add_co_u32 v8, s13, v162, v8
	v_add_co_ci_u32_e64 v9, s13, v163, v9, s13
	s_or_b32 s40, vcc_lo, s40
	s_delay_alu instid0(SALU_CYCLE_1)
	s_and_not1_b32 exec_lo, exec_lo, s40
	s_cbranch_execnz .LBB6_9101
.LBB6_9104:                             ;   in Loop: Header=BB6_8990 Depth=3
	s_set_inst_prefetch_distance 0x2
	s_or_b32 exec_lo, exec_lo, s39
.LBB6_9105:                             ;   in Loop: Header=BB6_8990 Depth=3
	s_delay_alu instid0(SALU_CYCLE_1)
	s_or_b32 exec_lo, exec_lo, s15
	s_mov_b32 s13, 0
	s_branch .LBB6_9107
.LBB6_9106:                             ;   in Loop: Header=BB6_8990 Depth=3
	s_mov_b32 s13, -1
.LBB6_9107:                             ;   in Loop: Header=BB6_8990 Depth=3
	s_delay_alu instid0(SALU_CYCLE_1)
	s_and_b32 vcc_lo, exec_lo, s13
	s_cbranch_vccz .LBB6_9141
; %bb.9108:                             ;   in Loop: Header=BB6_8990 Depth=3
	s_mov_b32 s13, -1
	s_and_saveexec_b32 s14, s6
	s_cbranch_execz .LBB6_9110
; %bb.9109:                             ;   in Loop: Header=BB6_8990 Depth=3
	ds_load_b32 v2, v0 offset:720
	s_waitcnt lgkmcnt(0)
	v_and_b32_e32 v2, 15, v2
	s_delay_alu instid0(VALU_DEP_1)
	v_cmp_eq_u32_e32 vcc_lo, 0, v2
	s_or_not1_b32 s13, vcc_lo, exec_lo
.LBB6_9110:                             ;   in Loop: Header=BB6_8990 Depth=3
	s_or_b32 exec_lo, exec_lo, s14
	s_and_saveexec_b32 s14, s5
	s_cbranch_execz .LBB6_9112
; %bb.9111:                             ;   in Loop: Header=BB6_8990 Depth=3
	ds_load_b32 v2, v0 offset:784
	s_waitcnt lgkmcnt(0)
	v_and_b32_e32 v2, 15, v2
	s_delay_alu instid0(VALU_DEP_1) | instskip(SKIP_3) | instid1(SALU_CYCLE_1)
	v_cmp_eq_u32_e32 vcc_lo, 0, v2
	s_and_b32 s15, s13, vcc_lo
	s_and_not1_b32 s13, s13, exec_lo
	s_and_b32 s15, s15, exec_lo
	s_or_b32 s13, s13, s15
.LBB6_9112:                             ;   in Loop: Header=BB6_8990 Depth=3
	s_or_b32 exec_lo, exec_lo, s14
	s_xor_b32 s13, s13, -1
	v_mov_b32_e32 v14, v0
	v_cndmask_b32_e64 v2, 0, 1, s13
	;;#ASMSTART
	;;#ASMEND
	s_delay_alu instid0(VALU_DEP_1)
	v_cmp_ne_u32_e32 vcc_lo, 0, v2
	v_dual_mov_b32 v2, 0 :: v_dual_mov_b32 v13, v19
	v_mov_b32_e32 v22, v130
	s_mov_b32 s13, -1
	s_cbranch_vccnz .LBB6_9128
; %bb.9113:                             ;   in Loop: Header=BB6_8990 Depth=3
	v_ashrrev_i32_e32 v2, 31, v19
	s_mov_b32 s13, exec_lo
	s_delay_alu instid0(VALU_DEP_1) | instskip(NEXT) | instid1(VALU_DEP_1)
	v_lshrrev_b32_e32 v2, 20, v2
	v_add_nc_u32_e32 v2, v19, v2
	s_delay_alu instid0(VALU_DEP_1) | instskip(NEXT) | instid1(VALU_DEP_1)
	v_ashrrev_i32_e32 v2, 12, v2
	v_sub_nc_u32_e32 v20, v2, v130
	s_delay_alu instid0(VALU_DEP_1)
	v_cmpx_lt_i32_e32 0, v20
	s_cbranch_execz .LBB6_9118
; %bb.9114:                             ;   in Loop: Header=BB6_8990 Depth=3
	s_cbranch_execnz .LBB6_10005
; %bb.9115:                             ;   in Loop: Header=BB6_8990 Depth=3
	ds_load_b64 v[8:9], v0
	s_mov_b32 s14, 0
	s_waitcnt lgkmcnt(0)
	v_dual_mov_b32 v11, v9 :: v_dual_mov_b32 v10, v8
.LBB6_9116:                             ;   Parent Loop BB6_51 Depth=1
                                        ;     Parent Loop BB6_8988 Depth=2
                                        ;       Parent Loop BB6_8990 Depth=3
                                        ; =>      This Inner Loop Header: Depth=4
	s_delay_alu instid0(VALU_DEP_1) | instskip(NEXT) | instid1(VALU_DEP_2)
	v_add_co_u32 v13, vcc_lo, v133, v10
	v_add_co_ci_u32_e32 v14, vcc_lo, v135, v11, vcc_lo
	v_sub_nc_u32_e32 v20, v20, v129
	s_clause 0x7
	global_load_b128 v[21:24], v[13:14], off slc dlc
	global_load_b128 v[32:35], v[13:14], off offset:512 slc dlc
	global_load_b128 v[36:39], v[13:14], off offset:1024 slc dlc
	;; [unrolled: 1-line block ×7, first 2 shown]
	v_add_co_u32 v13, vcc_lo, v133, v8
	v_add_co_ci_u32_e32 v14, vcc_lo, v135, v9, vcc_lo
	v_add_co_u32 v10, vcc_lo, v10, v144
	v_add_co_ci_u32_e32 v11, vcc_lo, v11, v145, vcc_lo
	;; [unrolled: 2-line block ×3, first 2 shown]
	v_cmp_gt_i32_e32 vcc_lo, 1, v20
	s_waitcnt vmcnt(7)
	global_store_b128 v[13:14], v[21:24], off glc slc dlc
	s_waitcnt vmcnt(6)
	global_store_b128 v[13:14], v[32:35], off offset:512 glc slc dlc
	s_waitcnt vmcnt(5)
	global_store_b128 v[13:14], v[36:39], off offset:1024 glc slc dlc
	;; [unrolled: 2-line block ×7, first 2 shown]
	s_or_b32 s14, vcc_lo, s14
	s_delay_alu instid0(SALU_CYCLE_1)
	s_and_not1_b32 exec_lo, exec_lo, s14
	s_cbranch_execnz .LBB6_9116
; %bb.9117:                             ;   in Loop: Header=BB6_8990 Depth=3
	s_or_b32 exec_lo, exec_lo, s14
.LBB6_9118:                             ;   in Loop: Header=BB6_8990 Depth=3
	s_delay_alu instid0(SALU_CYCLE_1) | instskip(SKIP_4) | instid1(VALU_DEP_2)
	s_or_b32 exec_lo, exec_lo, s13
	v_lshlrev_b32_e32 v10, 12, v2
	v_mov_b32_e32 v2, 0
	s_mov_b32 s13, 0
	s_mov_b32 s15, exec_lo
                                        ; implicit-def: $vgpr13
                                        ; implicit-def: $vgpr14
                                        ; implicit-def: $vgpr22
	v_cmpx_ne_u32_e64 v19, v10
	s_cbranch_execz .LBB6_9127
; %bb.9119:                             ;   in Loop: Header=BB6_8990 Depth=3
	v_lshlrev_b32_e32 v2, 5, v20
	v_sub_nc_u32_e32 v9, v19, v10
	s_mov_b32 s16, exec_lo
	s_delay_alu instid0(VALU_DEP_2) | instskip(NEXT) | instid1(VALU_DEP_2)
	v_sub_nc_u32_e32 v2, v131, v2
	v_ashrrev_i32_e32 v11, 31, v9
	s_delay_alu instid0(VALU_DEP_2) | instskip(NEXT) | instid1(VALU_DEP_2)
	v_ashrrev_i32_e32 v8, 31, v2
	v_lshrrev_b32_e32 v11, 23, v11
	s_delay_alu instid0(VALU_DEP_2) | instskip(NEXT) | instid1(VALU_DEP_2)
	v_lshrrev_b32_e32 v8, 27, v8
	v_add_nc_u32_e32 v14, v9, v11
	s_delay_alu instid0(VALU_DEP_2) | instskip(NEXT) | instid1(VALU_DEP_2)
	v_add_nc_u32_e32 v8, v2, v8
	v_and_b32_e32 v11, 0xfffffe00, v14
	v_ashrrev_i32_e32 v14, 9, v14
	s_delay_alu instid0(VALU_DEP_3) | instskip(NEXT) | instid1(VALU_DEP_3)
	v_and_b32_e32 v13, 0xffffffe0, v8
	v_sub_nc_u32_e32 v21, v9, v11
	v_ashrrev_i32_e32 v8, 5, v8
	s_delay_alu instid0(VALU_DEP_3) | instskip(NEXT) | instid1(VALU_DEP_3)
	v_sub_nc_u32_e32 v20, v2, v13
	v_cmp_lt_i32_e32 vcc_lo, 15, v21
	s_delay_alu instid0(VALU_DEP_2) | instskip(SKIP_1) | instid1(VALU_DEP_2)
	v_lshlrev_b32_e32 v2, 4, v20
	v_add_co_ci_u32_e64 v14, s13, 0, v14, vcc_lo
	v_lshl_add_u32 v13, v8, 9, v2
	s_delay_alu instid0(VALU_DEP_2) | instskip(NEXT) | instid1(VALU_DEP_2)
	v_sub_nc_u32_e32 v23, v14, v8
	v_sub_nc_u32_e32 v2, v9, v13
	s_delay_alu instid0(VALU_DEP_1)
	v_cmpx_lt_i32_e32 15, v2
	s_cbranch_execz .LBB6_9124
; %bb.9120:                             ;   in Loop: Header=BB6_8990 Depth=3
	s_cbranch_execnz .LBB6_10035
; %bb.9121:                             ;   in Loop: Header=BB6_8990 Depth=3
	ds_load_b64 v[8:9], v0
	v_add_nc_u32_e32 v13, v13, v10
	s_mov_b32 s17, 0
	s_delay_alu instid0(VALU_DEP_1)
	v_ashrrev_i32_e32 v14, 31, v13
.LBB6_9122:                             ;   Parent Loop BB6_51 Depth=1
                                        ;     Parent Loop BB6_8988 Depth=2
                                        ;       Parent Loop BB6_8990 Depth=3
                                        ; =>      This Inner Loop Header: Depth=4
	s_waitcnt lgkmcnt(0)
	v_add_co_u32 v32, s13, v8, v13
	s_delay_alu instid0(VALU_DEP_1)
	v_add_co_ci_u32_e64 v33, s13, v9, v14, s13
	v_sub_nc_u32_e32 v2, v2, v132
	v_add_co_u32 v13, s14, v13, v148
	global_load_b128 v[24:27], v[32:33], off slc dlc
	v_sub_nc_u32_e32 v23, v23, v129
	v_cmp_gt_i32_e64 s13, 16, v2
	v_add_co_ci_u32_e64 v14, s14, v14, v149, s14
	s_delay_alu instid0(VALU_DEP_2)
	s_or_b32 s17, s13, s17
	s_waitcnt vmcnt(0)
	global_store_b128 v[32:33], v[24:27], off glc slc dlc
	s_and_not1_b32 exec_lo, exec_lo, s17
	s_cbranch_execnz .LBB6_9122
; %bb.9123:                             ;   in Loop: Header=BB6_8990 Depth=3
	s_or_b32 exec_lo, exec_lo, s17
.LBB6_9124:                             ;   in Loop: Header=BB6_8990 Depth=3
	s_delay_alu instid0(SALU_CYCLE_1) | instskip(SKIP_3) | instid1(VALU_DEP_1)
	s_or_b32 exec_lo, exec_lo, s16
	v_and_b32_e32 v8, 15, v19
	s_mov_b32 s14, 0
	s_mov_b32 s16, exec_lo
                                        ; implicit-def: $vgpr14
                                        ; implicit-def: $vgpr22
	v_dual_mov_b32 v2, 0 :: v_dual_cndmask_b32 v13, v21, v8
	s_delay_alu instid0(VALU_DEP_1)
	v_cmpx_ne_u32_e32 0, v13
; %bb.9125:                             ;   in Loop: Header=BB6_8990 Depth=3
	v_cmp_lt_i32_e64 s13, 0, v23
	v_sub_nc_u32_e32 v8, v21, v8
	s_mov_b32 s14, exec_lo
	s_delay_alu instid0(VALU_DEP_2) | instskip(NEXT) | instid1(VALU_DEP_1)
	v_cndmask_b32_e64 v2, 0, v129, s13
	v_sub_nc_u32_e32 v2, v2, v23
	s_delay_alu instid0(VALU_DEP_1) | instskip(NEXT) | instid1(VALU_DEP_1)
	v_lshl_add_u32 v14, v2, 5, v20
	v_ashrrev_i32_e32 v2, 31, v14
	s_delay_alu instid0(VALU_DEP_1) | instskip(NEXT) | instid1(VALU_DEP_1)
	v_lshrrev_b32_e32 v2, 27, v2
	v_dual_cndmask_b32 v8, 0, v8 :: v_dual_add_nc_u32 v9, v14, v2
	s_delay_alu instid0(VALU_DEP_1) | instskip(NEXT) | instid1(VALU_DEP_2)
	v_add3_u32 v2, v11, v10, v8
	v_ashrrev_i32_e32 v22, 5, v9
; %bb.9126:                             ;   in Loop: Header=BB6_8990 Depth=3
	s_or_b32 exec_lo, exec_lo, s16
	s_delay_alu instid0(SALU_CYCLE_1)
	s_and_b32 s13, s14, exec_lo
.LBB6_9127:                             ;   in Loop: Header=BB6_8990 Depth=3
	s_or_b32 exec_lo, exec_lo, s15
.LBB6_9128:                             ;   in Loop: Header=BB6_8990 Depth=3
	s_and_saveexec_b32 s14, s13
	s_cbranch_execz .LBB6_9140
; %bb.9129:                             ;   in Loop: Header=BB6_8990 Depth=3
	v_ashrrev_i32_e32 v8, 31, v13
	s_mov_b32 s13, exec_lo
	s_delay_alu instid0(VALU_DEP_1) | instskip(NEXT) | instid1(VALU_DEP_1)
	v_lshrrev_b32_e32 v8, 22, v8
	v_add_nc_u32_e32 v8, v13, v8
	s_delay_alu instid0(VALU_DEP_1) | instskip(NEXT) | instid1(VALU_DEP_1)
	v_ashrrev_i32_e32 v21, 10, v8
	v_sub_nc_u32_e32 v20, v21, v22
	s_delay_alu instid0(VALU_DEP_1)
	v_cmpx_lt_i32_e32 0, v20
	s_cbranch_execz .LBB6_9134
; %bb.9130:                             ;   in Loop: Header=BB6_8990 Depth=3
	s_cbranch_execnz .LBB6_9995
; %bb.9131:                             ;   in Loop: Header=BB6_8990 Depth=3
	v_ashrrev_i32_e32 v8, 31, v14
	s_mov_b32 s15, 0
	s_delay_alu instid0(VALU_DEP_1) | instskip(NEXT) | instid1(VALU_DEP_1)
	v_lshrrev_b32_e32 v8, 27, v8
	v_add_nc_u32_e32 v10, v14, v8
	ds_load_b64 v[8:9], v0
	v_lshlrev_b32_e32 v11, 10, v22
	v_and_b32_e32 v10, 0xffffffe0, v10
	s_delay_alu instid0(VALU_DEP_1) | instskip(NEXT) | instid1(VALU_DEP_1)
	v_sub_nc_u32_e32 v10, v14, v10
	v_add3_u32 v22, v2, v10, v11
	s_delay_alu instid0(VALU_DEP_1)
	v_ashrrev_i32_e32 v23, 31, v22
	s_waitcnt lgkmcnt(0)
	v_dual_mov_b32 v11, v9 :: v_dual_mov_b32 v10, v8
.LBB6_9132:                             ;   Parent Loop BB6_51 Depth=1
                                        ;     Parent Loop BB6_8988 Depth=2
                                        ;       Parent Loop BB6_8990 Depth=3
                                        ; =>      This Inner Loop Header: Depth=4
	s_delay_alu instid0(VALU_DEP_1) | instskip(NEXT) | instid1(VALU_DEP_2)
	v_add_co_u32 v24, vcc_lo, v22, v10
	v_add_co_ci_u32_e32 v25, vcc_lo, v23, v11, vcc_lo
	v_sub_nc_u32_e32 v20, v20, v129
	s_clause 0x1f
	flat_load_u8 v26, v[24:25] slc dlc
	flat_load_u8 v27, v[24:25] offset:32 slc dlc
	flat_load_u8 v32, v[24:25] offset:64 slc dlc
	;; [unrolled: 1-line block ×31, first 2 shown]
	v_add_co_u32 v24, vcc_lo, v22, v8
	v_add_co_ci_u32_e32 v25, vcc_lo, v23, v9, vcc_lo
	v_add_co_u32 v10, vcc_lo, v10, v151
	v_add_co_ci_u32_e32 v11, vcc_lo, v11, v160, vcc_lo
	;; [unrolled: 2-line block ×3, first 2 shown]
	v_cmp_gt_i32_e32 vcc_lo, 1, v20
	s_waitcnt vmcnt(31) lgkmcnt(31)
	flat_store_b8 v[24:25], v26 glc slc dlc
	s_waitcnt vmcnt(30) lgkmcnt(31)
	flat_store_b8 v[24:25], v27 offset:32 glc slc dlc
	s_waitcnt vmcnt(29) lgkmcnt(31)
	flat_store_b8 v[24:25], v32 offset:64 glc slc dlc
	;; [unrolled: 2-line block ×31, first 2 shown]
	s_or_b32 s15, vcc_lo, s15
	s_delay_alu instid0(SALU_CYCLE_1)
	s_and_not1_b32 exec_lo, exec_lo, s15
	s_cbranch_execnz .LBB6_9132
; %bb.9133:                             ;   in Loop: Header=BB6_8990 Depth=3
	s_or_b32 exec_lo, exec_lo, s15
.LBB6_9134:                             ;   in Loop: Header=BB6_8990 Depth=3
	s_delay_alu instid0(SALU_CYCLE_1) | instskip(SKIP_2) | instid1(VALU_DEP_1)
	s_or_b32 exec_lo, exec_lo, s13
	v_lshlrev_b32_e32 v8, 10, v21
	s_mov_b32 s15, exec_lo
	v_cmpx_ne_u32_e64 v13, v8
	s_cbranch_execz .LBB6_9139
; %bb.9135:                             ;   in Loop: Header=BB6_8990 Depth=3
	v_ashrrev_i32_e32 v9, 31, v14
	v_lshlrev_b32_e32 v10, 5, v20
	s_delay_alu instid0(VALU_DEP_2) | instskip(NEXT) | instid1(VALU_DEP_1)
	v_lshrrev_b32_e32 v9, 27, v9
	v_add_nc_u32_e32 v9, v14, v9
	s_delay_alu instid0(VALU_DEP_1) | instskip(NEXT) | instid1(VALU_DEP_1)
	v_and_b32_e32 v9, 0xffffffe0, v9
	v_sub_nc_u32_e32 v9, v14, v9
	s_delay_alu instid0(VALU_DEP_1) | instskip(NEXT) | instid1(VALU_DEP_1)
	v_sub_nc_u32_e32 v9, v9, v10
	v_add_nc_u32_e32 v11, v8, v9
	s_delay_alu instid0(VALU_DEP_1) | instskip(NEXT) | instid1(VALU_DEP_1)
	v_sub_nc_u32_e32 v10, v13, v11
	v_cmp_lt_i32_e32 vcc_lo, 0, v10
	s_and_b32 exec_lo, exec_lo, vcc_lo
	s_cbranch_execz .LBB6_9139
; %bb.9136:                             ;   in Loop: Header=BB6_8990 Depth=3
	s_cbranch_execnz .LBB6_10031
; %bb.9137:                             ;   in Loop: Header=BB6_8990 Depth=3
	ds_load_b64 v[8:9], v0
	v_add_nc_u32_e32 v2, v11, v2
	s_mov_b32 s16, 0
	s_delay_alu instid0(VALU_DEP_1)
	v_ashrrev_i32_e32 v11, 31, v2
.LBB6_9138:                             ;   Parent Loop BB6_51 Depth=1
                                        ;     Parent Loop BB6_8988 Depth=2
                                        ;       Parent Loop BB6_8990 Depth=3
                                        ; =>      This Inner Loop Header: Depth=4
	s_waitcnt lgkmcnt(0)
	v_add_co_u32 v13, vcc_lo, v8, v2
	s_delay_alu instid0(VALU_DEP_2)
	v_add_co_ci_u32_e32 v14, vcc_lo, v9, v11, vcc_lo
	v_sub_nc_u32_e32 v10, v10, v147
	v_add_co_u32 v2, s13, v2, v162
	flat_load_u8 v20, v[13:14] slc dlc
	v_add_co_ci_u32_e64 v11, s13, v11, v163, s13
	v_cmp_gt_i32_e32 vcc_lo, 1, v10
	s_or_b32 s16, vcc_lo, s16
	s_waitcnt vmcnt(0) lgkmcnt(0)
	flat_store_b8 v[13:14], v20 glc slc dlc
	s_and_not1_b32 exec_lo, exec_lo, s16
	s_cbranch_execnz .LBB6_9138
.LBB6_9139:                             ;   in Loop: Header=BB6_8990 Depth=3
	s_or_b32 exec_lo, exec_lo, s15
.LBB6_9140:                             ;   in Loop: Header=BB6_8990 Depth=3
	s_delay_alu instid0(SALU_CYCLE_1)
	s_or_b32 exec_lo, exec_lo, s14
.LBB6_9141:                             ;   in Loop: Header=BB6_8990 Depth=3
	s_and_saveexec_b32 s13, s3
	s_cbranch_execz .LBB6_9163
; %bb.9142:                             ;   in Loop: Header=BB6_8990 Depth=3
	s_and_saveexec_b32 s14, s4
	s_delay_alu instid0(SALU_CYCLE_1)
	s_xor_b32 s14, exec_lo, s14
	s_cbranch_execz .LBB6_9160
; %bb.9143:                             ;   in Loop: Header=BB6_8990 Depth=3
	s_and_saveexec_b32 s15, s1
	s_cbranch_execz .LBB6_9159
; %bb.9144:                             ;   in Loop: Header=BB6_8990 Depth=3
	s_mov_b32 s17, exec_lo
	s_mov_b32 s16, exec_lo
	v_mbcnt_lo_u32_b32 v2, s17, 0
	s_waitcnt lgkmcnt(0)
	s_waitcnt_vscnt null, 0x0
	buffer_gl1_inv
	buffer_gl0_inv
	v_cmpx_eq_u32_e32 0, v2
	s_cbranch_execz .LBB6_9146
; %bb.9145:                             ;   in Loop: Header=BB6_8990 Depth=3
	s_bcnt1_i32_b32 s17, s17
	s_delay_alu instid0(SALU_CYCLE_1)
	v_mov_b32_e32 v2, s17
	ds_add_u64 v0, v[2:3]
	s_cbranch_execnz .LBB6_9979
.LBB6_9146:                             ;   in Loop: Header=BB6_8990 Depth=3
	s_or_b32 exec_lo, exec_lo, s16
	s_cbranch_execnz .LBB6_9957
; %bb.9147:                             ;   in Loop: Header=BB6_8990 Depth=3
	ds_load_b64 v[8:9], v0
	v_add_co_u32 v80, vcc_lo, v80, v129
	v_add_co_ci_u32_e32 v81, vcc_lo, 0, v81, vcc_lo
	s_mov_b32 s16, exec_lo
	s_waitcnt lgkmcnt(0)
	s_delay_alu instid0(VALU_DEP_1)
	v_cmpx_lt_u64_e64 v[8:9], v[80:81]
	s_cbranch_execz .LBB6_9158
; %bb.9148:                             ;   in Loop: Header=BB6_8990 Depth=3
	s_mov_b32 s17, 0
	s_mov_b32 s41, 0
                                        ; implicit-def: $sgpr39
                                        ; implicit-def: $sgpr40
	s_branch .LBB6_9150
.LBB6_9149:                             ;   in Loop: Header=BB6_9150 Depth=4
	s_or_b32 exec_lo, exec_lo, s43
	s_delay_alu instid0(SALU_CYCLE_1) | instskip(NEXT) | instid1(SALU_CYCLE_1)
	s_and_b32 vcc_lo, exec_lo, vcc_lo
	s_or_b32 s17, vcc_lo, s17
	s_and_not1_b32 vcc_lo, s39, exec_lo
	s_and_b32 s39, s40, exec_lo
	s_delay_alu instid0(SALU_CYCLE_1)
	s_or_b32 s39, vcc_lo, s39
	s_and_not1_b32 exec_lo, exec_lo, s17
	s_cbranch_execz .LBB6_9156
.LBB6_9150:                             ;   Parent Loop BB6_51 Depth=1
                                        ;     Parent Loop BB6_8988 Depth=2
                                        ;       Parent Loop BB6_8990 Depth=3
                                        ; =>      This Inner Loop Header: Depth=4
	s_add_i32 s41, s41, 1
                                        ; implicit-def: $sgpr43
	s_delay_alu instid0(SALU_CYCLE_1) | instskip(SKIP_1) | instid1(SALU_CYCLE_1)
	s_cmpk_lg_i32 s41, 0x2710
	s_cselect_b32 s42, -1, 0
	s_and_b32 vcc_lo, exec_lo, s42
	s_cbranch_vccnz .LBB6_9153
; %bb.9151:                             ;   in Loop: Header=BB6_9150 Depth=4
	s_cbranch_execnz .LBB6_10019
; %bb.9152:                             ;   in Loop: Header=BB6_9150 Depth=4
	ds_load_b64 v[8:9], v0
	s_and_not1_b32 s42, s42, exec_lo
	s_mov_b32 s41, 0
	s_mov_b32 s43, -1
	s_waitcnt lgkmcnt(0)
	flat_load_b32 v2, v[8:9] glc
	s_waitcnt vmcnt(0) lgkmcnt(0)
	buffer_gl1_inv
	buffer_gl0_inv
	v_cmp_eq_u32_e32 vcc_lo, 0, v2
	s_and_b32 vcc_lo, vcc_lo, exec_lo
	s_delay_alu instid0(SALU_CYCLE_1)
	s_or_b32 s42, s42, vcc_lo
.LBB6_9153:                             ;   in Loop: Header=BB6_9150 Depth=4
	s_and_not1_b32 s40, s40, exec_lo
	s_and_b32 s43, s43, exec_lo
	s_mov_b32 vcc_lo, -1
	s_or_b32 s40, s40, s43
	s_and_saveexec_b32 s43, s42
	s_cbranch_execz .LBB6_9149
; %bb.9154:                             ;   in Loop: Header=BB6_9150 Depth=4
	s_sleep 1
	s_cbranch_execnz .LBB6_10011
; %bb.9155:                             ;   in Loop: Header=BB6_9150 Depth=4
	ds_load_b64 v[8:9], v0
	s_and_not1_b32 s40, s40, exec_lo
	s_waitcnt lgkmcnt(0)
	v_cmp_ge_u64_e32 vcc_lo, v[8:9], v[80:81]
	s_or_not1_b32 vcc_lo, vcc_lo, exec_lo
	s_branch .LBB6_9149
.LBB6_9156:                             ;   in Loop: Header=BB6_8990 Depth=3
	s_or_b32 exec_lo, exec_lo, s17
	s_and_saveexec_b32 s17, s39
	s_delay_alu instid0(SALU_CYCLE_1)
	s_xor_b32 s17, exec_lo, s17
	s_cbranch_execz .LBB6_9158
; %bb.9157:                             ;   in Loop: Header=BB6_8990 Depth=3
	ds_store_b32 v0, v176
	s_cbranch_execnz .LBB6_10065
.LBB6_9158:                             ;   in Loop: Header=BB6_8990 Depth=3
	s_or_b32 exec_lo, exec_lo, s16
	;;#ASMSTART
	s_wakeup
	;;#ASMEND
.LBB6_9159:                             ;   in Loop: Header=BB6_8990 Depth=3
	s_or_b32 exec_lo, exec_lo, s15
.LBB6_9160:                             ;   in Loop: Header=BB6_8990 Depth=3
	s_and_not1_saveexec_b32 s14, s14
	s_cbranch_execz .LBB6_9162
; %bb.9161:                             ;   in Loop: Header=BB6_8990 Depth=3
	s_waitcnt lgkmcnt(0)
	s_waitcnt_vscnt null, 0x0
	buffer_gl1_inv
	buffer_gl0_inv
	s_barrier
.LBB6_9162:                             ;   in Loop: Header=BB6_8990 Depth=3
	s_or_b32 exec_lo, exec_lo, s14
.LBB6_9163:                             ;   in Loop: Header=BB6_8990 Depth=3
	s_delay_alu instid0(SALU_CYCLE_1) | instskip(SKIP_1) | instid1(SALU_CYCLE_1)
	s_or_b32 exec_lo, exec_lo, s13
                                        ; implicit-def: $vgpr2
	s_and_saveexec_b32 s13, s7
	s_xor_b32 s14, exec_lo, s13
	s_cbranch_execz .LBB6_9167
; %bb.9164:                             ;   in Loop: Header=BB6_8990 Depth=3
	v_and_b32_e32 v2, 16, v30
	v_cmp_lt_i32_e32 vcc_lo, 0, v19
	s_delay_alu instid0(VALU_DEP_2) | instskip(SKIP_1) | instid1(VALU_DEP_2)
	v_cmp_ne_u32_e64 s13, 0, v2
	v_and_b32_e32 v2, 16, v30
	s_and_b32 s15, s13, vcc_lo
	s_delay_alu instid0(SALU_CYCLE_1)
	s_and_saveexec_b32 s13, s15
	s_cbranch_execz .LBB6_9166
; %bb.9165:                             ;   in Loop: Header=BB6_8990 Depth=3
	v_mov_b32_e32 v2, 1
	s_waitcnt lgkmcnt(0)
	s_waitcnt_vscnt null, 0x0
	buffer_gl1_inv
	buffer_gl0_inv
.LBB6_9166:                             ;   in Loop: Header=BB6_8990 Depth=3
	s_or_b32 exec_lo, exec_lo, s13
.LBB6_9167:                             ;   in Loop: Header=BB6_8990 Depth=3
	s_and_not1_saveexec_b32 s13, s14
	s_cbranch_execz .LBB6_9189
; %bb.9168:                             ;   in Loop: Header=BB6_8990 Depth=3
	s_and_saveexec_b32 s14, s4
	s_delay_alu instid0(SALU_CYCLE_1)
	s_xor_b32 s14, exec_lo, s14
	s_cbranch_execz .LBB6_9186
; %bb.9169:                             ;   in Loop: Header=BB6_8990 Depth=3
	s_and_saveexec_b32 s15, s1
	s_cbranch_execz .LBB6_9185
; %bb.9170:                             ;   in Loop: Header=BB6_8990 Depth=3
	s_mov_b32 s17, exec_lo
	s_mov_b32 s16, exec_lo
	v_mbcnt_lo_u32_b32 v2, s17, 0
	;;#ASMSTART
	s_waitcnt lgkmcnt(0) vmcnt(0)
	;;#ASMEND
	s_delay_alu instid0(VALU_DEP_1)
	v_cmpx_eq_u32_e32 0, v2
	s_cbranch_execz .LBB6_9172
; %bb.9171:                             ;   in Loop: Header=BB6_8990 Depth=3
	s_bcnt1_i32_b32 s17, s17
	s_delay_alu instid0(SALU_CYCLE_1)
	v_mov_b32_e32 v2, s17
	ds_add_u64 v0, v[2:3]
	s_cbranch_execnz .LBB6_9981
.LBB6_9172:                             ;   in Loop: Header=BB6_8990 Depth=3
	s_or_b32 exec_lo, exec_lo, s16
	s_cbranch_execnz .LBB6_9961
; %bb.9173:                             ;   in Loop: Header=BB6_8990 Depth=3
	ds_load_b64 v[8:9], v0
	v_add_co_u32 v80, vcc_lo, v80, v129
	v_add_co_ci_u32_e32 v81, vcc_lo, 0, v81, vcc_lo
	s_mov_b32 s16, exec_lo
	s_waitcnt lgkmcnt(0)
	s_delay_alu instid0(VALU_DEP_1)
	v_cmpx_lt_u64_e64 v[8:9], v[80:81]
	s_cbranch_execz .LBB6_9184
; %bb.9174:                             ;   in Loop: Header=BB6_8990 Depth=3
	s_mov_b32 s17, 0
	s_mov_b32 s41, 0
                                        ; implicit-def: $sgpr39
                                        ; implicit-def: $sgpr40
	s_branch .LBB6_9176
.LBB6_9175:                             ;   in Loop: Header=BB6_9176 Depth=4
	s_or_b32 exec_lo, exec_lo, s43
	s_delay_alu instid0(SALU_CYCLE_1) | instskip(NEXT) | instid1(SALU_CYCLE_1)
	s_and_b32 vcc_lo, exec_lo, vcc_lo
	s_or_b32 s17, vcc_lo, s17
	s_and_not1_b32 vcc_lo, s39, exec_lo
	s_and_b32 s39, s40, exec_lo
	s_delay_alu instid0(SALU_CYCLE_1)
	s_or_b32 s39, vcc_lo, s39
	s_and_not1_b32 exec_lo, exec_lo, s17
	s_cbranch_execz .LBB6_9182
.LBB6_9176:                             ;   Parent Loop BB6_51 Depth=1
                                        ;     Parent Loop BB6_8988 Depth=2
                                        ;       Parent Loop BB6_8990 Depth=3
                                        ; =>      This Inner Loop Header: Depth=4
	s_add_i32 s41, s41, 1
                                        ; implicit-def: $sgpr43
	s_delay_alu instid0(SALU_CYCLE_1) | instskip(SKIP_1) | instid1(SALU_CYCLE_1)
	s_cmpk_lg_i32 s41, 0x2710
	s_cselect_b32 s42, -1, 0
	s_and_b32 vcc_lo, exec_lo, s42
	s_cbranch_vccz .LBB6_9180
.LBB6_9177:                             ;   in Loop: Header=BB6_9176 Depth=4
	s_and_not1_b32 s40, s40, exec_lo
	s_and_b32 s43, s43, exec_lo
	s_mov_b32 vcc_lo, -1
	s_or_b32 s40, s40, s43
	s_and_saveexec_b32 s43, s42
	s_cbranch_execz .LBB6_9175
; %bb.9178:                             ;   in Loop: Header=BB6_9176 Depth=4
	s_sleep 1
	s_cbranch_execnz .LBB6_10017
; %bb.9179:                             ;   in Loop: Header=BB6_9176 Depth=4
	ds_load_b64 v[8:9], v0
	s_and_not1_b32 s40, s40, exec_lo
	s_waitcnt lgkmcnt(0)
	v_cmp_ge_u64_e32 vcc_lo, v[8:9], v[80:81]
	s_or_not1_b32 vcc_lo, vcc_lo, exec_lo
	s_branch .LBB6_9175
.LBB6_9180:                             ;   in Loop: Header=BB6_9176 Depth=4
	s_cbranch_execnz .LBB6_10023
; %bb.9181:                             ;   in Loop: Header=BB6_9176 Depth=4
	ds_load_b64 v[8:9], v0
	s_and_not1_b32 s42, s42, exec_lo
	s_mov_b32 s41, 0
	s_mov_b32 s43, -1
	s_waitcnt lgkmcnt(0)
	s_waitcnt_vscnt null, 0x0
	flat_load_b32 v2, v[8:9] glc
	s_waitcnt vmcnt(0) lgkmcnt(0)
	buffer_gl1_inv
	buffer_gl0_inv
	v_cmp_eq_u32_e32 vcc_lo, 0, v2
	s_and_b32 vcc_lo, vcc_lo, exec_lo
	s_delay_alu instid0(SALU_CYCLE_1)
	s_or_b32 s42, s42, vcc_lo
	s_branch .LBB6_9177
.LBB6_9182:                             ;   in Loop: Header=BB6_8990 Depth=3
	s_or_b32 exec_lo, exec_lo, s17
	s_and_saveexec_b32 s17, s39
	s_delay_alu instid0(SALU_CYCLE_1)
	s_xor_b32 s17, exec_lo, s17
	s_cbranch_execz .LBB6_9184
; %bb.9183:                             ;   in Loop: Header=BB6_8990 Depth=3
	ds_store_b32 v0, v176
	s_cbranch_execnz .LBB6_10067
.LBB6_9184:                             ;   in Loop: Header=BB6_8990 Depth=3
	s_or_b32 exec_lo, exec_lo, s16
	;;#ASMSTART
	s_wakeup
	;;#ASMEND
.LBB6_9185:                             ;   in Loop: Header=BB6_8990 Depth=3
	s_or_b32 exec_lo, exec_lo, s15
.LBB6_9186:                             ;   in Loop: Header=BB6_8990 Depth=3
	s_and_not1_saveexec_b32 s14, s14
	s_cbranch_execz .LBB6_9188
; %bb.9187:                             ;   in Loop: Header=BB6_8990 Depth=3
	;;#ASMSTART
	s_waitcnt lgkmcnt(0) vmcnt(0)
	;;#ASMEND
	s_waitcnt lgkmcnt(0)
	s_waitcnt_vscnt null, 0x0
	s_barrier
.LBB6_9188:                             ;   in Loop: Header=BB6_8990 Depth=3
	s_or_b32 exec_lo, exec_lo, s14
	v_and_b32_e32 v2, 16, v30
.LBB6_9189:                             ;   in Loop: Header=BB6_8990 Depth=3
	s_or_b32 exec_lo, exec_lo, s13
	s_delay_alu instid0(VALU_DEP_1) | instskip(SKIP_1) | instid1(SALU_CYCLE_1)
	v_cmp_ne_u32_e32 vcc_lo, 0, v2
	s_xor_b32 s13, s10, -1
	s_and_b32 s14, vcc_lo, s13
	s_delay_alu instid0(SALU_CYCLE_1)
	s_and_saveexec_b32 s13, s14
	s_cbranch_execz .LBB6_9191
; %bb.9190:                             ;   in Loop: Header=BB6_8990 Depth=3
	s_waitcnt lgkmcnt(0)
	s_waitcnt_vscnt null, 0x0
	flat_store_b32 v[70:71], v176
.LBB6_9191:                             ;   in Loop: Header=BB6_8990 Depth=3
	s_or_b32 exec_lo, exec_lo, s13
	v_and_b32_e32 v2, 48, v30
	s_mov_b32 s13, exec_lo
	s_delay_alu instid0(VALU_DEP_1)
	v_cmpx_ne_u32_e32 0, v2
	s_cbranch_execz .LBB6_9193
; %bb.9192:                             ;   in Loop: Header=BB6_8990 Depth=3
	v_add_co_u32 v66, vcc_lo, v66, 2
	v_add_co_ci_u32_e32 v67, vcc_lo, 0, v67, vcc_lo
	s_waitcnt lgkmcnt(0)
	s_waitcnt_vscnt null, 0x0
	flat_store_b64 v[64:65], v[66:67]
.LBB6_9193:                             ;   in Loop: Header=BB6_8990 Depth=3
	s_or_b32 exec_lo, exec_lo, s13
	v_add_nc_u32_e32 v16, v12, v16
	s_xor_b32 s13, s37, -1
	v_mov_b32_e32 v2, s38
	s_mov_b32 s37, 0
	s_mov_b32 s38, 2
	v_cmp_ge_i32_e32 vcc_lo, v16, v15
	s_or_b32 s13, s13, vcc_lo
	s_delay_alu instid0(SALU_CYCLE_1) | instskip(NEXT) | instid1(SALU_CYCLE_1)
	s_and_b32 s13, exec_lo, s13
	s_or_b32 s36, s13, s36
	s_delay_alu instid0(SALU_CYCLE_1)
	s_and_not1_b32 exec_lo, exec_lo, s36
	s_cbranch_execnz .LBB6_8990
; %bb.9194:                             ;   in Loop: Header=BB6_8988 Depth=2
	s_or_b32 exec_lo, exec_lo, s36
.LBB6_9195:                             ;   in Loop: Header=BB6_8988 Depth=2
	s_delay_alu instid0(SALU_CYCLE_1) | instskip(NEXT) | instid1(SALU_CYCLE_1)
	s_or_b32 exec_lo, exec_lo, s35
	s_mov_b32 s14, exec_lo
	v_cmpx_gt_i32_e32 2, v2
	s_cbranch_execz .LBB6_9281
; %bb.9196:                             ;   in Loop: Header=BB6_8988 Depth=2
	v_cmp_eq_u32_e64 s13, 0, v2
	s_mov_b32 s15, 0
.LBB6_9197:                             ;   Parent Loop BB6_51 Depth=1
                                        ;     Parent Loop BB6_8988 Depth=2
                                        ; =>    This Loop Header: Depth=3
                                        ;         Child Loop BB6_9203 Depth 4
                                        ;         Child Loop BB6_9235 Depth 4
	;; [unrolled: 1-line block ×3, first 2 shown]
	v_and_b32_e32 v2, 12, v30
	s_mov_b32 s17, -1
	s_mov_b32 s16, exec_lo
	s_delay_alu instid0(VALU_DEP_1)
	v_cmpx_ne_u32_e32 0, v2
	s_cbranch_execz .LBB6_9211
; %bb.9198:                             ;   in Loop: Header=BB6_9197 Depth=3
	v_and_b32_e32 v2, 8, v30
	s_delay_alu instid0(VALU_DEP_1) | instskip(SKIP_3) | instid1(VALU_DEP_1)
	v_add_co_u32 v10, vcc_lo, v82, v2
	v_add_co_ci_u32_e32 v11, vcc_lo, 0, v83, vcc_lo
	v_add_co_u32 v8, vcc_lo, v66, 2
	v_add_co_ci_u32_e32 v9, vcc_lo, 0, v67, vcc_lo
	v_cmp_lt_u64_e32 vcc_lo, v[10:11], v[8:9]
	v_mov_b32_e32 v10, 1
	s_and_saveexec_b32 s17, vcc_lo
	s_cbranch_execz .LBB6_9210
; %bb.9199:                             ;   in Loop: Header=BB6_9197 Depth=3
	v_mov_b32_e32 v10, 0
	s_mov_b32 s35, 0
                                        ; implicit-def: $sgpr36
	s_branch .LBB6_9203
.LBB6_9200:                             ;   in Loop: Header=BB6_9203 Depth=4
	s_or_b32 exec_lo, exec_lo, s40
	v_mov_b32_e32 v11, 0
	s_or_not1_b32 s39, s39, exec_lo
.LBB6_9201:                             ;   in Loop: Header=BB6_9203 Depth=4
	s_or_b32 exec_lo, exec_lo, s38
	s_delay_alu instid0(VALU_DEP_1) | instskip(SKIP_2) | instid1(SALU_CYCLE_1)
	v_mov_b32_e32 v10, v11
	s_and_not1_b32 vcc_lo, s36, exec_lo
	s_and_b32 s36, s39, exec_lo
	s_or_b32 s36, vcc_lo, s36
.LBB6_9202:                             ;   in Loop: Header=BB6_9203 Depth=4
	s_or_b32 exec_lo, exec_lo, s37
	s_waitcnt vmcnt(0) lgkmcnt(0)
	v_add_co_u32 v13, vcc_lo, v82, v2
	v_add_co_ci_u32_e32 v14, vcc_lo, 0, v83, vcc_lo
	s_xor_b32 s37, s36, -1
	s_delay_alu instid0(VALU_DEP_1) | instskip(SKIP_1) | instid1(SALU_CYCLE_1)
	v_cmp_ge_u64_e32 vcc_lo, v[13:14], v[8:9]
	s_or_b32 vcc_lo, s37, vcc_lo
	s_and_b32 vcc_lo, exec_lo, vcc_lo
	s_delay_alu instid0(SALU_CYCLE_1) | instskip(NEXT) | instid1(SALU_CYCLE_1)
	s_or_b32 s35, vcc_lo, s35
	s_and_not1_b32 exec_lo, exec_lo, s35
	s_cbranch_execz .LBB6_9209
.LBB6_9203:                             ;   Parent Loop BB6_51 Depth=1
                                        ;     Parent Loop BB6_8988 Depth=2
                                        ;       Parent Loop BB6_9197 Depth=3
                                        ; =>      This Inner Loop Header: Depth=4
	s_sleep 1
	flat_load_b64 v[82:83], v[64:65] glc
	v_and_b32_e32 v11, 64, v30
	s_and_not1_b32 s36, s36, exec_lo
	s_mov_b32 s37, exec_lo
	s_delay_alu instid0(VALU_DEP_1)
	v_cmpx_eq_u32_e32 0, v11
	s_cbranch_execz .LBB6_9202
; %bb.9204:                             ;   in Loop: Header=BB6_9203 Depth=4
	v_add_nc_u32_e32 v11, 1, v10
	s_mov_b32 s39, -1
	s_mov_b32 s38, exec_lo
	v_cmpx_lt_i32_e32 0x270e, v10
	s_cbranch_execz .LBB6_9201
; %bb.9205:                             ;   in Loop: Header=BB6_9203 Depth=4
	s_cbranch_execnz .LBB6_9725
; %bb.9206:                             ;   in Loop: Header=BB6_9203 Depth=4
	ds_load_b64 v[10:11], v0
	s_mov_b32 s40, exec_lo
	s_waitcnt vmcnt(0) lgkmcnt(0)
	s_waitcnt_vscnt null, 0x0
	flat_load_b32 v10, v[10:11] glc
	s_waitcnt vmcnt(0) lgkmcnt(0)
	buffer_gl1_inv
	buffer_gl0_inv
	v_cmpx_ne_u32_e32 0, v10
	s_cbranch_execz .LBB6_9200
; %bb.9207:                             ;   in Loop: Header=BB6_9203 Depth=4
	ds_store_b32 v0, v10
	s_cbranch_execnz .LBB6_9809
; %bb.9208:                             ;   in Loop: Header=BB6_9203 Depth=4
	v_or_b32_e32 v30, 64, v30
	s_xor_b32 s39, exec_lo, -1
	s_branch .LBB6_9200
.LBB6_9209:                             ;   in Loop: Header=BB6_9197 Depth=3
	s_or_b32 exec_lo, exec_lo, s35
	v_and_b32_e32 v10, 12, v30
.LBB6_9210:                             ;   in Loop: Header=BB6_9197 Depth=3
	s_or_b32 exec_lo, exec_lo, s17
	s_delay_alu instid0(VALU_DEP_1)
	v_cmp_eq_u32_e32 vcc_lo, 0, v10
	;;#ASMSTART
	s_wakeup
	;;#ASMEND
	s_or_not1_b32 s17, vcc_lo, exec_lo
.LBB6_9211:                             ;   in Loop: Header=BB6_9197 Depth=3
	s_or_b32 exec_lo, exec_lo, s16
	v_sub_nc_u32_e32 v2, v15, v16
	s_xor_b32 s13, s13, -1
	s_delay_alu instid0(SALU_CYCLE_1) | instskip(NEXT) | instid1(SALU_CYCLE_1)
	s_and_b32 s13, exec_lo, s13
	s_or_b32 s15, s13, s15
	s_delay_alu instid0(VALU_DEP_1) | instskip(SKIP_1) | instid1(SALU_CYCLE_1)
	v_min_i32_e32 v12, v12, v2
	s_xor_b32 s13, s17, -1
	s_and_saveexec_b32 s16, s13
	s_cbranch_execz .LBB6_9226
; %bb.9212:                             ;   in Loop: Header=BB6_9197 Depth=3
	v_and_b32_e32 v2, 0x108, v30
	s_mov_b32 s13, exec_lo
	s_delay_alu instid0(VALU_DEP_1)
	v_cmpx_ne_u32_e32 0x108, v2
	s_xor_b32 s13, exec_lo, s13
                                        ; implicit-def: $vgpr8_vgpr9
; %bb.9213:                             ;   in Loop: Header=BB6_9197 Depth=3
	v_and_b32_e32 v8, 7, v66
; %bb.9214:                             ;   in Loop: Header=BB6_9197 Depth=3
	s_and_not1_saveexec_b32 s13, s13
	s_cbranch_execz .LBB6_9216
; %bb.9215:                             ;   in Loop: Header=BB6_9197 Depth=3
	v_and_b32_e32 v8, 7, v66
	v_ashrrev_i32_e32 v13, 31, v12
	s_delay_alu instid0(VALU_DEP_2)
	v_mad_u64_u32 v[9:10], null, v8, 24, v[6:7]
	flat_store_b64 v[9:10], v[12:13] offset:8
.LBB6_9216:                             ;   in Loop: Header=BB6_9197 Depth=3
	s_or_b32 exec_lo, exec_lo, s13
	v_and_b32_e32 v2, 0x100, v30
	s_mov_b32 s13, -1
	s_mov_b32 s17, exec_lo
                                        ; implicit-def: $vgpr9_vgpr10
	s_delay_alu instid0(VALU_DEP_1)
	v_cmpx_ne_u32_e32 0, v2
	s_cbranch_execnz .LBB6_9219
; %bb.9217:                             ;   in Loop: Header=BB6_9197 Depth=3
	s_or_b32 exec_lo, exec_lo, s17
	s_and_saveexec_b32 s17, s13
	s_cbranch_execnz .LBB6_9222
.LBB6_9218:                             ;   in Loop: Header=BB6_9197 Depth=3
	s_or_b32 exec_lo, exec_lo, s17
	s_cbranch_execnz .LBB6_9715
	s_branch .LBB6_9223
.LBB6_9219:                             ;   in Loop: Header=BB6_9197 Depth=3
	v_mad_u64_u32 v[13:14], null, v8, 24, v[6:7]
	s_mov_b32 s35, exec_lo
	s_delay_alu instid0(VALU_DEP_1) | instskip(NEXT) | instid1(VALU_DEP_1)
	v_mov_b32_e32 v2, v14
	v_mad_u64_u32 v[9:10], null, v3, 24, v[2:3]
	s_delay_alu instid0(VALU_DEP_1)
	v_mov_b32_e32 v14, v9
                                        ; implicit-def: $vgpr9_vgpr10
	flat_load_b32 v2, v[13:14]
	s_waitcnt vmcnt(0) lgkmcnt(0)
	v_cmp_ne_u32_e32 vcc_lo, 1, v2
	v_cmpx_eq_u32_e32 1, v2
	s_cbranch_execz .LBB6_9221
; %bb.9220:                             ;   in Loop: Header=BB6_9197 Depth=3
	flat_load_b32 v9, v[13:14] offset:4 glc
	s_waitcnt vmcnt(0) lgkmcnt(0)
	v_ashrrev_i32_e32 v10, 31, v9
.LBB6_9221:                             ;   in Loop: Header=BB6_9197 Depth=3
	s_or_b32 exec_lo, exec_lo, s35
	s_delay_alu instid0(SALU_CYCLE_1)
	s_or_not1_b32 s13, vcc_lo, exec_lo
	s_or_b32 exec_lo, exec_lo, s17
	s_and_saveexec_b32 s17, s13
	s_cbranch_execz .LBB6_9218
.LBB6_9222:                             ;   in Loop: Header=BB6_9197 Depth=3
	v_mul_lo_u32 v2, v3, v118
	v_mul_lo_u32 v11, v8, v128
	v_mad_u64_u32 v[9:10], null, v8, v118, 0
	s_delay_alu instid0(VALU_DEP_1)
	v_add3_u32 v10, v10, v11, v2
	s_or_b32 exec_lo, exec_lo, s17
	s_cbranch_execnz .LBB6_9715
.LBB6_9223:                             ;   in Loop: Header=BB6_9197 Depth=3
	s_delay_alu instid0(VALU_DEP_2)
	v_add_co_u32 v8, vcc_lo, v68, v9
	v_and_b32_e32 v2, 0x2000, v30
	v_add_co_ci_u32_e32 v9, vcc_lo, v69, v10, vcc_lo
	s_mov_b32 s13, exec_lo
	ds_store_b64 v0, v[8:9]
	v_cmpx_ne_u32_e32 0, v2
	s_cbranch_execz .LBB6_9225
; %bb.9224:                             ;   in Loop: Header=BB6_9197 Depth=3
	ds_load_b64 v[8:9], v0 offset:584
	s_waitcnt lgkmcnt(0)
	v_add_co_u32 v8, vcc_lo, v8, 1
	v_add_co_ci_u32_e32 v9, vcc_lo, 0, v9, vcc_lo
	ds_store_b64 v0, v[8:9] offset:584
.LBB6_9225:                             ;   in Loop: Header=BB6_9197 Depth=3
	s_or_b32 exec_lo, exec_lo, s13
	v_add_co_u32 v66, vcc_lo, v66, 2
	v_add_co_ci_u32_e32 v67, vcc_lo, 0, v67, vcc_lo
.LBB6_9226:                             ;   in Loop: Header=BB6_9197 Depth=3
	s_or_b32 exec_lo, exec_lo, s16
	s_and_saveexec_b32 s13, s3
	s_cbranch_execz .LBB6_9248
; %bb.9227:                             ;   in Loop: Header=BB6_9197 Depth=3
	s_and_saveexec_b32 s16, s4
	s_delay_alu instid0(SALU_CYCLE_1)
	s_xor_b32 s16, exec_lo, s16
	s_cbranch_execz .LBB6_9245
; %bb.9228:                             ;   in Loop: Header=BB6_9197 Depth=3
	s_and_saveexec_b32 s17, s1
	s_cbranch_execz .LBB6_9244
; %bb.9229:                             ;   in Loop: Header=BB6_9197 Depth=3
	s_mov_b32 s36, exec_lo
	s_mov_b32 s35, exec_lo
	v_mbcnt_lo_u32_b32 v2, s36, 0
	s_waitcnt lgkmcnt(0)
	s_waitcnt_vscnt null, 0x0
	buffer_gl1_inv
	buffer_gl0_inv
	v_cmpx_eq_u32_e32 0, v2
	s_cbranch_execz .LBB6_9231
; %bb.9230:                             ;   in Loop: Header=BB6_9197 Depth=3
	s_bcnt1_i32_b32 vcc_lo, s36
	s_delay_alu instid0(SALU_CYCLE_1)
	v_mov_b32_e32 v2, vcc_lo
	ds_add_u64 v0, v[2:3]
	s_cbranch_execnz .LBB6_9865
.LBB6_9231:                             ;   in Loop: Header=BB6_9197 Depth=3
	s_or_b32 exec_lo, exec_lo, s35
	s_cbranch_execnz .LBB6_9835
; %bb.9232:                             ;   in Loop: Header=BB6_9197 Depth=3
	ds_load_b64 v[8:9], v0
	v_add_co_u32 v80, vcc_lo, v80, v129
	v_add_co_ci_u32_e32 v81, vcc_lo, 0, v81, vcc_lo
	s_mov_b32 s35, exec_lo
	s_waitcnt lgkmcnt(0)
	s_delay_alu instid0(VALU_DEP_1)
	v_cmpx_lt_u64_e64 v[8:9], v[80:81]
	s_cbranch_execz .LBB6_9243
; %bb.9233:                             ;   in Loop: Header=BB6_9197 Depth=3
	s_mov_b32 s36, 0
	s_mov_b32 s39, 0
                                        ; implicit-def: $sgpr37
                                        ; implicit-def: $sgpr38
	s_branch .LBB6_9235
.LBB6_9234:                             ;   in Loop: Header=BB6_9235 Depth=4
	s_or_b32 exec_lo, exec_lo, s41
	s_delay_alu instid0(SALU_CYCLE_1) | instskip(NEXT) | instid1(SALU_CYCLE_1)
	s_and_b32 vcc_lo, exec_lo, vcc_lo
	s_or_b32 s36, vcc_lo, s36
	s_and_not1_b32 vcc_lo, s37, exec_lo
	s_and_b32 s37, s38, exec_lo
	s_delay_alu instid0(SALU_CYCLE_1)
	s_or_b32 s37, vcc_lo, s37
	s_and_not1_b32 exec_lo, exec_lo, s36
	s_cbranch_execz .LBB6_9241
.LBB6_9235:                             ;   Parent Loop BB6_51 Depth=1
                                        ;     Parent Loop BB6_8988 Depth=2
                                        ;       Parent Loop BB6_9197 Depth=3
                                        ; =>      This Inner Loop Header: Depth=4
	s_add_i32 s39, s39, 1
                                        ; implicit-def: $sgpr41
	s_delay_alu instid0(SALU_CYCLE_1) | instskip(SKIP_1) | instid1(SALU_CYCLE_1)
	s_cmpk_lg_i32 s39, 0x2710
	s_cselect_b32 s40, -1, 0
	s_and_b32 vcc_lo, exec_lo, s40
	s_cbranch_vccz .LBB6_9239
.LBB6_9236:                             ;   in Loop: Header=BB6_9235 Depth=4
	s_and_not1_b32 s38, s38, exec_lo
	s_and_b32 s41, s41, exec_lo
	s_mov_b32 vcc_lo, -1
	s_or_b32 s38, s38, s41
	s_and_saveexec_b32 s41, s40
	s_cbranch_execz .LBB6_9234
; %bb.9237:                             ;   in Loop: Header=BB6_9235 Depth=4
	s_sleep 1
	s_cbranch_execnz .LBB6_9915
; %bb.9238:                             ;   in Loop: Header=BB6_9235 Depth=4
	ds_load_b64 v[8:9], v0
	s_and_not1_b32 s38, s38, exec_lo
	s_waitcnt lgkmcnt(0)
	v_cmp_ge_u64_e32 vcc_lo, v[8:9], v[80:81]
	s_or_not1_b32 vcc_lo, vcc_lo, exec_lo
	s_branch .LBB6_9234
.LBB6_9239:                             ;   in Loop: Header=BB6_9235 Depth=4
	s_cbranch_execnz .LBB6_9933
; %bb.9240:                             ;   in Loop: Header=BB6_9235 Depth=4
	ds_load_b64 v[8:9], v0
	s_and_not1_b32 s40, s40, exec_lo
	s_mov_b32 s39, 0
	s_mov_b32 s41, -1
	s_waitcnt lgkmcnt(0)
	flat_load_b32 v2, v[8:9] glc
	s_waitcnt vmcnt(0) lgkmcnt(0)
	buffer_gl1_inv
	buffer_gl0_inv
	v_cmp_eq_u32_e32 vcc_lo, 0, v2
	s_and_b32 vcc_lo, vcc_lo, exec_lo
	s_delay_alu instid0(SALU_CYCLE_1)
	s_or_b32 s40, s40, vcc_lo
	s_branch .LBB6_9236
.LBB6_9241:                             ;   in Loop: Header=BB6_9197 Depth=3
	s_or_b32 exec_lo, exec_lo, s36
	s_and_saveexec_b32 vcc_lo, s37
	s_delay_alu instid0(SALU_CYCLE_1)
	s_xor_b32 vcc_lo, exec_lo, vcc_lo
	s_cbranch_execz .LBB6_9243
; %bb.9242:                             ;   in Loop: Header=BB6_9197 Depth=3
	ds_store_b32 v0, v176
	s_cbranch_execnz .LBB6_10047
.LBB6_9243:                             ;   in Loop: Header=BB6_9197 Depth=3
	s_or_b32 exec_lo, exec_lo, s35
	;;#ASMSTART
	s_wakeup
	;;#ASMEND
.LBB6_9244:                             ;   in Loop: Header=BB6_9197 Depth=3
	s_or_b32 exec_lo, exec_lo, s17
.LBB6_9245:                             ;   in Loop: Header=BB6_9197 Depth=3
	s_and_not1_saveexec_b32 s16, s16
	s_cbranch_execz .LBB6_9247
; %bb.9246:                             ;   in Loop: Header=BB6_9197 Depth=3
	s_waitcnt lgkmcnt(0)
	s_waitcnt_vscnt null, 0x0
	buffer_gl1_inv
	buffer_gl0_inv
	s_barrier
.LBB6_9247:                             ;   in Loop: Header=BB6_9197 Depth=3
	s_or_b32 exec_lo, exec_lo, s16
.LBB6_9248:                             ;   in Loop: Header=BB6_9197 Depth=3
	s_delay_alu instid0(SALU_CYCLE_1) | instskip(SKIP_1) | instid1(SALU_CYCLE_1)
	s_or_b32 exec_lo, exec_lo, s13
                                        ; implicit-def: $vgpr2
	s_and_saveexec_b32 s13, s7
	s_xor_b32 s16, exec_lo, s13
	s_cbranch_execz .LBB6_9253
; %bb.9249:                             ;   in Loop: Header=BB6_9197 Depth=3
	s_cbranch_execnz .LBB6_9747
; %bb.9250:                             ;   in Loop: Header=BB6_9197 Depth=3
	ds_load_b32 v2, v0
	v_cmp_lt_i32_e32 vcc_lo, 0, v12
	s_waitcnt lgkmcnt(0)
	v_readfirstlane_b32 s13, v2
	v_and_b32_e32 v2, 16, v30
	s_delay_alu instid0(VALU_DEP_2) | instskip(NEXT) | instid1(VALU_DEP_1)
	s_cmp_eq_u32 s13, 0
	v_cmp_ne_u32_e64 s13, 0, v2
	s_cselect_b32 s17, -1, 0
	v_and_b32_e32 v2, 16, v30
	s_and_b32 s17, vcc_lo, s17
	s_delay_alu instid0(VALU_DEP_2) | instid1(SALU_CYCLE_1)
	s_and_b32 s17, s13, s17
	s_delay_alu instid0(SALU_CYCLE_1)
	s_and_saveexec_b32 s13, s17
	s_cbranch_execz .LBB6_9252
; %bb.9251:                             ;   in Loop: Header=BB6_9197 Depth=3
	v_mov_b32_e32 v2, 1
	s_waitcnt_vscnt null, 0x0
	buffer_gl1_inv
	buffer_gl0_inv
.LBB6_9252:                             ;   in Loop: Header=BB6_9197 Depth=3
	s_or_b32 exec_lo, exec_lo, s13
.LBB6_9253:                             ;   in Loop: Header=BB6_9197 Depth=3
	s_and_not1_saveexec_b32 s13, s16
	s_cbranch_execz .LBB6_9275
; %bb.9254:                             ;   in Loop: Header=BB6_9197 Depth=3
	s_and_saveexec_b32 s16, s4
	s_delay_alu instid0(SALU_CYCLE_1)
	s_xor_b32 s16, exec_lo, s16
	s_cbranch_execz .LBB6_9272
; %bb.9255:                             ;   in Loop: Header=BB6_9197 Depth=3
	s_and_saveexec_b32 s17, s1
	s_cbranch_execz .LBB6_9271
; %bb.9256:                             ;   in Loop: Header=BB6_9197 Depth=3
	s_mov_b32 s36, exec_lo
	s_mov_b32 s35, exec_lo
	v_mbcnt_lo_u32_b32 v2, s36, 0
	;;#ASMSTART
	s_waitcnt lgkmcnt(0) vmcnt(0)
	;;#ASMEND
	s_delay_alu instid0(VALU_DEP_1)
	v_cmpx_eq_u32_e32 0, v2
	s_cbranch_execz .LBB6_9258
; %bb.9257:                             ;   in Loop: Header=BB6_9197 Depth=3
	s_bcnt1_i32_b32 vcc_lo, s36
	s_delay_alu instid0(SALU_CYCLE_1)
	v_mov_b32_e32 v2, vcc_lo
	ds_add_u64 v0, v[2:3]
	s_cbranch_execnz .LBB6_9885
.LBB6_9258:                             ;   in Loop: Header=BB6_9197 Depth=3
	s_or_b32 exec_lo, exec_lo, s35
	s_cbranch_execnz .LBB6_9863
; %bb.9259:                             ;   in Loop: Header=BB6_9197 Depth=3
	ds_load_b64 v[8:9], v0
	v_add_co_u32 v80, vcc_lo, v80, v129
	v_add_co_ci_u32_e32 v81, vcc_lo, 0, v81, vcc_lo
	s_mov_b32 s35, exec_lo
	s_waitcnt lgkmcnt(0)
	s_delay_alu instid0(VALU_DEP_1)
	v_cmpx_lt_u64_e64 v[8:9], v[80:81]
	s_cbranch_execz .LBB6_9270
; %bb.9260:                             ;   in Loop: Header=BB6_9197 Depth=3
	s_mov_b32 s36, 0
	s_mov_b32 s39, 0
                                        ; implicit-def: $sgpr37
                                        ; implicit-def: $sgpr38
	s_branch .LBB6_9262
.LBB6_9261:                             ;   in Loop: Header=BB6_9262 Depth=4
	s_or_b32 exec_lo, exec_lo, s41
	s_delay_alu instid0(SALU_CYCLE_1) | instskip(NEXT) | instid1(SALU_CYCLE_1)
	s_and_b32 vcc_lo, exec_lo, vcc_lo
	s_or_b32 s36, vcc_lo, s36
	s_and_not1_b32 vcc_lo, s37, exec_lo
	s_and_b32 s37, s38, exec_lo
	s_delay_alu instid0(SALU_CYCLE_1)
	s_or_b32 s37, vcc_lo, s37
	s_and_not1_b32 exec_lo, exec_lo, s36
	s_cbranch_execz .LBB6_9268
.LBB6_9262:                             ;   Parent Loop BB6_51 Depth=1
                                        ;     Parent Loop BB6_8988 Depth=2
                                        ;       Parent Loop BB6_9197 Depth=3
                                        ; =>      This Inner Loop Header: Depth=4
	s_add_i32 s39, s39, 1
                                        ; implicit-def: $sgpr41
	s_delay_alu instid0(SALU_CYCLE_1) | instskip(SKIP_1) | instid1(SALU_CYCLE_1)
	s_cmpk_lg_i32 s39, 0x2710
	s_cselect_b32 s40, -1, 0
	s_and_b32 vcc_lo, exec_lo, s40
	s_cbranch_vccz .LBB6_9266
.LBB6_9263:                             ;   in Loop: Header=BB6_9262 Depth=4
	s_and_not1_b32 s38, s38, exec_lo
	s_and_b32 s41, s41, exec_lo
	s_mov_b32 vcc_lo, -1
	s_or_b32 s38, s38, s41
	s_and_saveexec_b32 s41, s40
	s_cbranch_execz .LBB6_9261
; %bb.9264:                             ;   in Loop: Header=BB6_9262 Depth=4
	s_sleep 1
	s_cbranch_execnz .LBB6_9941
; %bb.9265:                             ;   in Loop: Header=BB6_9262 Depth=4
	ds_load_b64 v[8:9], v0
	s_and_not1_b32 s38, s38, exec_lo
	s_waitcnt lgkmcnt(0)
	v_cmp_ge_u64_e32 vcc_lo, v[8:9], v[80:81]
	s_or_not1_b32 vcc_lo, vcc_lo, exec_lo
	s_branch .LBB6_9261
.LBB6_9266:                             ;   in Loop: Header=BB6_9262 Depth=4
	s_cbranch_execnz .LBB6_9955
; %bb.9267:                             ;   in Loop: Header=BB6_9262 Depth=4
	ds_load_b64 v[8:9], v0
	s_and_not1_b32 s40, s40, exec_lo
	s_mov_b32 s39, 0
	s_mov_b32 s41, -1
	s_waitcnt lgkmcnt(0)
	s_waitcnt_vscnt null, 0x0
	flat_load_b32 v2, v[8:9] glc
	s_waitcnt vmcnt(0) lgkmcnt(0)
	buffer_gl1_inv
	buffer_gl0_inv
	v_cmp_eq_u32_e32 vcc_lo, 0, v2
	s_and_b32 vcc_lo, vcc_lo, exec_lo
	s_delay_alu instid0(SALU_CYCLE_1)
	s_or_b32 s40, s40, vcc_lo
	s_branch .LBB6_9263
.LBB6_9268:                             ;   in Loop: Header=BB6_9197 Depth=3
	s_or_b32 exec_lo, exec_lo, s36
	s_and_saveexec_b32 vcc_lo, s37
	s_delay_alu instid0(SALU_CYCLE_1)
	s_xor_b32 vcc_lo, exec_lo, vcc_lo
	s_cbranch_execz .LBB6_9270
; %bb.9269:                             ;   in Loop: Header=BB6_9197 Depth=3
	ds_store_b32 v0, v176
	s_cbranch_execnz .LBB6_10055
.LBB6_9270:                             ;   in Loop: Header=BB6_9197 Depth=3
	s_or_b32 exec_lo, exec_lo, s35
	;;#ASMSTART
	s_wakeup
	;;#ASMEND
.LBB6_9271:                             ;   in Loop: Header=BB6_9197 Depth=3
	s_or_b32 exec_lo, exec_lo, s17
.LBB6_9272:                             ;   in Loop: Header=BB6_9197 Depth=3
	s_and_not1_saveexec_b32 s16, s16
	s_cbranch_execz .LBB6_9274
; %bb.9273:                             ;   in Loop: Header=BB6_9197 Depth=3
	;;#ASMSTART
	s_waitcnt lgkmcnt(0) vmcnt(0)
	;;#ASMEND
	s_waitcnt lgkmcnt(0)
	s_waitcnt_vscnt null, 0x0
	s_barrier
.LBB6_9274:                             ;   in Loop: Header=BB6_9197 Depth=3
	s_or_b32 exec_lo, exec_lo, s16
	v_and_b32_e32 v2, 16, v30
.LBB6_9275:                             ;   in Loop: Header=BB6_9197 Depth=3
	s_or_b32 exec_lo, exec_lo, s13
	s_delay_alu instid0(VALU_DEP_1) | instskip(SKIP_1) | instid1(SALU_CYCLE_1)
	v_cmp_ne_u32_e32 vcc_lo, 0, v2
	s_xor_b32 s13, s10, -1
	s_and_b32 s16, vcc_lo, s13
	s_delay_alu instid0(SALU_CYCLE_1)
	s_and_saveexec_b32 s13, s16
	s_cbranch_execz .LBB6_9277
; %bb.9276:                             ;   in Loop: Header=BB6_9197 Depth=3
	s_waitcnt lgkmcnt(0)
	s_waitcnt_vscnt null, 0x0
	flat_store_b32 v[70:71], v176
.LBB6_9277:                             ;   in Loop: Header=BB6_9197 Depth=3
	s_or_b32 exec_lo, exec_lo, s13
	v_and_b32_e32 v2, 48, v30
	s_mov_b32 s13, exec_lo
	s_delay_alu instid0(VALU_DEP_1)
	v_cmpx_ne_u32_e32 0, v2
	s_cbranch_execz .LBB6_9279
; %bb.9278:                             ;   in Loop: Header=BB6_9197 Depth=3
	v_add_co_u32 v66, vcc_lo, v66, 2
	v_add_co_ci_u32_e32 v67, vcc_lo, 0, v67, vcc_lo
	s_waitcnt lgkmcnt(0)
	s_waitcnt_vscnt null, 0x0
	flat_store_b64 v[64:65], v[66:67]
.LBB6_9279:                             ;   in Loop: Header=BB6_9197 Depth=3
	s_or_b32 exec_lo, exec_lo, s13
	v_add_nc_u32_e32 v16, v12, v16
	s_mov_b32 s13, 0
	s_and_not1_b32 exec_lo, exec_lo, s15
	s_cbranch_execnz .LBB6_9197
; %bb.9280:                             ;   in Loop: Header=BB6_8988 Depth=2
	s_or_b32 exec_lo, exec_lo, s15
.LBB6_9281:                             ;   in Loop: Header=BB6_8988 Depth=2
	s_delay_alu instid0(SALU_CYCLE_1) | instskip(SKIP_2) | instid1(VALU_DEP_1)
	s_or_b32 exec_lo, exec_lo, s14
	v_readlane_b32 s14, v122, 6
	s_add_i32 s13, s34, 1
	s_cmp_eq_u32 s34, s14
	s_cbranch_scc1 .LBB6_9283
; %bb.9282:                             ;   in Loop: Header=BB6_8988 Depth=2
	s_mov_b32 s34, s13
	s_branch .LBB6_8988
.LBB6_9283:                             ;   in Loop: Header=BB6_51 Depth=1
	s_mov_b32 s13, s12
	v_mul_lo_u32 v10, v96, s31
	v_mul_lo_u32 v2, v97, s13
	v_mad_u64_u32 v[8:9], null, v96, s13, 0
	v_mov_b32_e32 v14, 0
	s_mov_b32 s16, 0
	s_delay_alu instid0(VALU_DEP_2) | instskip(NEXT) | instid1(VALU_DEP_3)
	v_add3_u32 v9, v9, v10, v2
	v_sub_co_u32 v10, vcc_lo, v98, v8
	s_delay_alu instid0(VALU_DEP_2) | instskip(NEXT) | instid1(VALU_DEP_1)
	v_sub_co_ci_u32_e32 v11, vcc_lo, v99, v9, vcc_lo
	v_cmp_lt_i64_e32 vcc_lo, v[96:97], v[10:11]
	v_cndmask_b32_e32 v10, v10, v96, vcc_lo
	s_delay_alu instid0(VALU_DEP_1) | instskip(NEXT) | instid1(VALU_DEP_1)
	v_max_i32_e32 v12, 0, v10
	v_add_nc_u32_e32 v2, 31, v12
	s_delay_alu instid0(VALU_DEP_1) | instskip(NEXT) | instid1(VALU_DEP_1)
	v_lshrrev_b32_e32 v2, 1, v2
	v_and_b32_e32 v11, 0x3ffffff0, v2
	v_cmp_lt_i32_e32 vcc_lo, 0, v10
	v_mov_b32_e32 v2, 0
	s_delay_alu instid0(VALU_DEP_3) | instskip(SKIP_1) | instid1(SALU_CYCLE_1)
	v_max_i32_e32 v13, s28, v11
	s_and_b32 s13, s30, vcc_lo
	s_and_saveexec_b32 s15, s13
	s_cbranch_execz .LBB6_9444
; %bb.9284:                             ;   in Loop: Header=BB6_51 Depth=1
	v_add_co_u32 v15, vcc_lo, v8, v177
	v_add_co_ci_u32_e32 v16, vcc_lo, v9, v178, vcc_lo
	v_mov_b32_e32 v14, 0
	s_mov_b32 s34, 1
	s_mov_b32 s17, -1
.LBB6_9285:                             ;   Parent Loop BB6_51 Depth=1
                                        ; =>  This Loop Header: Depth=2
                                        ;       Child Loop BB6_9294 Depth 3
                                        ;       Child Loop BB6_9321 Depth 3
                                        ;       Child Loop BB6_9344 Depth 3
                                        ;       Child Loop BB6_9367 Depth 3
                                        ;       Child Loop BB6_9373 Depth 3
                                        ;       Child Loop BB6_9383 Depth 3
                                        ;       Child Loop BB6_9389 Depth 3
                                        ;       Child Loop BB6_9401 Depth 3
                                        ;       Child Loop BB6_9427 Depth 3
	s_and_saveexec_b32 s14, s0
	s_cbranch_execz .LBB6_9288
; %bb.9286:                             ;   in Loop: Header=BB6_9285 Depth=2
	s_cbranch_execnz .LBB6_9699
; %bb.9287:                             ;   in Loop: Header=BB6_9285 Depth=2
	ds_load_b128 v[8:11], v0
	v_ashrrev_i32_e32 v2, 31, v14
	s_waitcnt lgkmcnt(0)
	v_add_co_u32 v17, vcc_lo, v10, v15
	v_add_co_ci_u32_e32 v18, vcc_lo, v11, v16, vcc_lo
	v_add_co_u32 v8, vcc_lo, v8, v15
	v_add_co_ci_u32_e32 v9, vcc_lo, v9, v16, vcc_lo
	s_delay_alu instid0(VALU_DEP_4) | instskip(NEXT) | instid1(VALU_DEP_4)
	v_add_co_u32 v17, vcc_lo, v17, v14
	v_add_co_ci_u32_e32 v18, vcc_lo, v18, v2, vcc_lo
	v_cmp_ne_u64_e32 vcc_lo, 0, v[10:11]
	v_add_co_u32 v8, s13, v8, v14
	s_delay_alu instid0(VALU_DEP_1) | instskip(NEXT) | instid1(VALU_DEP_4)
	v_add_co_ci_u32_e64 v9, s13, v9, v2, s13
	v_dual_cndmask_b32 v11, 0, v18 :: v_dual_cndmask_b32 v10, 0, v17
	ds_store_b64 v0, v[8:9]
	ds_store_b64 v0, v[10:11]
.LBB6_9288:                             ;   in Loop: Header=BB6_9285 Depth=2
	s_or_b32 exec_lo, exec_lo, s14
	v_and_b32_e32 v2, 4, v30
	s_mov_b32 s14, -1
	s_mov_b32 s13, exec_lo
	s_delay_alu instid0(VALU_DEP_1)
	v_cmpx_ne_u32_e32 0, v2
	s_cbranch_execz .LBB6_9302
; %bb.9289:                             ;   in Loop: Header=BB6_9285 Depth=2
	v_add_co_u32 v8, vcc_lo, v66, 2
	v_add_co_ci_u32_e32 v9, vcc_lo, 0, v67, vcc_lo
	v_mov_b32_e32 v2, 1
	s_mov_b32 s14, exec_lo
	s_delay_alu instid0(VALU_DEP_2)
	v_cmpx_lt_u64_e64 v[82:83], v[8:9]
	s_cbranch_execz .LBB6_9301
; %bb.9290:                             ;   in Loop: Header=BB6_9285 Depth=2
	v_mov_b32_e32 v2, 0
	s_mov_b32 s35, 0
                                        ; implicit-def: $sgpr36
	s_branch .LBB6_9294
.LBB6_9291:                             ;   in Loop: Header=BB6_9294 Depth=3
	s_or_b32 exec_lo, exec_lo, s40
	v_mov_b32_e32 v10, 0
	s_or_not1_b32 s39, s39, exec_lo
.LBB6_9292:                             ;   in Loop: Header=BB6_9294 Depth=3
	s_or_b32 exec_lo, exec_lo, s38
	s_delay_alu instid0(VALU_DEP_1) | instskip(SKIP_2) | instid1(SALU_CYCLE_1)
	v_mov_b32_e32 v2, v10
	s_and_not1_b32 vcc_lo, s36, exec_lo
	s_and_b32 s36, s39, exec_lo
	s_or_b32 s36, vcc_lo, s36
.LBB6_9293:                             ;   in Loop: Header=BB6_9294 Depth=3
	s_or_b32 exec_lo, exec_lo, s37
	s_waitcnt vmcnt(0) lgkmcnt(0)
	v_cmp_ge_u64_e32 vcc_lo, v[82:83], v[8:9]
	s_xor_b32 s37, s36, -1
	s_delay_alu instid0(SALU_CYCLE_1) | instskip(NEXT) | instid1(SALU_CYCLE_1)
	s_or_b32 vcc_lo, s37, vcc_lo
	s_and_b32 vcc_lo, exec_lo, vcc_lo
	s_delay_alu instid0(SALU_CYCLE_1) | instskip(NEXT) | instid1(SALU_CYCLE_1)
	s_or_b32 s35, vcc_lo, s35
	s_and_not1_b32 exec_lo, exec_lo, s35
	s_cbranch_execz .LBB6_9300
.LBB6_9294:                             ;   Parent Loop BB6_51 Depth=1
                                        ;     Parent Loop BB6_9285 Depth=2
                                        ; =>    This Inner Loop Header: Depth=3
	s_sleep 1
	flat_load_b64 v[82:83], v[64:65] glc
	v_and_b32_e32 v10, 64, v30
	s_and_not1_b32 s36, s36, exec_lo
	s_mov_b32 s37, exec_lo
	s_delay_alu instid0(VALU_DEP_1)
	v_cmpx_eq_u32_e32 0, v10
	s_cbranch_execz .LBB6_9293
; %bb.9295:                             ;   in Loop: Header=BB6_9294 Depth=3
	v_add_nc_u32_e32 v10, 1, v2
	s_mov_b32 s39, -1
	s_mov_b32 s38, exec_lo
	v_cmpx_lt_i32_e32 0x270e, v2
	s_cbranch_execz .LBB6_9292
; %bb.9296:                             ;   in Loop: Header=BB6_9294 Depth=3
	s_cbranch_execnz .LBB6_9743
; %bb.9297:                             ;   in Loop: Header=BB6_9294 Depth=3
	ds_load_b64 v[10:11], v0
	s_mov_b32 s40, exec_lo
	s_waitcnt vmcnt(0) lgkmcnt(0)
	s_waitcnt_vscnt null, 0x0
	flat_load_b32 v2, v[10:11] glc
	s_waitcnt vmcnt(0) lgkmcnt(0)
	buffer_gl1_inv
	buffer_gl0_inv
	v_cmpx_ne_u32_e32 0, v2
	s_cbranch_execz .LBB6_9291
; %bb.9298:                             ;   in Loop: Header=BB6_9294 Depth=3
	ds_store_b32 v0, v2
	s_cbranch_execnz .LBB6_9821
; %bb.9299:                             ;   in Loop: Header=BB6_9294 Depth=3
	v_or_b32_e32 v30, 64, v30
	s_xor_b32 s39, exec_lo, -1
	s_branch .LBB6_9291
.LBB6_9300:                             ;   in Loop: Header=BB6_9285 Depth=2
	s_or_b32 exec_lo, exec_lo, s35
	v_and_b32_e32 v2, 4, v30
.LBB6_9301:                             ;   in Loop: Header=BB6_9285 Depth=2
	s_or_b32 exec_lo, exec_lo, s14
	s_delay_alu instid0(VALU_DEP_1)
	v_cmp_eq_u32_e32 vcc_lo, 0, v2
	;;#ASMSTART
	s_wakeup
	;;#ASMEND
	s_or_not1_b32 s14, vcc_lo, exec_lo
.LBB6_9302:                             ;   in Loop: Header=BB6_9285 Depth=2
	s_or_b32 exec_lo, exec_lo, s13
	s_xor_b32 s13, s14, -1
	s_delay_alu instid0(SALU_CYCLE_1)
	s_and_saveexec_b32 s14, s13
	s_cbranch_execz .LBB6_9312
; %bb.9303:                             ;   in Loop: Header=BB6_9285 Depth=2
	v_and_b32_e32 v2, 0x100, v30
	s_mov_b32 s13, -1
                                        ; implicit-def: $vgpr8_vgpr9
	s_delay_alu instid0(VALU_DEP_1)
	v_cmp_ne_u32_e32 vcc_lo, 0, v2
	v_and_b32_e32 v2, 7, v66
	s_and_saveexec_b32 s35, vcc_lo
	s_cbranch_execz .LBB6_9307
; %bb.9304:                             ;   in Loop: Header=BB6_9285 Depth=2
	s_delay_alu instid0(VALU_DEP_1) | instskip(SKIP_4) | instid1(VALU_DEP_1)
	v_mad_u64_u32 v[10:11], null, v2, 24, v[6:7]
	flat_load_b32 v8, v[10:11]
	s_waitcnt vmcnt(0) lgkmcnt(0)
	v_cmp_ne_u32_e32 vcc_lo, 1, v8
	v_cmp_eq_u32_e64 s13, 1, v8
                                        ; implicit-def: $vgpr8_vgpr9
	s_and_saveexec_b32 s36, s13
	s_cbranch_execz .LBB6_9306
; %bb.9305:                             ;   in Loop: Header=BB6_9285 Depth=2
	flat_load_b32 v8, v[10:11] offset:4 glc
	s_waitcnt vmcnt(0) lgkmcnt(0)
	v_ashrrev_i32_e32 v9, 31, v8
.LBB6_9306:                             ;   in Loop: Header=BB6_9285 Depth=2
	s_or_b32 exec_lo, exec_lo, s36
	s_delay_alu instid0(SALU_CYCLE_1)
	s_or_not1_b32 s13, vcc_lo, exec_lo
.LBB6_9307:                             ;   in Loop: Header=BB6_9285 Depth=2
	s_or_b32 exec_lo, exec_lo, s35
	s_and_saveexec_b32 vcc_lo, s13
; %bb.9308:                             ;   in Loop: Header=BB6_9285 Depth=2
	v_mad_i64_i32 v[8:9], null, v2, v118, 0
; %bb.9309:                             ;   in Loop: Header=BB6_9285 Depth=2
	s_or_b32 exec_lo, exec_lo, vcc_lo
	s_delay_alu instid0(VALU_DEP_1) | instskip(SKIP_1) | instid1(VALU_DEP_3)
	v_add_co_u32 v8, vcc_lo, v68, v8
	v_and_b32_e32 v2, 0x2000, v30
	v_add_co_ci_u32_e32 v9, vcc_lo, v69, v9, vcc_lo
	s_mov_b32 s13, exec_lo
	ds_store_b64 v0, v[8:9] offset:720
	v_cmpx_ne_u32_e32 0, v2
	s_cbranch_execz .LBB6_9311
; %bb.9310:                             ;   in Loop: Header=BB6_9285 Depth=2
	ds_load_b64 v[8:9], v0 offset:584
	s_waitcnt lgkmcnt(0)
	v_add_co_u32 v8, vcc_lo, v8, 1
	v_add_co_ci_u32_e32 v9, vcc_lo, 0, v9, vcc_lo
	ds_store_b64 v0, v[8:9] offset:584
.LBB6_9311:                             ;   in Loop: Header=BB6_9285 Depth=2
	s_or_b32 exec_lo, exec_lo, s13
	v_add_co_u32 v66, vcc_lo, v66, 2
	v_add_co_ci_u32_e32 v67, vcc_lo, 0, v67, vcc_lo
.LBB6_9312:                             ;   in Loop: Header=BB6_9285 Depth=2
	s_or_b32 exec_lo, exec_lo, s14
	s_and_saveexec_b32 s13, s3
	s_cbranch_execz .LBB6_9334
; %bb.9313:                             ;   in Loop: Header=BB6_9285 Depth=2
	s_and_saveexec_b32 s14, s4
	s_delay_alu instid0(SALU_CYCLE_1)
	s_xor_b32 s14, exec_lo, s14
	s_cbranch_execz .LBB6_9331
; %bb.9314:                             ;   in Loop: Header=BB6_9285 Depth=2
	s_and_saveexec_b32 s35, s1
	s_cbranch_execz .LBB6_9330
; %bb.9315:                             ;   in Loop: Header=BB6_9285 Depth=2
	s_mov_b32 s37, exec_lo
	s_mov_b32 s36, exec_lo
	v_mbcnt_lo_u32_b32 v2, s37, 0
	s_waitcnt lgkmcnt(0)
	s_waitcnt_vscnt null, 0x0
	buffer_gl1_inv
	buffer_gl0_inv
	v_cmpx_eq_u32_e32 0, v2
	s_cbranch_execz .LBB6_9317
; %bb.9316:                             ;   in Loop: Header=BB6_9285 Depth=2
	s_bcnt1_i32_b32 vcc_lo, s37
	s_delay_alu instid0(SALU_CYCLE_1)
	v_mov_b32_e32 v2, vcc_lo
	ds_add_u64 v0, v[2:3]
	s_cbranch_execnz .LBB6_9857
.LBB6_9317:                             ;   in Loop: Header=BB6_9285 Depth=2
	s_or_b32 exec_lo, exec_lo, s36
	s_cbranch_execnz .LBB6_9829
; %bb.9318:                             ;   in Loop: Header=BB6_9285 Depth=2
	ds_load_b64 v[8:9], v0
	v_add_co_u32 v80, vcc_lo, v80, v129
	v_add_co_ci_u32_e32 v81, vcc_lo, 0, v81, vcc_lo
	s_mov_b32 s36, exec_lo
	s_waitcnt lgkmcnt(0)
	s_delay_alu instid0(VALU_DEP_1)
	v_cmpx_lt_u64_e64 v[8:9], v[80:81]
	s_cbranch_execz .LBB6_9329
; %bb.9319:                             ;   in Loop: Header=BB6_9285 Depth=2
	s_mov_b32 s37, 0
	s_mov_b32 s40, 0
                                        ; implicit-def: $sgpr38
                                        ; implicit-def: $sgpr39
	s_branch .LBB6_9321
.LBB6_9320:                             ;   in Loop: Header=BB6_9321 Depth=3
	s_or_b32 exec_lo, exec_lo, s42
	s_delay_alu instid0(SALU_CYCLE_1) | instskip(NEXT) | instid1(SALU_CYCLE_1)
	s_and_b32 vcc_lo, exec_lo, vcc_lo
	s_or_b32 s37, vcc_lo, s37
	s_and_not1_b32 vcc_lo, s38, exec_lo
	s_and_b32 s38, s39, exec_lo
	s_delay_alu instid0(SALU_CYCLE_1)
	s_or_b32 s38, vcc_lo, s38
	s_and_not1_b32 exec_lo, exec_lo, s37
	s_cbranch_execz .LBB6_9327
.LBB6_9321:                             ;   Parent Loop BB6_51 Depth=1
                                        ;     Parent Loop BB6_9285 Depth=2
                                        ; =>    This Inner Loop Header: Depth=3
	s_add_i32 s40, s40, 1
                                        ; implicit-def: $sgpr42
	s_delay_alu instid0(SALU_CYCLE_1) | instskip(SKIP_1) | instid1(SALU_CYCLE_1)
	s_cmpk_lg_i32 s40, 0x2710
	s_cselect_b32 s41, -1, 0
	s_and_b32 vcc_lo, exec_lo, s41
	s_cbranch_vccz .LBB6_9325
.LBB6_9322:                             ;   in Loop: Header=BB6_9321 Depth=3
	s_and_not1_b32 s39, s39, exec_lo
	s_and_b32 s42, s42, exec_lo
	s_mov_b32 vcc_lo, -1
	s_or_b32 s39, s39, s42
	s_and_saveexec_b32 s42, s41
	s_cbranch_execz .LBB6_9320
; %bb.9323:                             ;   in Loop: Header=BB6_9321 Depth=3
	s_sleep 1
	s_cbranch_execnz .LBB6_9909
; %bb.9324:                             ;   in Loop: Header=BB6_9321 Depth=3
	ds_load_b64 v[8:9], v0
	s_and_not1_b32 s39, s39, exec_lo
	s_waitcnt lgkmcnt(0)
	v_cmp_ge_u64_e32 vcc_lo, v[8:9], v[80:81]
	s_or_not1_b32 vcc_lo, vcc_lo, exec_lo
	s_branch .LBB6_9320
.LBB6_9325:                             ;   in Loop: Header=BB6_9321 Depth=3
	s_cbranch_execnz .LBB6_9923
; %bb.9326:                             ;   in Loop: Header=BB6_9321 Depth=3
	ds_load_b64 v[8:9], v0
	s_and_not1_b32 s41, s41, exec_lo
	s_mov_b32 s40, 0
	s_mov_b32 s42, -1
	s_waitcnt lgkmcnt(0)
	flat_load_b32 v2, v[8:9] glc
	s_waitcnt vmcnt(0) lgkmcnt(0)
	buffer_gl1_inv
	buffer_gl0_inv
	v_cmp_eq_u32_e32 vcc_lo, 0, v2
	s_and_b32 vcc_lo, vcc_lo, exec_lo
	s_delay_alu instid0(SALU_CYCLE_1)
	s_or_b32 s41, s41, vcc_lo
	s_branch .LBB6_9322
.LBB6_9327:                             ;   in Loop: Header=BB6_9285 Depth=2
	s_or_b32 exec_lo, exec_lo, s37
	s_and_saveexec_b32 vcc_lo, s38
	s_delay_alu instid0(SALU_CYCLE_1)
	s_xor_b32 vcc_lo, exec_lo, vcc_lo
	s_cbranch_execz .LBB6_9329
; %bb.9328:                             ;   in Loop: Header=BB6_9285 Depth=2
	ds_store_b32 v0, v176
	s_cbranch_execnz .LBB6_10043
.LBB6_9329:                             ;   in Loop: Header=BB6_9285 Depth=2
	s_or_b32 exec_lo, exec_lo, s36
	;;#ASMSTART
	s_wakeup
	;;#ASMEND
.LBB6_9330:                             ;   in Loop: Header=BB6_9285 Depth=2
	s_or_b32 exec_lo, exec_lo, s35
.LBB6_9331:                             ;   in Loop: Header=BB6_9285 Depth=2
	s_and_not1_saveexec_b32 s14, s14
	s_cbranch_execz .LBB6_9333
; %bb.9332:                             ;   in Loop: Header=BB6_9285 Depth=2
	s_waitcnt lgkmcnt(0)
	s_waitcnt_vscnt null, 0x0
	buffer_gl1_inv
	buffer_gl0_inv
	s_barrier
.LBB6_9333:                             ;   in Loop: Header=BB6_9285 Depth=2
	s_or_b32 exec_lo, exec_lo, s14
.LBB6_9334:                             ;   in Loop: Header=BB6_9285 Depth=2
	s_delay_alu instid0(SALU_CYCLE_1)
	s_or_b32 exec_lo, exec_lo, s13
	s_cbranch_execnz .LBB6_9693
; %bb.9335:                             ;   in Loop: Header=BB6_9285 Depth=2
	ds_load_b32 v8, v0
	v_and_b32_e32 v2, 0x4000, v30
	s_xor_b32 s13, s2, -1
	s_delay_alu instid0(VALU_DEP_1) | instskip(SKIP_1) | instid1(SALU_CYCLE_1)
	v_cmp_ne_u32_e32 vcc_lo, 0, v2
	s_and_b32 s14, s13, vcc_lo
	s_and_saveexec_b32 s13, s14
	s_cbranch_execz .LBB6_9357
; %bb.9336:                             ;   in Loop: Header=BB6_9285 Depth=2
	s_and_saveexec_b32 s14, s4
	s_delay_alu instid0(SALU_CYCLE_1)
	s_xor_b32 s14, exec_lo, s14
	s_cbranch_execz .LBB6_9354
; %bb.9337:                             ;   in Loop: Header=BB6_9285 Depth=2
	s_and_saveexec_b32 s35, s1
	s_cbranch_execz .LBB6_9353
; %bb.9338:                             ;   in Loop: Header=BB6_9285 Depth=2
	s_mov_b32 s37, exec_lo
	s_mov_b32 s36, exec_lo
	v_mbcnt_lo_u32_b32 v2, s37, 0
	s_waitcnt lgkmcnt(0)
	s_waitcnt_vscnt null, 0x0
	buffer_gl1_inv
	buffer_gl0_inv
	v_cmpx_eq_u32_e32 0, v2
	s_cbranch_execz .LBB6_9340
; %bb.9339:                             ;   in Loop: Header=BB6_9285 Depth=2
	s_bcnt1_i32_b32 vcc_lo, s37
	s_delay_alu instid0(SALU_CYCLE_1)
	v_mov_b32_e32 v2, vcc_lo
	ds_add_u64 v0, v[2:3]
	s_cbranch_execnz .LBB6_9899
.LBB6_9340:                             ;   in Loop: Header=BB6_9285 Depth=2
	s_or_b32 exec_lo, exec_lo, s36
	s_cbranch_execnz .LBB6_9879
; %bb.9341:                             ;   in Loop: Header=BB6_9285 Depth=2
	ds_load_b64 v[9:10], v0
	v_add_co_u32 v80, vcc_lo, v80, v129
	v_add_co_ci_u32_e32 v81, vcc_lo, 0, v81, vcc_lo
	s_mov_b32 s36, exec_lo
	s_waitcnt lgkmcnt(0)
	s_delay_alu instid0(VALU_DEP_1)
	v_cmpx_lt_u64_e64 v[9:10], v[80:81]
	s_cbranch_execz .LBB6_9352
; %bb.9342:                             ;   in Loop: Header=BB6_9285 Depth=2
	s_mov_b32 s37, 0
	s_mov_b32 s40, 0
                                        ; implicit-def: $sgpr38
                                        ; implicit-def: $sgpr39
	s_branch .LBB6_9344
.LBB6_9343:                             ;   in Loop: Header=BB6_9344 Depth=3
	s_or_b32 exec_lo, exec_lo, s42
	s_delay_alu instid0(SALU_CYCLE_1) | instskip(NEXT) | instid1(SALU_CYCLE_1)
	s_and_b32 vcc_lo, exec_lo, vcc_lo
	s_or_b32 s37, vcc_lo, s37
	s_and_not1_b32 vcc_lo, s38, exec_lo
	s_and_b32 s38, s39, exec_lo
	s_delay_alu instid0(SALU_CYCLE_1)
	s_or_b32 s38, vcc_lo, s38
	s_and_not1_b32 exec_lo, exec_lo, s37
	s_cbranch_execz .LBB6_9350
.LBB6_9344:                             ;   Parent Loop BB6_51 Depth=1
                                        ;     Parent Loop BB6_9285 Depth=2
                                        ; =>    This Inner Loop Header: Depth=3
	s_add_i32 s40, s40, 1
                                        ; implicit-def: $sgpr42
	s_delay_alu instid0(SALU_CYCLE_1) | instskip(SKIP_1) | instid1(SALU_CYCLE_1)
	s_cmpk_lg_i32 s40, 0x2710
	s_cselect_b32 s41, -1, 0
	s_and_b32 vcc_lo, exec_lo, s41
	s_cbranch_vccz .LBB6_9348
.LBB6_9345:                             ;   in Loop: Header=BB6_9344 Depth=3
	s_and_not1_b32 s39, s39, exec_lo
	s_and_b32 s42, s42, exec_lo
	s_mov_b32 vcc_lo, -1
	s_or_b32 s39, s39, s42
	s_and_saveexec_b32 s42, s41
	s_cbranch_execz .LBB6_9343
; %bb.9346:                             ;   in Loop: Header=BB6_9344 Depth=3
	s_sleep 1
	s_cbranch_execnz .LBB6_9959
; %bb.9347:                             ;   in Loop: Header=BB6_9344 Depth=3
	ds_load_b64 v[9:10], v0
	s_and_not1_b32 s39, s39, exec_lo
	s_waitcnt lgkmcnt(0)
	v_cmp_ge_u64_e32 vcc_lo, v[9:10], v[80:81]
	s_or_not1_b32 vcc_lo, vcc_lo, exec_lo
	s_branch .LBB6_9343
.LBB6_9348:                             ;   in Loop: Header=BB6_9344 Depth=3
	s_cbranch_execnz .LBB6_9971
; %bb.9349:                             ;   in Loop: Header=BB6_9344 Depth=3
	ds_load_b64 v[9:10], v0
	s_and_not1_b32 s41, s41, exec_lo
	s_mov_b32 s40, 0
	s_mov_b32 s42, -1
	s_waitcnt lgkmcnt(0)
	flat_load_b32 v2, v[9:10] glc
	s_waitcnt vmcnt(0) lgkmcnt(0)
	buffer_gl1_inv
	buffer_gl0_inv
	v_cmp_eq_u32_e32 vcc_lo, 0, v2
	s_and_b32 vcc_lo, vcc_lo, exec_lo
	s_delay_alu instid0(SALU_CYCLE_1)
	s_or_b32 s41, s41, vcc_lo
	s_branch .LBB6_9345
.LBB6_9350:                             ;   in Loop: Header=BB6_9285 Depth=2
	s_or_b32 exec_lo, exec_lo, s37
	s_and_saveexec_b32 vcc_lo, s38
	s_delay_alu instid0(SALU_CYCLE_1)
	s_xor_b32 vcc_lo, exec_lo, vcc_lo
	s_cbranch_execz .LBB6_9352
; %bb.9351:                             ;   in Loop: Header=BB6_9285 Depth=2
	ds_store_b32 v0, v176
	s_cbranch_execnz .LBB6_10057
.LBB6_9352:                             ;   in Loop: Header=BB6_9285 Depth=2
	s_or_b32 exec_lo, exec_lo, s36
	;;#ASMSTART
	s_wakeup
	;;#ASMEND
.LBB6_9353:                             ;   in Loop: Header=BB6_9285 Depth=2
	s_or_b32 exec_lo, exec_lo, s35
.LBB6_9354:                             ;   in Loop: Header=BB6_9285 Depth=2
	s_and_not1_saveexec_b32 s14, s14
	s_cbranch_execz .LBB6_9356
; %bb.9355:                             ;   in Loop: Header=BB6_9285 Depth=2
	s_waitcnt lgkmcnt(0)
	s_waitcnt_vscnt null, 0x0
	buffer_gl1_inv
	buffer_gl0_inv
	s_barrier
.LBB6_9356:                             ;   in Loop: Header=BB6_9285 Depth=2
	s_or_b32 exec_lo, exec_lo, s14
.LBB6_9357:                             ;   in Loop: Header=BB6_9285 Depth=2
	s_delay_alu instid0(SALU_CYCLE_1)
	s_or_b32 exec_lo, exec_lo, s13
	s_cbranch_execnz .LBB6_9751
; %bb.9358:                             ;   in Loop: Header=BB6_9285 Depth=2
	ds_load_b64 v[9:10], v0
	v_sub_nc_u32_e32 v2, v12, v14
	v_mov_b32_e32 v17, 0
	s_delay_alu instid0(VALU_DEP_2) | instskip(SKIP_3) | instid1(SALU_CYCLE_1)
	v_min_i32_e32 v13, v13, v2
	s_waitcnt lgkmcnt(0)
	v_cmp_eq_u64_e32 vcc_lo, 0, v[9:10]
	s_or_b32 s13, vcc_lo, vcc_lo
	s_and_b32 vcc_lo, exec_lo, s13
	s_cbranch_vccnz .LBB6_9392
; %bb.9359:                             ;   in Loop: Header=BB6_9285 Depth=2
	s_mov_b32 s13, -1
	s_and_saveexec_b32 s14, s6
	s_cbranch_execz .LBB6_9361
; %bb.9360:                             ;   in Loop: Header=BB6_9285 Depth=2
	ds_load_b32 v2, v0 offset:720
	s_waitcnt lgkmcnt(0)
	v_and_b32_e32 v2, 15, v2
	s_delay_alu instid0(VALU_DEP_1)
	v_cmp_eq_u32_e32 vcc_lo, 0, v2
	s_or_not1_b32 s13, vcc_lo, exec_lo
.LBB6_9361:                             ;   in Loop: Header=BB6_9285 Depth=2
	s_or_b32 exec_lo, exec_lo, s14
	s_and_saveexec_b32 s14, s5
	s_cbranch_execz .LBB6_9363
; %bb.9362:                             ;   in Loop: Header=BB6_9285 Depth=2
	ds_load_b32 v2, v0 offset:784
	s_waitcnt lgkmcnt(0)
	v_and_b32_e32 v2, 15, v2
	s_delay_alu instid0(VALU_DEP_1) | instskip(SKIP_3) | instid1(SALU_CYCLE_1)
	v_cmp_eq_u32_e32 vcc_lo, 0, v2
	s_and_b32 vcc_lo, s13, vcc_lo
	s_and_not1_b32 s13, s13, exec_lo
	s_and_b32 vcc_lo, vcc_lo, exec_lo
	s_or_b32 s13, s13, vcc_lo
.LBB6_9363:                             ;   in Loop: Header=BB6_9285 Depth=2
	s_or_b32 exec_lo, exec_lo, s14
	v_cmp_eq_u32_e32 vcc_lo, 0, v8
	s_xor_b32 s13, s13, -1
	v_mov_b32_e32 v22, v130
	v_cndmask_b32_e64 v2, 0, 1, s13
	;;#ASMSTART
	;;#ASMEND
	v_cndmask_b32_e32 v17, 0, v13, vcc_lo
	s_delay_alu instid0(VALU_DEP_2) | instskip(SKIP_2) | instid1(VALU_DEP_3)
	v_cmp_ne_u32_e32 vcc_lo, 0, v2
	v_mov_b32_e32 v2, 0
	s_mov_b32 s13, -1
	v_dual_mov_b32 v19, v0 :: v_dual_mov_b32 v18, v17
	s_cbranch_vccnz .LBB6_9379
; %bb.9364:                             ;   in Loop: Header=BB6_9285 Depth=2
	v_ashrrev_i32_e32 v2, 31, v17
	s_mov_b32 s13, exec_lo
	s_delay_alu instid0(VALU_DEP_1) | instskip(NEXT) | instid1(VALU_DEP_1)
	v_lshrrev_b32_e32 v2, 20, v2
	v_add_nc_u32_e32 v2, v17, v2
	s_delay_alu instid0(VALU_DEP_1) | instskip(NEXT) | instid1(VALU_DEP_1)
	v_ashrrev_i32_e32 v2, 12, v2
	v_sub_nc_u32_e32 v20, v2, v130
	s_delay_alu instid0(VALU_DEP_1)
	v_cmpx_lt_i32_e32 0, v20
	s_cbranch_execz .LBB6_9369
; %bb.9365:                             ;   in Loop: Header=BB6_9285 Depth=2
	s_cbranch_execnz .LBB6_9929
; %bb.9366:                             ;   in Loop: Header=BB6_9285 Depth=2
	ds_load_b64 v[8:9], v0
	s_mov_b32 s14, 0
	s_waitcnt lgkmcnt(0)
	v_dual_mov_b32 v11, v9 :: v_dual_mov_b32 v10, v8
.LBB6_9367:                             ;   Parent Loop BB6_51 Depth=1
                                        ;     Parent Loop BB6_9285 Depth=2
                                        ; =>    This Inner Loop Header: Depth=3
	s_delay_alu instid0(VALU_DEP_1) | instskip(NEXT) | instid1(VALU_DEP_2)
	v_add_co_u32 v18, vcc_lo, v133, v10
	v_add_co_ci_u32_e32 v19, vcc_lo, v135, v11, vcc_lo
	v_sub_nc_u32_e32 v20, v20, v129
	s_clause 0x7
	global_load_b128 v[21:24], v[18:19], off slc dlc
	global_load_b128 v[32:35], v[18:19], off offset:512 slc dlc
	global_load_b128 v[36:39], v[18:19], off offset:1024 slc dlc
	;; [unrolled: 1-line block ×7, first 2 shown]
	v_add_co_u32 v18, vcc_lo, v133, v8
	v_add_co_ci_u32_e32 v19, vcc_lo, v135, v9, vcc_lo
	v_add_co_u32 v10, vcc_lo, v10, v144
	v_add_co_ci_u32_e32 v11, vcc_lo, v11, v145, vcc_lo
	;; [unrolled: 2-line block ×3, first 2 shown]
	v_cmp_gt_i32_e32 vcc_lo, 1, v20
	s_waitcnt vmcnt(7)
	global_store_b128 v[18:19], v[21:24], off glc slc dlc
	s_waitcnt vmcnt(6)
	global_store_b128 v[18:19], v[32:35], off offset:512 glc slc dlc
	s_waitcnt vmcnt(5)
	global_store_b128 v[18:19], v[36:39], off offset:1024 glc slc dlc
	;; [unrolled: 2-line block ×7, first 2 shown]
	s_or_b32 s14, vcc_lo, s14
	s_delay_alu instid0(SALU_CYCLE_1)
	s_and_not1_b32 exec_lo, exec_lo, s14
	s_cbranch_execnz .LBB6_9367
; %bb.9368:                             ;   in Loop: Header=BB6_9285 Depth=2
	s_or_b32 exec_lo, exec_lo, s14
.LBB6_9369:                             ;   in Loop: Header=BB6_9285 Depth=2
	s_delay_alu instid0(SALU_CYCLE_1) | instskip(SKIP_4) | instid1(VALU_DEP_2)
	s_or_b32 exec_lo, exec_lo, s13
	v_lshlrev_b32_e32 v10, 12, v2
	v_mov_b32_e32 v2, 0
	s_mov_b32 s13, 0
	s_mov_b32 s35, exec_lo
                                        ; implicit-def: $vgpr18
                                        ; implicit-def: $vgpr19
                                        ; implicit-def: $vgpr22
	v_cmpx_ne_u32_e64 v17, v10
	s_cbranch_execz .LBB6_9378
; %bb.9370:                             ;   in Loop: Header=BB6_9285 Depth=2
	v_lshlrev_b32_e32 v2, 5, v20
	v_sub_nc_u32_e32 v9, v17, v10
	s_mov_b32 s36, exec_lo
	s_delay_alu instid0(VALU_DEP_2) | instskip(NEXT) | instid1(VALU_DEP_2)
	v_sub_nc_u32_e32 v2, v131, v2
	v_ashrrev_i32_e32 v11, 31, v9
	s_delay_alu instid0(VALU_DEP_2) | instskip(NEXT) | instid1(VALU_DEP_2)
	v_ashrrev_i32_e32 v8, 31, v2
	v_lshrrev_b32_e32 v11, 23, v11
	s_delay_alu instid0(VALU_DEP_2) | instskip(NEXT) | instid1(VALU_DEP_2)
	v_lshrrev_b32_e32 v8, 27, v8
	v_add_nc_u32_e32 v19, v9, v11
	s_delay_alu instid0(VALU_DEP_2) | instskip(NEXT) | instid1(VALU_DEP_2)
	v_add_nc_u32_e32 v8, v2, v8
	v_and_b32_e32 v11, 0xfffffe00, v19
	v_ashrrev_i32_e32 v19, 9, v19
	s_delay_alu instid0(VALU_DEP_3) | instskip(NEXT) | instid1(VALU_DEP_3)
	v_and_b32_e32 v18, 0xffffffe0, v8
	v_sub_nc_u32_e32 v21, v9, v11
	v_ashrrev_i32_e32 v8, 5, v8
	s_delay_alu instid0(VALU_DEP_3) | instskip(NEXT) | instid1(VALU_DEP_3)
	v_sub_nc_u32_e32 v20, v2, v18
	v_cmp_lt_i32_e32 vcc_lo, 15, v21
	s_delay_alu instid0(VALU_DEP_2) | instskip(SKIP_1) | instid1(VALU_DEP_2)
	v_lshlrev_b32_e32 v2, 4, v20
	v_add_co_ci_u32_e64 v19, s13, 0, v19, vcc_lo
	v_lshl_add_u32 v18, v8, 9, v2
	s_delay_alu instid0(VALU_DEP_2) | instskip(NEXT) | instid1(VALU_DEP_2)
	v_sub_nc_u32_e32 v23, v19, v8
	v_sub_nc_u32_e32 v2, v9, v18
	s_delay_alu instid0(VALU_DEP_1)
	v_cmpx_lt_i32_e32 15, v2
	s_cbranch_execz .LBB6_9375
; %bb.9371:                             ;   in Loop: Header=BB6_9285 Depth=2
	s_cbranch_execnz .LBB6_9983
; %bb.9372:                             ;   in Loop: Header=BB6_9285 Depth=2
	ds_load_b64 v[8:9], v0
	v_add_nc_u32_e32 v18, v18, v10
	s_mov_b32 s37, 0
	s_delay_alu instid0(VALU_DEP_1)
	v_ashrrev_i32_e32 v19, 31, v18
.LBB6_9373:                             ;   Parent Loop BB6_51 Depth=1
                                        ;     Parent Loop BB6_9285 Depth=2
                                        ; =>    This Inner Loop Header: Depth=3
	s_waitcnt lgkmcnt(0)
	v_add_co_u32 v32, s13, v8, v18
	s_delay_alu instid0(VALU_DEP_1)
	v_add_co_ci_u32_e64 v33, s13, v9, v19, s13
	v_sub_nc_u32_e32 v2, v2, v132
	v_add_co_u32 v18, s14, v18, v148
	global_load_b128 v[24:27], v[32:33], off slc dlc
	v_sub_nc_u32_e32 v23, v23, v129
	v_cmp_gt_i32_e64 s13, 16, v2
	v_add_co_ci_u32_e64 v19, s14, v19, v149, s14
	s_delay_alu instid0(VALU_DEP_2)
	s_or_b32 s37, s13, s37
	s_waitcnt vmcnt(0)
	global_store_b128 v[32:33], v[24:27], off glc slc dlc
	s_and_not1_b32 exec_lo, exec_lo, s37
	s_cbranch_execnz .LBB6_9373
; %bb.9374:                             ;   in Loop: Header=BB6_9285 Depth=2
	s_or_b32 exec_lo, exec_lo, s37
.LBB6_9375:                             ;   in Loop: Header=BB6_9285 Depth=2
	s_delay_alu instid0(SALU_CYCLE_1) | instskip(SKIP_4) | instid1(VALU_DEP_2)
	s_or_b32 exec_lo, exec_lo, s36
	v_and_b32_e32 v8, 15, v17
	v_mov_b32_e32 v2, 0
	s_mov_b32 s14, 0
	s_mov_b32 s36, exec_lo
                                        ; implicit-def: $vgpr19
                                        ; implicit-def: $vgpr22
	v_cndmask_b32_e32 v18, v21, v8, vcc_lo
	s_delay_alu instid0(VALU_DEP_1)
	v_cmpx_ne_u32_e32 0, v18
; %bb.9376:                             ;   in Loop: Header=BB6_9285 Depth=2
	v_cmp_lt_i32_e64 s13, 0, v23
	v_sub_nc_u32_e32 v8, v21, v8
	s_mov_b32 s14, exec_lo
	s_delay_alu instid0(VALU_DEP_2) | instskip(NEXT) | instid1(VALU_DEP_1)
	v_cndmask_b32_e64 v2, 0, v129, s13
	v_sub_nc_u32_e32 v2, v2, v23
	s_delay_alu instid0(VALU_DEP_1) | instskip(NEXT) | instid1(VALU_DEP_1)
	v_lshl_add_u32 v19, v2, 5, v20
	v_ashrrev_i32_e32 v2, 31, v19
	s_delay_alu instid0(VALU_DEP_1) | instskip(NEXT) | instid1(VALU_DEP_1)
	v_lshrrev_b32_e32 v2, 27, v2
	v_dual_cndmask_b32 v8, 0, v8 :: v_dual_add_nc_u32 v9, v19, v2
	s_delay_alu instid0(VALU_DEP_1) | instskip(NEXT) | instid1(VALU_DEP_2)
	v_add3_u32 v2, v11, v10, v8
	v_ashrrev_i32_e32 v22, 5, v9
; %bb.9377:                             ;   in Loop: Header=BB6_9285 Depth=2
	s_or_b32 exec_lo, exec_lo, s36
	s_delay_alu instid0(SALU_CYCLE_1)
	s_and_b32 s13, s14, exec_lo
.LBB6_9378:                             ;   in Loop: Header=BB6_9285 Depth=2
	s_or_b32 exec_lo, exec_lo, s35
.LBB6_9379:                             ;   in Loop: Header=BB6_9285 Depth=2
	s_and_saveexec_b32 s14, s13
	s_cbranch_execz .LBB6_9391
; %bb.9380:                             ;   in Loop: Header=BB6_9285 Depth=2
	s_delay_alu instid0(VALU_DEP_1) | instskip(SKIP_1) | instid1(VALU_DEP_1)
	v_ashrrev_i32_e32 v8, 31, v18
	s_mov_b32 s13, exec_lo
	v_lshrrev_b32_e32 v8, 22, v8
	s_delay_alu instid0(VALU_DEP_1) | instskip(NEXT) | instid1(VALU_DEP_1)
	v_add_nc_u32_e32 v8, v18, v8
	v_ashrrev_i32_e32 v21, 10, v8
	s_delay_alu instid0(VALU_DEP_1) | instskip(NEXT) | instid1(VALU_DEP_1)
	v_sub_nc_u32_e32 v20, v21, v22
	v_cmpx_lt_i32_e32 0, v20
	s_cbranch_execz .LBB6_9385
; %bb.9381:                             ;   in Loop: Header=BB6_9285 Depth=2
	s_cbranch_execnz .LBB6_9921
; %bb.9382:                             ;   in Loop: Header=BB6_9285 Depth=2
	v_ashrrev_i32_e32 v8, 31, v19
	s_mov_b32 s35, 0
	s_delay_alu instid0(VALU_DEP_1) | instskip(NEXT) | instid1(VALU_DEP_1)
	v_lshrrev_b32_e32 v8, 27, v8
	v_add_nc_u32_e32 v10, v19, v8
	ds_load_b64 v[8:9], v0
	v_lshlrev_b32_e32 v11, 10, v22
	v_and_b32_e32 v10, 0xffffffe0, v10
	s_delay_alu instid0(VALU_DEP_1) | instskip(NEXT) | instid1(VALU_DEP_1)
	v_sub_nc_u32_e32 v10, v19, v10
	v_add3_u32 v22, v2, v10, v11
	s_delay_alu instid0(VALU_DEP_1)
	v_ashrrev_i32_e32 v23, 31, v22
	s_waitcnt lgkmcnt(0)
	v_dual_mov_b32 v11, v9 :: v_dual_mov_b32 v10, v8
.LBB6_9383:                             ;   Parent Loop BB6_51 Depth=1
                                        ;     Parent Loop BB6_9285 Depth=2
                                        ; =>    This Inner Loop Header: Depth=3
	s_delay_alu instid0(VALU_DEP_1) | instskip(NEXT) | instid1(VALU_DEP_2)
	v_add_co_u32 v24, vcc_lo, v22, v10
	v_add_co_ci_u32_e32 v25, vcc_lo, v23, v11, vcc_lo
	v_sub_nc_u32_e32 v20, v20, v129
	s_clause 0x1f
	flat_load_u8 v26, v[24:25] slc dlc
	flat_load_u8 v27, v[24:25] offset:32 slc dlc
	flat_load_u8 v32, v[24:25] offset:64 slc dlc
	flat_load_u8 v33, v[24:25] offset:96 slc dlc
	flat_load_u8 v34, v[24:25] offset:128 slc dlc
	flat_load_u8 v35, v[24:25] offset:160 slc dlc
	flat_load_u8 v36, v[24:25] offset:192 slc dlc
	flat_load_u8 v37, v[24:25] offset:224 slc dlc
	flat_load_u8 v38, v[24:25] offset:256 slc dlc
	flat_load_u8 v39, v[24:25] offset:288 slc dlc
	flat_load_u8 v48, v[24:25] offset:320 slc dlc
	flat_load_u8 v49, v[24:25] offset:352 slc dlc
	flat_load_u8 v50, v[24:25] offset:384 slc dlc
	flat_load_u8 v51, v[24:25] offset:416 slc dlc
	flat_load_u8 v98, v[24:25] offset:448 slc dlc
	flat_load_u8 v99, v[24:25] offset:480 slc dlc
	flat_load_u8 v100, v[24:25] offset:512 slc dlc
	flat_load_u8 v101, v[24:25] offset:544 slc dlc
	flat_load_u8 v102, v[24:25] offset:576 slc dlc
	flat_load_u8 v103, v[24:25] offset:608 slc dlc
	flat_load_u8 v112, v[24:25] offset:640 slc dlc
	flat_load_u8 v113, v[24:25] offset:672 slc dlc
	flat_load_u8 v114, v[24:25] offset:704 slc dlc
	flat_load_u8 v115, v[24:25] offset:736 slc dlc
	flat_load_u8 v116, v[24:25] offset:768 slc dlc
	flat_load_u8 v117, v[24:25] offset:800 slc dlc
	flat_load_u8 v177, v[24:25] offset:832 slc dlc
	flat_load_u8 v178, v[24:25] offset:864 slc dlc
	flat_load_u8 v179, v[24:25] offset:896 slc dlc
	flat_load_u8 v180, v[24:25] offset:928 slc dlc
	flat_load_u8 v181, v[24:25] offset:960 slc dlc
	flat_load_u8 v182, v[24:25] offset:992 slc dlc
	v_add_co_u32 v24, vcc_lo, v22, v8
	v_add_co_ci_u32_e32 v25, vcc_lo, v23, v9, vcc_lo
	v_add_co_u32 v10, vcc_lo, v10, v151
	v_add_co_ci_u32_e32 v11, vcc_lo, v11, v160, vcc_lo
	;; [unrolled: 2-line block ×3, first 2 shown]
	v_cmp_gt_i32_e32 vcc_lo, 1, v20
	s_waitcnt vmcnt(31) lgkmcnt(31)
	flat_store_b8 v[24:25], v26 glc slc dlc
	s_waitcnt vmcnt(30) lgkmcnt(31)
	flat_store_b8 v[24:25], v27 offset:32 glc slc dlc
	s_waitcnt vmcnt(29) lgkmcnt(31)
	flat_store_b8 v[24:25], v32 offset:64 glc slc dlc
	;; [unrolled: 2-line block ×31, first 2 shown]
	s_or_b32 s35, vcc_lo, s35
	s_delay_alu instid0(SALU_CYCLE_1)
	s_and_not1_b32 exec_lo, exec_lo, s35
	s_cbranch_execnz .LBB6_9383
; %bb.9384:                             ;   in Loop: Header=BB6_9285 Depth=2
	s_or_b32 exec_lo, exec_lo, s35
.LBB6_9385:                             ;   in Loop: Header=BB6_9285 Depth=2
	s_delay_alu instid0(SALU_CYCLE_1) | instskip(SKIP_2) | instid1(VALU_DEP_1)
	s_or_b32 exec_lo, exec_lo, s13
	v_lshlrev_b32_e32 v8, 10, v21
	s_mov_b32 s35, exec_lo
	v_cmpx_ne_u32_e64 v18, v8
	s_cbranch_execz .LBB6_9390
; %bb.9386:                             ;   in Loop: Header=BB6_9285 Depth=2
	v_ashrrev_i32_e32 v9, 31, v19
	v_lshlrev_b32_e32 v10, 5, v20
	s_delay_alu instid0(VALU_DEP_2) | instskip(NEXT) | instid1(VALU_DEP_1)
	v_lshrrev_b32_e32 v9, 27, v9
	v_add_nc_u32_e32 v9, v19, v9
	s_delay_alu instid0(VALU_DEP_1) | instskip(NEXT) | instid1(VALU_DEP_1)
	v_and_b32_e32 v9, 0xffffffe0, v9
	v_sub_nc_u32_e32 v9, v19, v9
	s_delay_alu instid0(VALU_DEP_1) | instskip(NEXT) | instid1(VALU_DEP_1)
	v_sub_nc_u32_e32 v9, v9, v10
	v_add_nc_u32_e32 v11, v8, v9
	s_delay_alu instid0(VALU_DEP_1) | instskip(NEXT) | instid1(VALU_DEP_1)
	v_sub_nc_u32_e32 v10, v18, v11
	v_cmp_lt_i32_e32 vcc_lo, 0, v10
	s_and_b32 exec_lo, exec_lo, vcc_lo
	s_cbranch_execz .LBB6_9390
; %bb.9387:                             ;   in Loop: Header=BB6_9285 Depth=2
	s_cbranch_execnz .LBB6_9977
; %bb.9388:                             ;   in Loop: Header=BB6_9285 Depth=2
	ds_load_b64 v[8:9], v0
	v_add_nc_u32_e32 v2, v11, v2
	s_mov_b32 s36, 0
	s_delay_alu instid0(VALU_DEP_1)
	v_ashrrev_i32_e32 v11, 31, v2
.LBB6_9389:                             ;   Parent Loop BB6_51 Depth=1
                                        ;     Parent Loop BB6_9285 Depth=2
                                        ; =>    This Inner Loop Header: Depth=3
	s_waitcnt lgkmcnt(0)
	v_add_co_u32 v18, vcc_lo, v8, v2
	s_delay_alu instid0(VALU_DEP_2)
	v_add_co_ci_u32_e32 v19, vcc_lo, v9, v11, vcc_lo
	v_sub_nc_u32_e32 v10, v10, v147
	v_add_co_u32 v2, s13, v2, v162
	flat_load_u8 v20, v[18:19] slc dlc
	v_add_co_ci_u32_e64 v11, s13, v11, v163, s13
	v_cmp_gt_i32_e32 vcc_lo, 1, v10
	s_or_b32 s36, vcc_lo, s36
	s_waitcnt vmcnt(0) lgkmcnt(0)
	flat_store_b8 v[18:19], v20 glc slc dlc
	s_and_not1_b32 exec_lo, exec_lo, s36
	s_cbranch_execnz .LBB6_9389
.LBB6_9390:                             ;   in Loop: Header=BB6_9285 Depth=2
	s_or_b32 exec_lo, exec_lo, s35
.LBB6_9391:                             ;   in Loop: Header=BB6_9285 Depth=2
	s_delay_alu instid0(SALU_CYCLE_1)
	s_or_b32 exec_lo, exec_lo, s14
.LBB6_9392:                             ;   in Loop: Header=BB6_9285 Depth=2
	s_and_saveexec_b32 s13, s3
	s_cbranch_execz .LBB6_9414
; %bb.9393:                             ;   in Loop: Header=BB6_9285 Depth=2
	s_and_saveexec_b32 s14, s4
	s_delay_alu instid0(SALU_CYCLE_1)
	s_xor_b32 s14, exec_lo, s14
	s_cbranch_execz .LBB6_9411
; %bb.9394:                             ;   in Loop: Header=BB6_9285 Depth=2
	s_and_saveexec_b32 s35, s1
	s_cbranch_execz .LBB6_9410
; %bb.9395:                             ;   in Loop: Header=BB6_9285 Depth=2
	s_mov_b32 s37, exec_lo
	s_mov_b32 s36, exec_lo
	v_mbcnt_lo_u32_b32 v2, s37, 0
	s_waitcnt lgkmcnt(0)
	s_waitcnt_vscnt null, 0x0
	buffer_gl1_inv
	buffer_gl0_inv
	v_cmpx_eq_u32_e32 0, v2
	s_cbranch_execz .LBB6_9397
; %bb.9396:                             ;   in Loop: Header=BB6_9285 Depth=2
	s_bcnt1_i32_b32 vcc_lo, s37
	s_delay_alu instid0(SALU_CYCLE_1)
	v_mov_b32_e32 v2, vcc_lo
	ds_add_u64 v0, v[2:3]
	s_cbranch_execnz .LBB6_9963
.LBB6_9397:                             ;   in Loop: Header=BB6_9285 Depth=2
	s_or_b32 exec_lo, exec_lo, s36
	s_cbranch_execnz .LBB6_9937
; %bb.9398:                             ;   in Loop: Header=BB6_9285 Depth=2
	ds_load_b64 v[8:9], v0
	v_add_co_u32 v80, vcc_lo, v80, v129
	v_add_co_ci_u32_e32 v81, vcc_lo, 0, v81, vcc_lo
	s_mov_b32 s36, exec_lo
	s_waitcnt lgkmcnt(0)
	s_delay_alu instid0(VALU_DEP_1)
	v_cmpx_lt_u64_e64 v[8:9], v[80:81]
	s_cbranch_execz .LBB6_9409
; %bb.9399:                             ;   in Loop: Header=BB6_9285 Depth=2
	s_mov_b32 s37, 0
	s_mov_b32 s40, 0
                                        ; implicit-def: $sgpr38
                                        ; implicit-def: $sgpr39
	s_branch .LBB6_9401
.LBB6_9400:                             ;   in Loop: Header=BB6_9401 Depth=3
	s_or_b32 exec_lo, exec_lo, s42
	s_delay_alu instid0(SALU_CYCLE_1) | instskip(NEXT) | instid1(SALU_CYCLE_1)
	s_and_b32 vcc_lo, exec_lo, vcc_lo
	s_or_b32 s37, vcc_lo, s37
	s_and_not1_b32 vcc_lo, s38, exec_lo
	s_and_b32 s38, s39, exec_lo
	s_delay_alu instid0(SALU_CYCLE_1)
	s_or_b32 s38, vcc_lo, s38
	s_and_not1_b32 exec_lo, exec_lo, s37
	s_cbranch_execz .LBB6_9407
.LBB6_9401:                             ;   Parent Loop BB6_51 Depth=1
                                        ;     Parent Loop BB6_9285 Depth=2
                                        ; =>    This Inner Loop Header: Depth=3
	s_add_i32 s40, s40, 1
                                        ; implicit-def: $sgpr42
	s_delay_alu instid0(SALU_CYCLE_1) | instskip(SKIP_1) | instid1(SALU_CYCLE_1)
	s_cmpk_lg_i32 s40, 0x2710
	s_cselect_b32 s41, -1, 0
	s_and_b32 vcc_lo, exec_lo, s41
	s_cbranch_vccz .LBB6_9405
.LBB6_9402:                             ;   in Loop: Header=BB6_9401 Depth=3
	s_and_not1_b32 s39, s39, exec_lo
	s_and_b32 s42, s42, exec_lo
	s_mov_b32 vcc_lo, -1
	s_or_b32 s39, s39, s42
	s_and_saveexec_b32 s42, s41
	s_cbranch_execz .LBB6_9400
; %bb.9403:                             ;   in Loop: Header=BB6_9401 Depth=3
	s_sleep 1
	s_cbranch_execnz .LBB6_9997
; %bb.9404:                             ;   in Loop: Header=BB6_9401 Depth=3
	ds_load_b64 v[8:9], v0
	s_and_not1_b32 s39, s39, exec_lo
	s_waitcnt lgkmcnt(0)
	v_cmp_ge_u64_e32 vcc_lo, v[8:9], v[80:81]
	s_or_not1_b32 vcc_lo, vcc_lo, exec_lo
	s_branch .LBB6_9400
.LBB6_9405:                             ;   in Loop: Header=BB6_9401 Depth=3
	s_cbranch_execnz .LBB6_10007
; %bb.9406:                             ;   in Loop: Header=BB6_9401 Depth=3
	ds_load_b64 v[8:9], v0
	s_and_not1_b32 s41, s41, exec_lo
	s_mov_b32 s40, 0
	s_mov_b32 s42, -1
	s_waitcnt lgkmcnt(0)
	flat_load_b32 v2, v[8:9] glc
	s_waitcnt vmcnt(0) lgkmcnt(0)
	buffer_gl1_inv
	buffer_gl0_inv
	v_cmp_eq_u32_e32 vcc_lo, 0, v2
	s_and_b32 vcc_lo, vcc_lo, exec_lo
	s_delay_alu instid0(SALU_CYCLE_1)
	s_or_b32 s41, s41, vcc_lo
	s_branch .LBB6_9402
.LBB6_9407:                             ;   in Loop: Header=BB6_9285 Depth=2
	s_or_b32 exec_lo, exec_lo, s37
	s_and_saveexec_b32 vcc_lo, s38
	s_delay_alu instid0(SALU_CYCLE_1)
	s_xor_b32 vcc_lo, exec_lo, vcc_lo
	s_cbranch_execz .LBB6_9409
; %bb.9408:                             ;   in Loop: Header=BB6_9285 Depth=2
	ds_store_b32 v0, v176
	s_cbranch_execnz .LBB6_10061
.LBB6_9409:                             ;   in Loop: Header=BB6_9285 Depth=2
	s_or_b32 exec_lo, exec_lo, s36
	;;#ASMSTART
	s_wakeup
	;;#ASMEND
.LBB6_9410:                             ;   in Loop: Header=BB6_9285 Depth=2
	s_or_b32 exec_lo, exec_lo, s35
.LBB6_9411:                             ;   in Loop: Header=BB6_9285 Depth=2
	s_and_not1_saveexec_b32 s14, s14
	s_cbranch_execz .LBB6_9413
; %bb.9412:                             ;   in Loop: Header=BB6_9285 Depth=2
	s_waitcnt lgkmcnt(0)
	s_waitcnt_vscnt null, 0x0
	buffer_gl1_inv
	buffer_gl0_inv
	s_barrier
.LBB6_9413:                             ;   in Loop: Header=BB6_9285 Depth=2
	s_or_b32 exec_lo, exec_lo, s14
.LBB6_9414:                             ;   in Loop: Header=BB6_9285 Depth=2
	s_delay_alu instid0(SALU_CYCLE_1) | instskip(SKIP_1) | instid1(SALU_CYCLE_1)
	s_or_b32 exec_lo, exec_lo, s13
	s_and_saveexec_b32 s13, s7
	s_xor_b32 s14, exec_lo, s13
	s_cbranch_execz .LBB6_9418
; %bb.9415:                             ;   in Loop: Header=BB6_9285 Depth=2
	v_and_b32_e32 v2, 16, v30
	v_cmp_lt_i32_e32 vcc_lo, 0, v17
	s_delay_alu instid0(VALU_DEP_2) | instskip(NEXT) | instid1(VALU_DEP_1)
	v_cmp_ne_u32_e64 s13, 0, v2
	s_and_b32 vcc_lo, s13, vcc_lo
	s_delay_alu instid0(SALU_CYCLE_1)
	s_and_saveexec_b32 s13, vcc_lo
	s_cbranch_execz .LBB6_9417
; %bb.9416:                             ;   in Loop: Header=BB6_9285 Depth=2
	s_waitcnt lgkmcnt(0)
	s_waitcnt_vscnt null, 0x0
	buffer_gl1_inv
	buffer_gl0_inv
.LBB6_9417:                             ;   in Loop: Header=BB6_9285 Depth=2
	s_or_b32 exec_lo, exec_lo, s13
.LBB6_9418:                             ;   in Loop: Header=BB6_9285 Depth=2
	s_and_not1_saveexec_b32 s13, s14
	s_cbranch_execz .LBB6_9440
; %bb.9419:                             ;   in Loop: Header=BB6_9285 Depth=2
	s_and_saveexec_b32 s14, s4
	s_delay_alu instid0(SALU_CYCLE_1)
	s_xor_b32 s14, exec_lo, s14
	s_cbranch_execz .LBB6_9437
; %bb.9420:                             ;   in Loop: Header=BB6_9285 Depth=2
	s_and_saveexec_b32 s35, s1
	s_cbranch_execz .LBB6_9436
; %bb.9421:                             ;   in Loop: Header=BB6_9285 Depth=2
	s_mov_b32 s37, exec_lo
	s_mov_b32 s36, exec_lo
	v_mbcnt_lo_u32_b32 v2, s37, 0
	;;#ASMSTART
	s_waitcnt lgkmcnt(0) vmcnt(0)
	;;#ASMEND
	s_delay_alu instid0(VALU_DEP_1)
	v_cmpx_eq_u32_e32 0, v2
	s_cbranch_execz .LBB6_9423
; %bb.9422:                             ;   in Loop: Header=BB6_9285 Depth=2
	s_bcnt1_i32_b32 vcc_lo, s37
	s_delay_alu instid0(SALU_CYCLE_1)
	v_mov_b32_e32 v2, vcc_lo
	ds_add_u64 v0, v[2:3]
	s_cbranch_execnz .LBB6_9967
.LBB6_9423:                             ;   in Loop: Header=BB6_9285 Depth=2
	s_or_b32 exec_lo, exec_lo, s36
	s_cbranch_execnz .LBB6_9947
; %bb.9424:                             ;   in Loop: Header=BB6_9285 Depth=2
	ds_load_b64 v[8:9], v0
	v_add_co_u32 v80, vcc_lo, v80, v129
	v_add_co_ci_u32_e32 v81, vcc_lo, 0, v81, vcc_lo
	s_mov_b32 s36, exec_lo
	s_waitcnt lgkmcnt(0)
	s_delay_alu instid0(VALU_DEP_1)
	v_cmpx_lt_u64_e64 v[8:9], v[80:81]
	s_cbranch_execz .LBB6_9435
; %bb.9425:                             ;   in Loop: Header=BB6_9285 Depth=2
	s_mov_b32 s37, 0
	s_mov_b32 s40, 0
                                        ; implicit-def: $sgpr38
                                        ; implicit-def: $sgpr39
	s_branch .LBB6_9427
.LBB6_9426:                             ;   in Loop: Header=BB6_9427 Depth=3
	s_or_b32 exec_lo, exec_lo, s42
	s_delay_alu instid0(SALU_CYCLE_1) | instskip(NEXT) | instid1(SALU_CYCLE_1)
	s_and_b32 vcc_lo, exec_lo, vcc_lo
	s_or_b32 s37, vcc_lo, s37
	s_and_not1_b32 vcc_lo, s38, exec_lo
	s_and_b32 s38, s39, exec_lo
	s_delay_alu instid0(SALU_CYCLE_1)
	s_or_b32 s38, vcc_lo, s38
	s_and_not1_b32 exec_lo, exec_lo, s37
	s_cbranch_execz .LBB6_9433
.LBB6_9427:                             ;   Parent Loop BB6_51 Depth=1
                                        ;     Parent Loop BB6_9285 Depth=2
                                        ; =>    This Inner Loop Header: Depth=3
	s_add_i32 s40, s40, 1
                                        ; implicit-def: $sgpr42
	s_delay_alu instid0(SALU_CYCLE_1) | instskip(SKIP_1) | instid1(SALU_CYCLE_1)
	s_cmpk_lg_i32 s40, 0x2710
	s_cselect_b32 s41, -1, 0
	s_and_b32 vcc_lo, exec_lo, s41
	s_cbranch_vccnz .LBB6_9430
; %bb.9428:                             ;   in Loop: Header=BB6_9427 Depth=3
	s_cbranch_execnz .LBB6_10015
; %bb.9429:                             ;   in Loop: Header=BB6_9427 Depth=3
	ds_load_b64 v[8:9], v0
	s_and_not1_b32 s41, s41, exec_lo
	s_mov_b32 s40, 0
	s_mov_b32 s42, -1
	s_waitcnt lgkmcnt(0)
	s_waitcnt_vscnt null, 0x0
	flat_load_b32 v2, v[8:9] glc
	s_waitcnt vmcnt(0) lgkmcnt(0)
	buffer_gl1_inv
	buffer_gl0_inv
	v_cmp_eq_u32_e32 vcc_lo, 0, v2
	s_and_b32 vcc_lo, vcc_lo, exec_lo
	s_delay_alu instid0(SALU_CYCLE_1)
	s_or_b32 s41, s41, vcc_lo
.LBB6_9430:                             ;   in Loop: Header=BB6_9427 Depth=3
	s_and_not1_b32 s39, s39, exec_lo
	s_and_b32 s42, s42, exec_lo
	s_mov_b32 vcc_lo, -1
	s_or_b32 s39, s39, s42
	s_and_saveexec_b32 s42, s41
	s_cbranch_execz .LBB6_9426
; %bb.9431:                             ;   in Loop: Header=BB6_9427 Depth=3
	s_sleep 1
	s_cbranch_execnz .LBB6_10001
; %bb.9432:                             ;   in Loop: Header=BB6_9427 Depth=3
	ds_load_b64 v[8:9], v0
	s_and_not1_b32 s39, s39, exec_lo
	s_waitcnt lgkmcnt(0)
	v_cmp_ge_u64_e32 vcc_lo, v[8:9], v[80:81]
	s_or_not1_b32 vcc_lo, vcc_lo, exec_lo
	s_branch .LBB6_9426
.LBB6_9433:                             ;   in Loop: Header=BB6_9285 Depth=2
	s_or_b32 exec_lo, exec_lo, s37
	s_and_saveexec_b32 vcc_lo, s38
	s_delay_alu instid0(SALU_CYCLE_1)
	s_xor_b32 vcc_lo, exec_lo, vcc_lo
	s_cbranch_execz .LBB6_9435
; %bb.9434:                             ;   in Loop: Header=BB6_9285 Depth=2
	ds_store_b32 v0, v176
	s_cbranch_execnz .LBB6_10063
.LBB6_9435:                             ;   in Loop: Header=BB6_9285 Depth=2
	s_or_b32 exec_lo, exec_lo, s36
	;;#ASMSTART
	s_wakeup
	;;#ASMEND
.LBB6_9436:                             ;   in Loop: Header=BB6_9285 Depth=2
	s_or_b32 exec_lo, exec_lo, s35
.LBB6_9437:                             ;   in Loop: Header=BB6_9285 Depth=2
	s_and_not1_saveexec_b32 s14, s14
	s_cbranch_execz .LBB6_9439
; %bb.9438:                             ;   in Loop: Header=BB6_9285 Depth=2
	;;#ASMSTART
	s_waitcnt lgkmcnt(0) vmcnt(0)
	;;#ASMEND
	s_waitcnt lgkmcnt(0)
	s_waitcnt_vscnt null, 0x0
	s_barrier
.LBB6_9439:                             ;   in Loop: Header=BB6_9285 Depth=2
	s_or_b32 exec_lo, exec_lo, s14
.LBB6_9440:                             ;   in Loop: Header=BB6_9285 Depth=2
	s_delay_alu instid0(SALU_CYCLE_1) | instskip(SKIP_2) | instid1(VALU_DEP_1)
	s_or_b32 exec_lo, exec_lo, s13
	v_and_b32_e32 v2, 32, v30
	s_mov_b32 s13, exec_lo
	v_cmpx_ne_u32_e32 0, v2
	s_cbranch_execz .LBB6_9442
; %bb.9441:                             ;   in Loop: Header=BB6_9285 Depth=2
	v_add_co_u32 v66, vcc_lo, v66, 2
	v_add_co_ci_u32_e32 v67, vcc_lo, 0, v67, vcc_lo
	s_waitcnt lgkmcnt(0)
	s_waitcnt_vscnt null, 0x0
	flat_store_b64 v[64:65], v[66:67]
.LBB6_9442:                             ;   in Loop: Header=BB6_9285 Depth=2
	s_or_b32 exec_lo, exec_lo, s13
	v_add_nc_u32_e32 v14, v13, v14
	s_xor_b32 s13, s17, -1
	v_mov_b32_e32 v2, s34
	s_mov_b32 s17, 0
	s_mov_b32 s34, 2
	v_cmp_ge_i32_e32 vcc_lo, v14, v12
	s_or_b32 s13, s13, vcc_lo
	s_delay_alu instid0(SALU_CYCLE_1) | instskip(NEXT) | instid1(SALU_CYCLE_1)
	s_and_b32 s13, exec_lo, s13
	s_or_b32 s16, s13, s16
	s_delay_alu instid0(SALU_CYCLE_1)
	s_and_not1_b32 exec_lo, exec_lo, s16
	s_cbranch_execnz .LBB6_9285
; %bb.9443:                             ;   in Loop: Header=BB6_51 Depth=1
	s_or_b32 exec_lo, exec_lo, s16
.LBB6_9444:                             ;   in Loop: Header=BB6_51 Depth=1
	s_delay_alu instid0(SALU_CYCLE_1) | instskip(NEXT) | instid1(SALU_CYCLE_1)
	s_or_b32 exec_lo, exec_lo, s15
	s_mov_b32 s14, exec_lo
	v_cmpx_gt_i32_e32 2, v2
	s_cbranch_execz .LBB6_9523
; %bb.9445:                             ;   in Loop: Header=BB6_51 Depth=1
	v_cmp_eq_u32_e64 s13, 0, v2
	s_mov_b32 s15, 0
.LBB6_9446:                             ;   Parent Loop BB6_51 Depth=1
                                        ; =>  This Loop Header: Depth=2
                                        ;       Child Loop BB6_9452 Depth 3
                                        ;       Child Loop BB6_9479 Depth 3
	;; [unrolled: 1-line block ×3, first 2 shown]
	v_and_b32_e32 v2, 4, v30
	s_mov_b32 s17, -1
	s_mov_b32 s16, exec_lo
	s_delay_alu instid0(VALU_DEP_1)
	v_cmpx_ne_u32_e32 0, v2
	s_cbranch_execz .LBB6_9460
; %bb.9447:                             ;   in Loop: Header=BB6_9446 Depth=2
	v_add_co_u32 v8, vcc_lo, v66, 2
	v_add_co_ci_u32_e32 v9, vcc_lo, 0, v67, vcc_lo
	v_mov_b32_e32 v2, 1
	s_mov_b32 s17, exec_lo
	s_delay_alu instid0(VALU_DEP_2)
	v_cmpx_lt_u64_e64 v[82:83], v[8:9]
	s_cbranch_execz .LBB6_9459
; %bb.9448:                             ;   in Loop: Header=BB6_9446 Depth=2
	v_mov_b32_e32 v2, 0
	s_mov_b32 s34, 0
                                        ; implicit-def: $sgpr35
	s_branch .LBB6_9452
.LBB6_9449:                             ;   in Loop: Header=BB6_9452 Depth=3
	s_or_b32 exec_lo, exec_lo, s39
	v_mov_b32_e32 v10, 0
	s_or_not1_b32 s38, s38, exec_lo
.LBB6_9450:                             ;   in Loop: Header=BB6_9452 Depth=3
	s_or_b32 exec_lo, exec_lo, s37
	s_delay_alu instid0(VALU_DEP_1) | instskip(SKIP_2) | instid1(SALU_CYCLE_1)
	v_mov_b32_e32 v2, v10
	s_and_not1_b32 vcc_lo, s35, exec_lo
	s_and_b32 s35, s38, exec_lo
	s_or_b32 s35, vcc_lo, s35
.LBB6_9451:                             ;   in Loop: Header=BB6_9452 Depth=3
	s_or_b32 exec_lo, exec_lo, s36
	s_waitcnt vmcnt(0) lgkmcnt(0)
	v_cmp_ge_u64_e32 vcc_lo, v[82:83], v[8:9]
	s_xor_b32 s36, s35, -1
	s_delay_alu instid0(SALU_CYCLE_1) | instskip(NEXT) | instid1(SALU_CYCLE_1)
	s_or_b32 vcc_lo, s36, vcc_lo
	s_and_b32 vcc_lo, exec_lo, vcc_lo
	s_delay_alu instid0(SALU_CYCLE_1) | instskip(NEXT) | instid1(SALU_CYCLE_1)
	s_or_b32 s34, vcc_lo, s34
	s_and_not1_b32 exec_lo, exec_lo, s34
	s_cbranch_execz .LBB6_9458
.LBB6_9452:                             ;   Parent Loop BB6_51 Depth=1
                                        ;     Parent Loop BB6_9446 Depth=2
                                        ; =>    This Inner Loop Header: Depth=3
	s_sleep 1
	flat_load_b64 v[82:83], v[64:65] glc
	v_and_b32_e32 v10, 64, v30
	s_and_not1_b32 s35, s35, exec_lo
	s_mov_b32 s36, exec_lo
	s_delay_alu instid0(VALU_DEP_1)
	v_cmpx_eq_u32_e32 0, v10
	s_cbranch_execz .LBB6_9451
; %bb.9453:                             ;   in Loop: Header=BB6_9452 Depth=3
	v_add_nc_u32_e32 v10, 1, v2
	s_mov_b32 s38, -1
	s_mov_b32 s37, exec_lo
	v_cmpx_lt_i32_e32 0x270e, v2
	s_cbranch_execz .LBB6_9450
; %bb.9454:                             ;   in Loop: Header=BB6_9452 Depth=3
	s_cbranch_execnz .LBB6_9735
; %bb.9455:                             ;   in Loop: Header=BB6_9452 Depth=3
	ds_load_b64 v[10:11], v0
	s_mov_b32 s39, exec_lo
	s_waitcnt vmcnt(0) lgkmcnt(0)
	s_waitcnt_vscnt null, 0x0
	flat_load_b32 v2, v[10:11] glc
	s_waitcnt vmcnt(0) lgkmcnt(0)
	buffer_gl1_inv
	buffer_gl0_inv
	v_cmpx_ne_u32_e32 0, v2
	s_cbranch_execz .LBB6_9449
; %bb.9456:                             ;   in Loop: Header=BB6_9452 Depth=3
	ds_store_b32 v0, v2
	s_cbranch_execnz .LBB6_9813
; %bb.9457:                             ;   in Loop: Header=BB6_9452 Depth=3
	v_or_b32_e32 v30, 64, v30
	s_xor_b32 s38, exec_lo, -1
	s_branch .LBB6_9449
.LBB6_9458:                             ;   in Loop: Header=BB6_9446 Depth=2
	s_or_b32 exec_lo, exec_lo, s34
	v_and_b32_e32 v2, 4, v30
.LBB6_9459:                             ;   in Loop: Header=BB6_9446 Depth=2
	s_or_b32 exec_lo, exec_lo, s17
	s_delay_alu instid0(VALU_DEP_1)
	v_cmp_eq_u32_e32 vcc_lo, 0, v2
	;;#ASMSTART
	s_wakeup
	;;#ASMEND
	s_or_not1_b32 s17, vcc_lo, exec_lo
.LBB6_9460:                             ;   in Loop: Header=BB6_9446 Depth=2
	s_or_b32 exec_lo, exec_lo, s16
	s_xor_b32 s13, s13, -1
	s_delay_alu instid0(SALU_CYCLE_1) | instskip(NEXT) | instid1(SALU_CYCLE_1)
	s_and_b32 s13, exec_lo, s13
	s_or_b32 s15, s13, s15
	s_xor_b32 s13, s17, -1
	s_delay_alu instid0(SALU_CYCLE_1)
	s_and_saveexec_b32 s16, s13
	s_cbranch_execz .LBB6_9470
; %bb.9461:                             ;   in Loop: Header=BB6_9446 Depth=2
	v_and_b32_e32 v2, 0x100, v30
	s_mov_b32 s13, -1
                                        ; implicit-def: $vgpr8_vgpr9
	s_delay_alu instid0(VALU_DEP_1)
	v_cmp_ne_u32_e32 vcc_lo, 0, v2
	v_and_b32_e32 v2, 7, v66
	s_and_saveexec_b32 s17, vcc_lo
	s_cbranch_execz .LBB6_9465
; %bb.9462:                             ;   in Loop: Header=BB6_9446 Depth=2
	s_delay_alu instid0(VALU_DEP_1) | instskip(SKIP_4) | instid1(VALU_DEP_1)
	v_mad_u64_u32 v[10:11], null, v2, 24, v[6:7]
	flat_load_b32 v8, v[10:11]
	s_waitcnt vmcnt(0) lgkmcnt(0)
	v_cmp_ne_u32_e32 vcc_lo, 1, v8
	v_cmp_eq_u32_e64 s13, 1, v8
                                        ; implicit-def: $vgpr8_vgpr9
	s_and_saveexec_b32 s34, s13
	s_cbranch_execz .LBB6_9464
; %bb.9463:                             ;   in Loop: Header=BB6_9446 Depth=2
	flat_load_b32 v8, v[10:11] offset:4 glc
	s_waitcnt vmcnt(0) lgkmcnt(0)
	v_ashrrev_i32_e32 v9, 31, v8
.LBB6_9464:                             ;   in Loop: Header=BB6_9446 Depth=2
	s_or_b32 exec_lo, exec_lo, s34
	s_delay_alu instid0(SALU_CYCLE_1)
	s_or_not1_b32 s13, vcc_lo, exec_lo
.LBB6_9465:                             ;   in Loop: Header=BB6_9446 Depth=2
	s_or_b32 exec_lo, exec_lo, s17
	s_and_saveexec_b32 s17, s13
; %bb.9466:                             ;   in Loop: Header=BB6_9446 Depth=2
	v_mad_i64_i32 v[8:9], null, v2, v118, 0
; %bb.9467:                             ;   in Loop: Header=BB6_9446 Depth=2
	s_or_b32 exec_lo, exec_lo, s17
	s_delay_alu instid0(VALU_DEP_1) | instskip(SKIP_1) | instid1(VALU_DEP_3)
	v_add_co_u32 v8, vcc_lo, v68, v8
	v_and_b32_e32 v2, 0x2000, v30
	v_add_co_ci_u32_e32 v9, vcc_lo, v69, v9, vcc_lo
	s_mov_b32 s13, exec_lo
	ds_store_b64 v0, v[8:9] offset:720
	v_cmpx_ne_u32_e32 0, v2
	s_cbranch_execz .LBB6_9469
; %bb.9468:                             ;   in Loop: Header=BB6_9446 Depth=2
	ds_load_b64 v[8:9], v0 offset:584
	s_waitcnt lgkmcnt(0)
	v_add_co_u32 v8, vcc_lo, v8, 1
	v_add_co_ci_u32_e32 v9, vcc_lo, 0, v9, vcc_lo
	ds_store_b64 v0, v[8:9] offset:584
.LBB6_9469:                             ;   in Loop: Header=BB6_9446 Depth=2
	s_or_b32 exec_lo, exec_lo, s13
	v_add_co_u32 v66, vcc_lo, v66, 2
	v_add_co_ci_u32_e32 v67, vcc_lo, 0, v67, vcc_lo
.LBB6_9470:                             ;   in Loop: Header=BB6_9446 Depth=2
	s_or_b32 exec_lo, exec_lo, s16
	s_and_saveexec_b32 s13, s3
	s_cbranch_execz .LBB6_9492
; %bb.9471:                             ;   in Loop: Header=BB6_9446 Depth=2
	s_and_saveexec_b32 s16, s4
	s_delay_alu instid0(SALU_CYCLE_1)
	s_xor_b32 s16, exec_lo, s16
	s_cbranch_execz .LBB6_9489
; %bb.9472:                             ;   in Loop: Header=BB6_9446 Depth=2
	s_and_saveexec_b32 s17, s1
	s_cbranch_execz .LBB6_9488
; %bb.9473:                             ;   in Loop: Header=BB6_9446 Depth=2
	s_mov_b32 s35, exec_lo
	s_mov_b32 s34, exec_lo
	v_mbcnt_lo_u32_b32 v2, s35, 0
	s_waitcnt lgkmcnt(0)
	s_waitcnt_vscnt null, 0x0
	buffer_gl1_inv
	buffer_gl0_inv
	v_cmpx_eq_u32_e32 0, v2
	s_cbranch_execz .LBB6_9475
; %bb.9474:                             ;   in Loop: Header=BB6_9446 Depth=2
	s_bcnt1_i32_b32 vcc_lo, s35
	s_delay_alu instid0(SALU_CYCLE_1)
	v_mov_b32_e32 v2, vcc_lo
	ds_add_u64 v0, v[2:3]
	s_cbranch_execnz .LBB6_9849
.LBB6_9475:                             ;   in Loop: Header=BB6_9446 Depth=2
	s_or_b32 exec_lo, exec_lo, s34
	s_cbranch_execnz .LBB6_9825
; %bb.9476:                             ;   in Loop: Header=BB6_9446 Depth=2
	ds_load_b64 v[8:9], v0
	v_add_co_u32 v80, vcc_lo, v80, v129
	v_add_co_ci_u32_e32 v81, vcc_lo, 0, v81, vcc_lo
	s_mov_b32 s34, exec_lo
	s_waitcnt lgkmcnt(0)
	s_delay_alu instid0(VALU_DEP_1)
	v_cmpx_lt_u64_e64 v[8:9], v[80:81]
	s_cbranch_execz .LBB6_9487
; %bb.9477:                             ;   in Loop: Header=BB6_9446 Depth=2
	s_mov_b32 s35, 0
	s_mov_b32 s38, 0
                                        ; implicit-def: $sgpr36
                                        ; implicit-def: $sgpr37
	s_branch .LBB6_9479
.LBB6_9478:                             ;   in Loop: Header=BB6_9479 Depth=3
	s_or_b32 exec_lo, exec_lo, s40
	s_delay_alu instid0(SALU_CYCLE_1) | instskip(NEXT) | instid1(SALU_CYCLE_1)
	s_and_b32 vcc_lo, exec_lo, vcc_lo
	s_or_b32 s35, vcc_lo, s35
	s_and_not1_b32 vcc_lo, s36, exec_lo
	s_and_b32 s36, s37, exec_lo
	s_delay_alu instid0(SALU_CYCLE_1)
	s_or_b32 s36, vcc_lo, s36
	s_and_not1_b32 exec_lo, exec_lo, s35
	s_cbranch_execz .LBB6_9485
.LBB6_9479:                             ;   Parent Loop BB6_51 Depth=1
                                        ;     Parent Loop BB6_9446 Depth=2
                                        ; =>    This Inner Loop Header: Depth=3
	s_add_i32 s38, s38, 1
                                        ; implicit-def: $sgpr40
	s_delay_alu instid0(SALU_CYCLE_1) | instskip(SKIP_1) | instid1(SALU_CYCLE_1)
	s_cmpk_lg_i32 s38, 0x2710
	s_cselect_b32 s39, -1, 0
	s_and_b32 vcc_lo, exec_lo, s39
	s_cbranch_vccz .LBB6_9483
.LBB6_9480:                             ;   in Loop: Header=BB6_9479 Depth=3
	s_and_not1_b32 s37, s37, exec_lo
	s_and_b32 s40, s40, exec_lo
	s_mov_b32 vcc_lo, -1
	s_or_b32 s37, s37, s40
	s_and_saveexec_b32 s40, s39
	s_cbranch_execz .LBB6_9478
; %bb.9481:                             ;   in Loop: Header=BB6_9479 Depth=3
	s_sleep 1
	s_cbranch_execnz .LBB6_9897
; %bb.9482:                             ;   in Loop: Header=BB6_9479 Depth=3
	ds_load_b64 v[8:9], v0
	s_and_not1_b32 s37, s37, exec_lo
	s_waitcnt lgkmcnt(0)
	v_cmp_ge_u64_e32 vcc_lo, v[8:9], v[80:81]
	s_or_not1_b32 vcc_lo, vcc_lo, exec_lo
	s_branch .LBB6_9478
.LBB6_9483:                             ;   in Loop: Header=BB6_9479 Depth=3
	s_cbranch_execnz .LBB6_9917
; %bb.9484:                             ;   in Loop: Header=BB6_9479 Depth=3
	ds_load_b64 v[8:9], v0
	s_and_not1_b32 s39, s39, exec_lo
	s_mov_b32 s38, 0
	s_mov_b32 s40, -1
	s_waitcnt lgkmcnt(0)
	flat_load_b32 v2, v[8:9] glc
	s_waitcnt vmcnt(0) lgkmcnt(0)
	buffer_gl1_inv
	buffer_gl0_inv
	v_cmp_eq_u32_e32 vcc_lo, 0, v2
	s_and_b32 vcc_lo, vcc_lo, exec_lo
	s_delay_alu instid0(SALU_CYCLE_1)
	s_or_b32 s39, s39, vcc_lo
	s_branch .LBB6_9480
.LBB6_9485:                             ;   in Loop: Header=BB6_9446 Depth=2
	s_or_b32 exec_lo, exec_lo, s35
	s_and_saveexec_b32 vcc_lo, s36
	s_delay_alu instid0(SALU_CYCLE_1)
	s_xor_b32 vcc_lo, exec_lo, vcc_lo
	s_cbranch_execz .LBB6_9487
; %bb.9486:                             ;   in Loop: Header=BB6_9446 Depth=2
	ds_store_b32 v0, v176
	s_cbranch_execnz .LBB6_10041
.LBB6_9487:                             ;   in Loop: Header=BB6_9446 Depth=2
	s_or_b32 exec_lo, exec_lo, s34
	;;#ASMSTART
	s_wakeup
	;;#ASMEND
.LBB6_9488:                             ;   in Loop: Header=BB6_9446 Depth=2
	s_or_b32 exec_lo, exec_lo, s17
.LBB6_9489:                             ;   in Loop: Header=BB6_9446 Depth=2
	s_and_not1_saveexec_b32 s16, s16
	s_cbranch_execz .LBB6_9491
; %bb.9490:                             ;   in Loop: Header=BB6_9446 Depth=2
	s_waitcnt lgkmcnt(0)
	s_waitcnt_vscnt null, 0x0
	buffer_gl1_inv
	buffer_gl0_inv
	s_barrier
.LBB6_9491:                             ;   in Loop: Header=BB6_9446 Depth=2
	s_or_b32 exec_lo, exec_lo, s16
.LBB6_9492:                             ;   in Loop: Header=BB6_9446 Depth=2
	s_delay_alu instid0(SALU_CYCLE_1) | instskip(SKIP_1) | instid1(VALU_DEP_1)
	s_or_b32 exec_lo, exec_lo, s13
	v_sub_nc_u32_e32 v2, v12, v14
	v_min_i32_e32 v13, v13, v2
	s_and_saveexec_b32 s13, s7
	s_delay_alu instid0(SALU_CYCLE_1)
	s_xor_b32 s16, exec_lo, s13
	s_cbranch_execz .LBB6_9497
; %bb.9493:                             ;   in Loop: Header=BB6_9446 Depth=2
	s_cbranch_execnz .LBB6_9731
; %bb.9494:                             ;   in Loop: Header=BB6_9446 Depth=2
	ds_load_b32 v2, v0
	v_cmp_lt_i32_e32 vcc_lo, 0, v13
	s_waitcnt lgkmcnt(0)
	v_readfirstlane_b32 s13, v2
	v_and_b32_e32 v2, 16, v30
	s_delay_alu instid0(VALU_DEP_2) | instskip(NEXT) | instid1(VALU_DEP_1)
	s_cmp_eq_u32 s13, 0
	v_cmp_ne_u32_e64 s13, 0, v2
	s_cselect_b32 s17, -1, 0
	s_delay_alu instid0(SALU_CYCLE_1)
	s_and_b32 s17, vcc_lo, s17
	s_delay_alu instid0(VALU_DEP_1) | instid1(SALU_CYCLE_1)
	s_and_b32 s17, s13, s17
	s_delay_alu instid0(SALU_CYCLE_1)
	s_and_saveexec_b32 s13, s17
	s_cbranch_execz .LBB6_9496
; %bb.9495:                             ;   in Loop: Header=BB6_9446 Depth=2
	s_waitcnt_vscnt null, 0x0
	buffer_gl1_inv
	buffer_gl0_inv
.LBB6_9496:                             ;   in Loop: Header=BB6_9446 Depth=2
	s_or_b32 exec_lo, exec_lo, s13
.LBB6_9497:                             ;   in Loop: Header=BB6_9446 Depth=2
	s_and_not1_saveexec_b32 s13, s16
	s_cbranch_execz .LBB6_9519
; %bb.9498:                             ;   in Loop: Header=BB6_9446 Depth=2
	s_and_saveexec_b32 s16, s4
	s_delay_alu instid0(SALU_CYCLE_1)
	s_xor_b32 s16, exec_lo, s16
	s_cbranch_execz .LBB6_9516
; %bb.9499:                             ;   in Loop: Header=BB6_9446 Depth=2
	s_and_saveexec_b32 s17, s1
	s_cbranch_execz .LBB6_9515
; %bb.9500:                             ;   in Loop: Header=BB6_9446 Depth=2
	s_mov_b32 s35, exec_lo
	s_mov_b32 s34, exec_lo
	v_mbcnt_lo_u32_b32 v2, s35, 0
	;;#ASMSTART
	s_waitcnt lgkmcnt(0) vmcnt(0)
	;;#ASMEND
	s_delay_alu instid0(VALU_DEP_1)
	v_cmpx_eq_u32_e32 0, v2
	s_cbranch_execz .LBB6_9502
; %bb.9501:                             ;   in Loop: Header=BB6_9446 Depth=2
	s_bcnt1_i32_b32 vcc_lo, s35
	s_delay_alu instid0(SALU_CYCLE_1)
	v_mov_b32_e32 v2, vcc_lo
	ds_add_u64 v0, v[2:3]
	s_cbranch_execnz .LBB6_9875
.LBB6_9502:                             ;   in Loop: Header=BB6_9446 Depth=2
	s_or_b32 exec_lo, exec_lo, s34
	s_cbranch_execnz .LBB6_9847
; %bb.9503:                             ;   in Loop: Header=BB6_9446 Depth=2
	ds_load_b64 v[8:9], v0
	v_add_co_u32 v80, vcc_lo, v80, v129
	v_add_co_ci_u32_e32 v81, vcc_lo, 0, v81, vcc_lo
	s_mov_b32 s34, exec_lo
	s_waitcnt lgkmcnt(0)
	s_delay_alu instid0(VALU_DEP_1)
	v_cmpx_lt_u64_e64 v[8:9], v[80:81]
	s_cbranch_execz .LBB6_9514
; %bb.9504:                             ;   in Loop: Header=BB6_9446 Depth=2
	s_mov_b32 s35, 0
	s_mov_b32 s38, 0
                                        ; implicit-def: $sgpr36
                                        ; implicit-def: $sgpr37
	s_branch .LBB6_9506
.LBB6_9505:                             ;   in Loop: Header=BB6_9506 Depth=3
	s_or_b32 exec_lo, exec_lo, s40
	s_delay_alu instid0(SALU_CYCLE_1) | instskip(NEXT) | instid1(SALU_CYCLE_1)
	s_and_b32 vcc_lo, exec_lo, vcc_lo
	s_or_b32 s35, vcc_lo, s35
	s_and_not1_b32 vcc_lo, s36, exec_lo
	s_and_b32 s36, s37, exec_lo
	s_delay_alu instid0(SALU_CYCLE_1)
	s_or_b32 s36, vcc_lo, s36
	s_and_not1_b32 exec_lo, exec_lo, s35
	s_cbranch_execz .LBB6_9512
.LBB6_9506:                             ;   Parent Loop BB6_51 Depth=1
                                        ;     Parent Loop BB6_9446 Depth=2
                                        ; =>    This Inner Loop Header: Depth=3
	s_add_i32 s38, s38, 1
                                        ; implicit-def: $sgpr40
	s_delay_alu instid0(SALU_CYCLE_1) | instskip(SKIP_1) | instid1(SALU_CYCLE_1)
	s_cmpk_lg_i32 s38, 0x2710
	s_cselect_b32 s39, -1, 0
	s_and_b32 vcc_lo, exec_lo, s39
	s_cbranch_vccz .LBB6_9510
.LBB6_9507:                             ;   in Loop: Header=BB6_9506 Depth=3
	s_and_not1_b32 s37, s37, exec_lo
	s_and_b32 s40, s40, exec_lo
	s_mov_b32 vcc_lo, -1
	s_or_b32 s37, s37, s40
	s_and_saveexec_b32 s40, s39
	s_cbranch_execz .LBB6_9505
; %bb.9508:                             ;   in Loop: Header=BB6_9506 Depth=3
	s_sleep 1
	s_cbranch_execnz .LBB6_9927
; %bb.9509:                             ;   in Loop: Header=BB6_9506 Depth=3
	ds_load_b64 v[8:9], v0
	s_and_not1_b32 s37, s37, exec_lo
	s_waitcnt lgkmcnt(0)
	v_cmp_ge_u64_e32 vcc_lo, v[8:9], v[80:81]
	s_or_not1_b32 vcc_lo, vcc_lo, exec_lo
	s_branch .LBB6_9505
.LBB6_9510:                             ;   in Loop: Header=BB6_9506 Depth=3
	s_cbranch_execnz .LBB6_9945
; %bb.9511:                             ;   in Loop: Header=BB6_9506 Depth=3
	ds_load_b64 v[8:9], v0
	s_and_not1_b32 s39, s39, exec_lo
	s_mov_b32 s38, 0
	s_mov_b32 s40, -1
	s_waitcnt lgkmcnt(0)
	s_waitcnt_vscnt null, 0x0
	flat_load_b32 v2, v[8:9] glc
	s_waitcnt vmcnt(0) lgkmcnt(0)
	buffer_gl1_inv
	buffer_gl0_inv
	v_cmp_eq_u32_e32 vcc_lo, 0, v2
	s_and_b32 vcc_lo, vcc_lo, exec_lo
	s_delay_alu instid0(SALU_CYCLE_1)
	s_or_b32 s39, s39, vcc_lo
	s_branch .LBB6_9507
.LBB6_9512:                             ;   in Loop: Header=BB6_9446 Depth=2
	s_or_b32 exec_lo, exec_lo, s35
	s_and_saveexec_b32 vcc_lo, s36
	s_delay_alu instid0(SALU_CYCLE_1)
	s_xor_b32 vcc_lo, exec_lo, vcc_lo
	s_cbranch_execz .LBB6_9514
; %bb.9513:                             ;   in Loop: Header=BB6_9446 Depth=2
	ds_store_b32 v0, v176
	s_cbranch_execnz .LBB6_10051
.LBB6_9514:                             ;   in Loop: Header=BB6_9446 Depth=2
	s_or_b32 exec_lo, exec_lo, s34
	;;#ASMSTART
	s_wakeup
	;;#ASMEND
.LBB6_9515:                             ;   in Loop: Header=BB6_9446 Depth=2
	s_or_b32 exec_lo, exec_lo, s17
.LBB6_9516:                             ;   in Loop: Header=BB6_9446 Depth=2
	s_and_not1_saveexec_b32 s16, s16
	s_cbranch_execz .LBB6_9518
; %bb.9517:                             ;   in Loop: Header=BB6_9446 Depth=2
	;;#ASMSTART
	s_waitcnt lgkmcnt(0) vmcnt(0)
	;;#ASMEND
	s_waitcnt lgkmcnt(0)
	s_waitcnt_vscnt null, 0x0
	s_barrier
.LBB6_9518:                             ;   in Loop: Header=BB6_9446 Depth=2
	s_or_b32 exec_lo, exec_lo, s16
.LBB6_9519:                             ;   in Loop: Header=BB6_9446 Depth=2
	s_delay_alu instid0(SALU_CYCLE_1) | instskip(SKIP_2) | instid1(VALU_DEP_1)
	s_or_b32 exec_lo, exec_lo, s13
	v_and_b32_e32 v2, 32, v30
	s_mov_b32 s13, exec_lo
	v_cmpx_ne_u32_e32 0, v2
	s_cbranch_execz .LBB6_9521
; %bb.9520:                             ;   in Loop: Header=BB6_9446 Depth=2
	v_add_co_u32 v66, vcc_lo, v66, 2
	v_add_co_ci_u32_e32 v67, vcc_lo, 0, v67, vcc_lo
	s_waitcnt lgkmcnt(0)
	s_waitcnt_vscnt null, 0x0
	flat_store_b64 v[64:65], v[66:67]
.LBB6_9521:                             ;   in Loop: Header=BB6_9446 Depth=2
	s_or_b32 exec_lo, exec_lo, s13
	v_add_nc_u32_e32 v14, v13, v14
	s_mov_b32 s13, 0
	s_and_not1_b32 exec_lo, exec_lo, s15
	s_cbranch_execnz .LBB6_9446
; %bb.9522:                             ;   in Loop: Header=BB6_51 Depth=1
	s_or_b32 exec_lo, exec_lo, s15
.LBB6_9523:                             ;   in Loop: Header=BB6_51 Depth=1
	s_delay_alu instid0(SALU_CYCLE_1)
	s_or_b32 exec_lo, exec_lo, s14
	v_add_co_u32 v86, vcc_lo, v86, v84
	v_add_co_ci_u32_e32 v87, vcc_lo, v87, v85, vcc_lo
	v_readlane_b32 s34, v122, 6
	v_readlane_b32 s35, v122, 7
	;; [unrolled: 1-line block ×3, first 2 shown]
	s_delay_alu instid0(VALU_DEP_4) | instskip(SKIP_2) | instid1(SALU_CYCLE_1)
	v_cmp_ge_i64_e32 vcc_lo, v[86:87], v[4:5]
	s_mov_b32 s14, s12
	s_or_b32 s24, vcc_lo, s24
	s_and_not1_b32 exec_lo, exec_lo, s24
	s_cbranch_execz .LBB6_9524
; %bb.10329:                            ;   in Loop: Header=BB6_51 Depth=1
	s_getpc_b64 s[48:49]
.Lpost_getpc340:
	s_add_u32 s48, s48, (.LBB6_51-.Lpost_getpc340)&4294967295
	s_addc_u32 s49, s49, (.LBB6_51-.Lpost_getpc340)>>32
	s_setpc_b64 s[48:49]
.LBB6_9524:
	s_or_b32 exec_lo, exec_lo, s24
.LBB6_9525:
	s_delay_alu instid0(SALU_CYCLE_1)
	s_or_b32 exec_lo, exec_lo, s20
; %bb.9526:
	v_and_b32_e32 v0, 0x800, v30
	s_mov_b32 s0, exec_lo
	s_delay_alu instid0(VALU_DEP_1)
	v_cmpx_eq_u32_e32 0, v0
	s_cbranch_execz .LBB6_9781
; %bb.9527:
	v_and_b32_e32 v0, 48, v30
	s_mov_b32 s1, exec_lo
	s_delay_alu instid0(VALU_DEP_1)
	v_cmpx_ne_u32_e32 0, v0
	s_cbranch_execz .LBB6_9529
; %bb.9528:
	flat_store_b64 v[54:55], v[66:67] offset:104
.LBB6_9529:
	s_or_b32 exec_lo, exec_lo, s1
	v_and_b32_e32 v0, 0x88, v30
	s_mov_b32 s1, exec_lo
	s_delay_alu instid0(VALU_DEP_1)
	v_cmpx_eq_u32_e32 0x88, v0
	s_cbranch_execz .LBB6_9579
; %bb.9530:
	v_add_nc_u32_e32 v0, 6, v66
	s_mov_b32 s2, 0
                                        ; implicit-def: $sgpr3
	s_delay_alu instid0(VALU_DEP_1) | instskip(NEXT) | instid1(VALU_DEP_1)
	v_and_b32_e32 v0, 7, v0
	v_mad_u64_u32 v[2:3], null, v0, 24, v[6:7]
	v_mov_b32_e32 v0, 0
	s_delay_alu instid0(VALU_DEP_2) | instskip(NEXT) | instid1(VALU_DEP_3)
	v_add_co_u32 v2, vcc_lo, v2, 8
	v_add_co_ci_u32_e32 v3, vcc_lo, 0, v3, vcc_lo
	s_branch .LBB6_9565
.LBB6_9531:
	s_trap 2
	s_sendmsg_rtn_b32 s0, sendmsg(MSG_RTN_GET_DOORBELL)
	s_mov_b32 ttmp2, m0
	s_waitcnt lgkmcnt(0)
	s_and_b32 s0, s0, 0x3ff
	s_delay_alu instid0(SALU_CYCLE_1) | instskip(NEXT) | instid1(SALU_CYCLE_1)
	s_bitset1_b32 s0, 10
	s_mov_b32 m0, s0
	s_sendmsg sendmsg(MSG_INTERRUPT)
	s_mov_b32 m0, ttmp2
.LBB6_9532:                             ; =>This Inner Loop Header: Depth=1
	s_sethalt 5
	s_branch .LBB6_9532
.LBB6_9533:
	v_bfe_u32 v9, v7, 8, 8
	v_not_b32_e32 v8, v8
	s_mov_b32 s1, exec_lo
                                        ; implicit-def: $vgpr14_vgpr15
                                        ; implicit-def: $vgpr28_vgpr29
                                        ; implicit-def: $vgpr4_vgpr5
	s_delay_alu instid0(VALU_DEP_2)
	v_cmpx_ne_u32_e64 v9, v6
	s_xor_b32 s1, exec_lo, s1
	s_cbranch_execz .LBB6_9535
; %bb.9534:
	s_clause 0x1
	flat_load_b128 v[9:12], v[2:3] offset:72
	flat_load_b64 v[4:5], v[2:3] offset:96
	v_add_nc_u32_e32 v6, v6, v8
                                        ; implicit-def: $vgpr8
	s_waitcnt vmcnt(0) lgkmcnt(0)
	v_lshrrev_b64 v[14:15], 12, v[4:5]
	v_dual_mov_b32 v4, v11 :: v_dual_mov_b32 v5, v12
	s_delay_alu instid0(VALU_DEP_3) | instskip(SKIP_2) | instid1(VALU_DEP_3)
	v_ashrrev_i32_e32 v7, 31, v6
	v_mad_u64_u32 v[28:29], null, v11, v6, v[9:10]
	v_mul_lo_u32 v6, v12, v6
                                        ; implicit-def: $vgpr9
	v_mul_lo_u32 v7, v11, v7
	s_delay_alu instid0(VALU_DEP_1)
	v_add3_u32 v29, v6, v29, v7
.LBB6_9535:
	s_and_not1_saveexec_b32 s1, s1
	s_cbranch_execz .LBB6_9537
; %bb.9536:
	s_clause 0x1
	flat_load_b128 v[10:13], v[2:3] offset:72
	flat_load_b128 v[4:7], v[2:3] offset:88
	s_waitcnt vmcnt(0) lgkmcnt(0)
	v_add_nc_u32_e32 v6, v9, v8
	s_delay_alu instid0(VALU_DEP_1) | instskip(NEXT) | instid1(VALU_DEP_1)
	v_ashrrev_i32_e32 v8, 31, v6
	v_mul_lo_u32 v8, v12, v8
	v_mad_u64_u32 v[28:29], null, v12, v6, v[10:11]
	v_mul_lo_u32 v6, v13, v6
	v_lshrrev_b32_e32 v14, 1, v7
	s_delay_alu instid0(VALU_DEP_2)
	v_add3_u32 v29, v6, v29, v8
.LBB6_9537:
	s_or_b32 exec_lo, exec_lo, s1
	s_and_not1_saveexec_b32 s0, s0
	s_cbranch_execnz .LBB6_9538
; %bb.10331:
	s_getpc_b64 s[48:49]
.Lpost_getpc341:
	s_add_u32 s48, s48, (.LBB6_3-.Lpost_getpc341)&4294967295
	s_addc_u32 s49, s49, (.LBB6_3-.Lpost_getpc341)>>32
	s_setpc_b64 s[48:49]
.LBB6_9538:
	s_clause 0x1
	flat_load_b64 v[6:7], v[2:3] offset:96
	flat_load_b64 v[4:5], v[2:3] offset:72
	v_mov_b32_e32 v28, 0
	v_mov_b32_e32 v29, 0
	s_waitcnt vmcnt(1) lgkmcnt(1)
	v_lshlrev_b64 v[14:15], 9, v[6:7]
	s_or_b32 exec_lo, exec_lo, s0
	s_cbranch_execnz .LBB6_9539
; %bb.10333:
	s_getpc_b64 s[48:49]
.Lpost_getpc342:
	s_add_u32 s48, s48, (.LBB6_4-.Lpost_getpc342)&4294967295
	s_addc_u32 s49, s49, (.LBB6_4-.Lpost_getpc342)>>32
	s_setpc_b64 s[48:49]
.LBB6_9539:
	s_trap 2
	s_sendmsg_rtn_b32 s0, sendmsg(MSG_RTN_GET_DOORBELL)
	s_mov_b32 ttmp2, m0
	s_waitcnt lgkmcnt(0)
	s_and_b32 s0, s0, 0x3ff
	s_delay_alu instid0(SALU_CYCLE_1) | instskip(NEXT) | instid1(SALU_CYCLE_1)
	s_bitset1_b32 s0, 10
	s_mov_b32 m0, s0
	s_sendmsg sendmsg(MSG_INTERRUPT)
	s_mov_b32 m0, ttmp2
.LBB6_9540:                             ; =>This Inner Loop Header: Depth=1
	s_sethalt 5
	s_branch .LBB6_9540
.LBB6_9541:
	s_trap 2
	s_sendmsg_rtn_b32 s0, sendmsg(MSG_RTN_GET_DOORBELL)
	s_mov_b32 ttmp2, m0
	s_waitcnt lgkmcnt(0)
	s_and_b32 s0, s0, 0x3ff
	s_delay_alu instid0(SALU_CYCLE_1) | instskip(NEXT) | instid1(SALU_CYCLE_1)
	s_bitset1_b32 s0, 10
	s_mov_b32 m0, s0
	s_sendmsg sendmsg(MSG_INTERRUPT)
	s_mov_b32 m0, ttmp2
.LBB6_9542:                             ; =>This Inner Loop Header: Depth=1
	s_sethalt 5
	s_branch .LBB6_9542
.LBB6_9543:
	s_trap 2
	s_sendmsg_rtn_b32 s0, sendmsg(MSG_RTN_GET_DOORBELL)
	s_mov_b32 ttmp2, m0
	s_waitcnt lgkmcnt(0)
	s_and_b32 s0, s0, 0x3ff
	s_delay_alu instid0(SALU_CYCLE_1) | instskip(NEXT) | instid1(SALU_CYCLE_1)
	s_bitset1_b32 s0, 10
	s_mov_b32 m0, s0
	s_sendmsg sendmsg(MSG_INTERRUPT)
	s_mov_b32 m0, ttmp2
.LBB6_9544:                             ; =>This Inner Loop Header: Depth=1
	s_sethalt 5
	s_branch .LBB6_9544
.LBB6_9545:
	s_trap 2
	s_sendmsg_rtn_b32 s0, sendmsg(MSG_RTN_GET_DOORBELL)
	s_mov_b32 ttmp2, m0
	s_waitcnt lgkmcnt(0)
	s_and_b32 s0, s0, 0x3ff
	s_delay_alu instid0(SALU_CYCLE_1) | instskip(NEXT) | instid1(SALU_CYCLE_1)
	s_bitset1_b32 s0, 10
	s_mov_b32 m0, s0
	s_sendmsg sendmsg(MSG_INTERRUPT)
	s_mov_b32 m0, ttmp2
.LBB6_9546:                             ; =>This Inner Loop Header: Depth=1
	s_sethalt 5
	s_branch .LBB6_9546
.LBB6_9547:
	s_trap 2
	s_sendmsg_rtn_b32 s0, sendmsg(MSG_RTN_GET_DOORBELL)
	s_mov_b32 ttmp2, m0
	s_waitcnt lgkmcnt(0)
	s_and_b32 s0, s0, 0x3ff
	s_delay_alu instid0(SALU_CYCLE_1) | instskip(NEXT) | instid1(SALU_CYCLE_1)
	s_bitset1_b32 s0, 10
	s_mov_b32 m0, s0
	s_sendmsg sendmsg(MSG_INTERRUPT)
	s_mov_b32 m0, ttmp2
.LBB6_9548:                             ; =>This Inner Loop Header: Depth=1
	s_sethalt 5
	s_branch .LBB6_9548
.LBB6_9549:
	s_trap 2
	s_sendmsg_rtn_b32 s0, sendmsg(MSG_RTN_GET_DOORBELL)
	s_mov_b32 ttmp2, m0
	s_waitcnt lgkmcnt(0)
	s_and_b32 s0, s0, 0x3ff
	s_delay_alu instid0(SALU_CYCLE_1) | instskip(NEXT) | instid1(SALU_CYCLE_1)
	s_bitset1_b32 s0, 10
	s_mov_b32 m0, s0
	s_sendmsg sendmsg(MSG_INTERRUPT)
	s_mov_b32 m0, ttmp2
.LBB6_9550:                             ; =>This Inner Loop Header: Depth=1
	s_sethalt 5
	s_branch .LBB6_9550
.LBB6_9551:
	s_trap 2
	s_sendmsg_rtn_b32 s0, sendmsg(MSG_RTN_GET_DOORBELL)
	s_mov_b32 ttmp2, m0
	s_waitcnt lgkmcnt(0)
	s_and_b32 s0, s0, 0x3ff
	s_delay_alu instid0(SALU_CYCLE_1) | instskip(NEXT) | instid1(SALU_CYCLE_1)
	s_bitset1_b32 s0, 10
	s_mov_b32 m0, s0
	s_sendmsg sendmsg(MSG_INTERRUPT)
	s_mov_b32 m0, ttmp2
.LBB6_9552:                             ; =>This Inner Loop Header: Depth=1
	s_sethalt 5
	s_branch .LBB6_9552
.LBB6_9553:
	s_trap 2
	s_sendmsg_rtn_b32 s0, sendmsg(MSG_RTN_GET_DOORBELL)
	s_mov_b32 ttmp2, m0
	s_waitcnt lgkmcnt(0)
	s_and_b32 s0, s0, 0x3ff
	s_delay_alu instid0(SALU_CYCLE_1) | instskip(NEXT) | instid1(SALU_CYCLE_1)
	s_bitset1_b32 s0, 10
	s_mov_b32 m0, s0
	s_sendmsg sendmsg(MSG_INTERRUPT)
	s_mov_b32 m0, ttmp2
.LBB6_9554:                             ; =>This Inner Loop Header: Depth=1
	s_sethalt 5
	s_branch .LBB6_9554
.LBB6_9555:
	s_trap 2
	s_sendmsg_rtn_b32 s0, sendmsg(MSG_RTN_GET_DOORBELL)
	s_mov_b32 ttmp2, m0
	s_waitcnt lgkmcnt(0)
	s_and_b32 s0, s0, 0x3ff
	s_delay_alu instid0(SALU_CYCLE_1) | instskip(NEXT) | instid1(SALU_CYCLE_1)
	s_bitset1_b32 s0, 10
	s_mov_b32 m0, s0
	s_sendmsg sendmsg(MSG_INTERRUPT)
	s_mov_b32 m0, ttmp2
.LBB6_9556:                             ; =>This Inner Loop Header: Depth=1
	s_sethalt 5
	s_branch .LBB6_9556
.LBB6_9557:
	s_trap 2
	s_sendmsg_rtn_b32 s0, sendmsg(MSG_RTN_GET_DOORBELL)
	s_mov_b32 ttmp2, m0
	s_waitcnt lgkmcnt(0)
	s_and_b32 s0, s0, 0x3ff
	s_delay_alu instid0(SALU_CYCLE_1) | instskip(NEXT) | instid1(SALU_CYCLE_1)
	s_bitset1_b32 s0, 10
	s_mov_b32 m0, s0
	s_sendmsg sendmsg(MSG_INTERRUPT)
	s_mov_b32 m0, ttmp2
.LBB6_9558:                             ; =>This Inner Loop Header: Depth=1
	s_sethalt 5
	s_branch .LBB6_9558
.LBB6_9559:
	s_trap 2
	s_sendmsg_rtn_b32 s0, sendmsg(MSG_RTN_GET_DOORBELL)
	s_mov_b32 ttmp2, m0
	s_waitcnt lgkmcnt(0)
	s_and_b32 s0, s0, 0x3ff
	s_delay_alu instid0(SALU_CYCLE_1) | instskip(NEXT) | instid1(SALU_CYCLE_1)
	s_bitset1_b32 s0, 10
	s_mov_b32 m0, s0
	s_sendmsg sendmsg(MSG_INTERRUPT)
	s_mov_b32 m0, ttmp2
.LBB6_9560:                             ; =>This Inner Loop Header: Depth=1
	s_sethalt 5
	s_branch .LBB6_9560
.LBB6_9561:                             ;   in Loop: Header=BB6_9565 Depth=1
	s_or_b32 exec_lo, exec_lo, s10
	v_mov_b32_e32 v4, 0
	s_or_not1_b32 s7, s7, exec_lo
.LBB6_9562:                             ;   in Loop: Header=BB6_9565 Depth=1
	s_or_b32 exec_lo, exec_lo, s6
	s_delay_alu instid0(VALU_DEP_1)
	v_mov_b32_e32 v0, v4
	s_and_b32 s6, s7, exec_lo
.LBB6_9563:                             ;   in Loop: Header=BB6_9565 Depth=1
	s_or_b32 exec_lo, exec_lo, s5
	s_xor_b32 s5, s6, -1
	s_and_not1_b32 s3, s3, exec_lo
	s_and_b32 s5, s5, exec_lo
	s_delay_alu instid0(SALU_CYCLE_1)
	s_or_b32 s3, s3, s5
.LBB6_9564:                             ;   in Loop: Header=BB6_9565 Depth=1
	s_or_b32 exec_lo, exec_lo, s4
	s_delay_alu instid0(SALU_CYCLE_1) | instskip(NEXT) | instid1(SALU_CYCLE_1)
	s_and_b32 s4, exec_lo, s3
	s_or_b32 s2, s4, s2
	s_delay_alu instid0(SALU_CYCLE_1)
	s_and_not1_b32 exec_lo, exec_lo, s2
	s_cbranch_execz .LBB6_9578
.LBB6_9565:                             ; =>This Inner Loop Header: Depth=1
	flat_load_b64 v[4:5], v[2:3] glc dlc
	s_waitcnt vmcnt(0)
	s_or_b32 s3, s3, exec_lo
	s_mov_b32 s4, exec_lo
	s_waitcnt lgkmcnt(0)
	v_cmpx_ne_u64_e32 -1, v[4:5]
	s_cbranch_execz .LBB6_9564
; %bb.9566:                             ;   in Loop: Header=BB6_9565 Depth=1
	v_and_b32_e32 v4, 64, v30
	s_mov_b32 s6, 0
	s_mov_b32 s5, exec_lo
	s_delay_alu instid0(VALU_DEP_1)
	v_cmpx_eq_u32_e32 0, v4
	s_cbranch_execz .LBB6_9563
; %bb.9567:                             ;   in Loop: Header=BB6_9565 Depth=1
	v_add_nc_u32_e32 v4, 1, v0
	s_mov_b32 s7, -1
	s_mov_b32 s6, exec_lo
	v_cmpx_lt_i32_e32 0x270e, v0
	s_cbranch_execz .LBB6_9562
; %bb.9568:                             ;   in Loop: Header=BB6_9565 Depth=1
	s_cbranch_execnz .LBB6_9572
; %bb.9569:                             ;   in Loop: Header=BB6_9565 Depth=1
	ds_load_b64 v[4:5], v0
	s_mov_b32 s10, exec_lo
	s_waitcnt lgkmcnt(0)
	s_waitcnt_vscnt null, 0x0
	flat_load_b32 v0, v[4:5] glc
	s_waitcnt vmcnt(0) lgkmcnt(0)
	buffer_gl1_inv
	buffer_gl0_inv
	v_cmpx_ne_u32_e32 0, v0
	s_cbranch_execz .LBB6_9561
; %bb.9570:                             ;   in Loop: Header=BB6_9565 Depth=1
	ds_store_b32 v0, v0
	s_cbranch_execnz .LBB6_9596
; %bb.9571:                             ;   in Loop: Header=BB6_9565 Depth=1
	v_or_b32_e32 v30, 64, v30
	s_xor_b32 s7, exec_lo, -1
	s_branch .LBB6_9561
.LBB6_9572:
	s_trap 2
	s_sendmsg_rtn_b32 s0, sendmsg(MSG_RTN_GET_DOORBELL)
	s_mov_b32 ttmp2, m0
	s_waitcnt lgkmcnt(0)
	s_and_b32 s0, s0, 0x3ff
	s_delay_alu instid0(SALU_CYCLE_1) | instskip(NEXT) | instid1(SALU_CYCLE_1)
	s_bitset1_b32 s0, 10
	s_mov_b32 m0, s0
	s_sendmsg sendmsg(MSG_INTERRUPT)
	s_mov_b32 m0, ttmp2
.LBB6_9573:                             ; =>This Inner Loop Header: Depth=1
	s_sethalt 5
	s_branch .LBB6_9573
.LBB6_9574:
	s_trap 2
	s_sendmsg_rtn_b32 s0, sendmsg(MSG_RTN_GET_DOORBELL)
	s_mov_b32 ttmp2, m0
	s_waitcnt lgkmcnt(0)
	s_and_b32 s0, s0, 0x3ff
	s_delay_alu instid0(SALU_CYCLE_1) | instskip(NEXT) | instid1(SALU_CYCLE_1)
	s_bitset1_b32 s0, 10
	s_mov_b32 m0, s0
	s_sendmsg sendmsg(MSG_INTERRUPT)
	s_mov_b32 m0, ttmp2
.LBB6_9575:                             ; =>This Inner Loop Header: Depth=1
	s_sethalt 5
	s_branch .LBB6_9575
.LBB6_9576:
	s_trap 2
	s_sendmsg_rtn_b32 s0, sendmsg(MSG_RTN_GET_DOORBELL)
	s_mov_b32 ttmp2, m0
	s_waitcnt lgkmcnt(0)
	s_and_b32 s0, s0, 0x3ff
	s_delay_alu instid0(SALU_CYCLE_1) | instskip(NEXT) | instid1(SALU_CYCLE_1)
	s_bitset1_b32 s0, 10
	s_mov_b32 m0, s0
	s_sendmsg sendmsg(MSG_INTERRUPT)
	s_mov_b32 m0, ttmp2
.LBB6_9577:                             ; =>This Inner Loop Header: Depth=1
	s_sethalt 5
	s_branch .LBB6_9577
.LBB6_9578:
	s_or_b32 exec_lo, exec_lo, s2
.LBB6_9579:
	s_delay_alu instid0(SALU_CYCLE_1) | instskip(SKIP_2) | instid1(VALU_DEP_1)
	s_or_b32 exec_lo, exec_lo, s1
	v_and_b32_e32 v0, 0x2000, v30
	s_mov_b32 s1, exec_lo
	v_cmpx_ne_u32_e32 0, v0
	s_cbranch_execz .LBB6_9582
; %bb.9580:
	s_cbranch_execnz .LBB6_9590
; %bb.9581:
	ds_load_b64 v[2:3], v0
	s_waitcnt lgkmcnt(0)
	flat_store_b64 v[52:53], v[2:3] offset:16
.LBB6_9582:
	s_or_b32 exec_lo, exec_lo, s1
	v_cmp_ne_u32_e32 vcc_lo, 32, v1
	s_and_b32 exec_lo, exec_lo, vcc_lo
	s_cbranch_execz .LBB6_9781
; %bb.9583:
	s_mov_b32 s1, exec_lo
	v_cmpx_ne_u32_e64 v119, v1
	s_xor_b32 s1, exec_lo, s1
	s_cbranch_execz .LBB6_9779
; %bb.9584:
	v_and_b32_e32 v0, 31, v31
	s_mov_b32 s2, exec_lo
	s_delay_alu instid0(VALU_DEP_1)
	v_cmpx_eq_u32_e32 0, v0
	s_cbranch_execz .LBB6_9778
; %bb.9585:
	s_mov_b32 s4, exec_lo
	s_mov_b32 s3, exec_lo
	v_mbcnt_lo_u32_b32 v0, s4, 0
	s_waitcnt lgkmcnt(0)
	s_waitcnt_vscnt null, 0x0
	buffer_gl1_inv
	buffer_gl0_inv
	v_cmpx_eq_u32_e32 0, v0
	s_cbranch_execz .LBB6_9587
; %bb.9586:
	s_bcnt1_i32_b32 s4, s4
	s_delay_alu instid0(SALU_CYCLE_1)
	v_dual_mov_b32 v3, 0 :: v_dual_mov_b32 v2, s4
	ds_add_u64 v0, v[2:3]
	s_cbranch_execnz .LBB6_9625
.LBB6_9587:
	s_or_b32 exec_lo, exec_lo, s3
	s_cbranch_execnz .LBB6_9604
; %bb.9588:
	v_ashrrev_i32_e32 v0, 31, v1
	s_mov_b32 s3, exec_lo
	s_delay_alu instid0(VALU_DEP_1) | instskip(NEXT) | instid1(VALU_DEP_1)
	v_lshrrev_b32_e32 v0, 27, v0
	v_add_nc_u32_e32 v0, v1, v0
	ds_load_b64 v[2:3], v0
	v_ashrrev_i32_e32 v0, 5, v0
	s_delay_alu instid0(VALU_DEP_1) | instskip(SKIP_1) | instid1(VALU_DEP_2)
	v_ashrrev_i32_e32 v1, 31, v0
	v_add_co_u32 v0, vcc_lo, v80, v0
	v_add_co_ci_u32_e32 v1, vcc_lo, v81, v1, vcc_lo
	s_waitcnt lgkmcnt(0)
	s_delay_alu instid0(VALU_DEP_1)
	v_cmpx_lt_u64_e64 v[2:3], v[0:1]
	s_cbranch_execz .LBB6_9777
; %bb.9589:
	s_mov_b32 s4, 0
	s_mov_b32 s7, 0
                                        ; implicit-def: $sgpr5
                                        ; implicit-def: $sgpr6
	s_branch .LBB6_9611
.LBB6_9590:
	s_trap 2
	s_sendmsg_rtn_b32 s0, sendmsg(MSG_RTN_GET_DOORBELL)
	s_mov_b32 ttmp2, m0
	s_waitcnt lgkmcnt(0)
	s_and_b32 s0, s0, 0x3ff
	s_delay_alu instid0(SALU_CYCLE_1) | instskip(NEXT) | instid1(SALU_CYCLE_1)
	s_bitset1_b32 s0, 10
	s_mov_b32 m0, s0
	s_sendmsg sendmsg(MSG_INTERRUPT)
	s_mov_b32 m0, ttmp2
.LBB6_9591:                             ; =>This Inner Loop Header: Depth=1
	s_sethalt 5
	s_branch .LBB6_9591
.LBB6_9592:
	s_trap 2
	s_sendmsg_rtn_b32 s0, sendmsg(MSG_RTN_GET_DOORBELL)
	s_mov_b32 ttmp2, m0
	s_waitcnt lgkmcnt(0)
	s_and_b32 s0, s0, 0x3ff
	s_delay_alu instid0(SALU_CYCLE_1) | instskip(NEXT) | instid1(SALU_CYCLE_1)
	s_bitset1_b32 s0, 10
	s_mov_b32 m0, s0
	s_sendmsg sendmsg(MSG_INTERRUPT)
	s_mov_b32 m0, ttmp2
.LBB6_9593:                             ; =>This Inner Loop Header: Depth=1
	s_sethalt 5
	s_branch .LBB6_9593
.LBB6_9594:
	s_trap 2
	s_sendmsg_rtn_b32 s0, sendmsg(MSG_RTN_GET_DOORBELL)
	s_mov_b32 ttmp2, m0
	s_waitcnt lgkmcnt(0)
	s_and_b32 s0, s0, 0x3ff
	s_delay_alu instid0(SALU_CYCLE_1) | instskip(NEXT) | instid1(SALU_CYCLE_1)
	s_bitset1_b32 s0, 10
	s_mov_b32 m0, s0
	s_sendmsg sendmsg(MSG_INTERRUPT)
	s_mov_b32 m0, ttmp2
.LBB6_9595:                             ; =>This Inner Loop Header: Depth=1
	s_sethalt 5
	s_branch .LBB6_9595
.LBB6_9596:
	s_trap 2
	s_sendmsg_rtn_b32 s0, sendmsg(MSG_RTN_GET_DOORBELL)
	s_mov_b32 ttmp2, m0
	s_waitcnt lgkmcnt(0)
	s_and_b32 s0, s0, 0x3ff
	s_delay_alu instid0(SALU_CYCLE_1) | instskip(NEXT) | instid1(SALU_CYCLE_1)
	s_bitset1_b32 s0, 10
	s_mov_b32 m0, s0
	s_sendmsg sendmsg(MSG_INTERRUPT)
	s_mov_b32 m0, ttmp2
.LBB6_9597:                             ; =>This Inner Loop Header: Depth=1
	s_sethalt 5
	s_branch .LBB6_9597
.LBB6_9598:
	s_trap 2
	s_sendmsg_rtn_b32 s0, sendmsg(MSG_RTN_GET_DOORBELL)
	s_mov_b32 ttmp2, m0
	s_waitcnt lgkmcnt(0)
	s_and_b32 s0, s0, 0x3ff
	s_delay_alu instid0(SALU_CYCLE_1) | instskip(NEXT) | instid1(SALU_CYCLE_1)
	s_bitset1_b32 s0, 10
	s_mov_b32 m0, s0
	s_sendmsg sendmsg(MSG_INTERRUPT)
	s_mov_b32 m0, ttmp2
.LBB6_9599:                             ; =>This Inner Loop Header: Depth=1
	s_sethalt 5
	s_branch .LBB6_9599
.LBB6_9600:
	s_trap 2
	s_sendmsg_rtn_b32 s0, sendmsg(MSG_RTN_GET_DOORBELL)
	s_mov_b32 ttmp2, m0
	s_waitcnt lgkmcnt(0)
	s_and_b32 s0, s0, 0x3ff
	s_delay_alu instid0(SALU_CYCLE_1) | instskip(NEXT) | instid1(SALU_CYCLE_1)
	s_bitset1_b32 s0, 10
	s_mov_b32 m0, s0
	s_sendmsg sendmsg(MSG_INTERRUPT)
	s_mov_b32 m0, ttmp2
.LBB6_9601:                             ; =>This Inner Loop Header: Depth=1
	s_sethalt 5
	s_branch .LBB6_9601
.LBB6_9602:
	s_trap 2
	s_sendmsg_rtn_b32 s0, sendmsg(MSG_RTN_GET_DOORBELL)
	s_mov_b32 ttmp2, m0
	s_waitcnt lgkmcnt(0)
	s_and_b32 s0, s0, 0x3ff
	s_delay_alu instid0(SALU_CYCLE_1) | instskip(NEXT) | instid1(SALU_CYCLE_1)
	s_bitset1_b32 s0, 10
	s_mov_b32 m0, s0
	s_sendmsg sendmsg(MSG_INTERRUPT)
	s_mov_b32 m0, ttmp2
.LBB6_9603:                             ; =>This Inner Loop Header: Depth=1
	s_sethalt 5
	s_branch .LBB6_9603
.LBB6_9604:
	s_trap 2
	s_sendmsg_rtn_b32 s0, sendmsg(MSG_RTN_GET_DOORBELL)
	s_mov_b32 ttmp2, m0
	s_waitcnt lgkmcnt(0)
	s_and_b32 s0, s0, 0x3ff
	s_delay_alu instid0(SALU_CYCLE_1) | instskip(NEXT) | instid1(SALU_CYCLE_1)
	s_bitset1_b32 s0, 10
	s_mov_b32 m0, s0
	s_sendmsg sendmsg(MSG_INTERRUPT)
	s_mov_b32 m0, ttmp2
.LBB6_9605:                             ; =>This Inner Loop Header: Depth=1
	s_sethalt 5
	s_branch .LBB6_9605
.LBB6_9606:
	s_trap 2
	s_sendmsg_rtn_b32 s0, sendmsg(MSG_RTN_GET_DOORBELL)
	s_mov_b32 ttmp2, m0
	s_waitcnt lgkmcnt(0)
	s_and_b32 s0, s0, 0x3ff
	s_delay_alu instid0(SALU_CYCLE_1) | instskip(NEXT) | instid1(SALU_CYCLE_1)
	s_bitset1_b32 s0, 10
	s_mov_b32 m0, s0
	s_sendmsg sendmsg(MSG_INTERRUPT)
	s_mov_b32 m0, ttmp2
.LBB6_9607:                             ; =>This Inner Loop Header: Depth=1
	s_sethalt 5
	s_branch .LBB6_9607
.LBB6_9608:
	s_trap 2
	s_sendmsg_rtn_b32 s0, sendmsg(MSG_RTN_GET_DOORBELL)
	s_mov_b32 ttmp2, m0
	s_waitcnt lgkmcnt(0)
	s_and_b32 s0, s0, 0x3ff
	s_delay_alu instid0(SALU_CYCLE_1) | instskip(NEXT) | instid1(SALU_CYCLE_1)
	s_bitset1_b32 s0, 10
	s_mov_b32 m0, s0
	s_sendmsg sendmsg(MSG_INTERRUPT)
	s_mov_b32 m0, ttmp2
.LBB6_9609:                             ; =>This Inner Loop Header: Depth=1
	s_sethalt 5
	s_branch .LBB6_9609
.LBB6_9610:                             ;   in Loop: Header=BB6_9611 Depth=1
	s_or_b32 exec_lo, exec_lo, s12
	s_delay_alu instid0(SALU_CYCLE_1) | instskip(NEXT) | instid1(SALU_CYCLE_1)
	s_and_b32 s10, exec_lo, s11
	s_or_b32 s4, s10, s4
	s_and_not1_b32 s5, s5, exec_lo
	s_and_b32 s10, s6, exec_lo
	s_delay_alu instid0(SALU_CYCLE_1)
	s_or_b32 s5, s5, s10
	s_and_not1_b32 exec_lo, exec_lo, s4
	s_cbranch_execz .LBB6_9775
.LBB6_9611:                             ; =>This Inner Loop Header: Depth=1
	s_add_i32 s7, s7, 1
                                        ; implicit-def: $sgpr11
	s_delay_alu instid0(SALU_CYCLE_1) | instskip(SKIP_1) | instid1(SALU_CYCLE_1)
	s_cmpk_lg_i32 s7, 0x2710
	s_cselect_b32 s10, -1, 0
	s_and_b32 vcc_lo, exec_lo, s10
	s_cbranch_vccz .LBB6_9615
.LBB6_9612:                             ;   in Loop: Header=BB6_9611 Depth=1
	s_and_not1_b32 s6, s6, exec_lo
	s_and_b32 s12, s11, exec_lo
	s_mov_b32 s11, -1
	s_or_b32 s6, s6, s12
	s_and_saveexec_b32 s12, s10
	s_cbranch_execz .LBB6_9610
; %bb.9613:                             ;   in Loop: Header=BB6_9611 Depth=1
	s_sleep 1
	s_cbranch_execnz .LBB6_9663
; %bb.9614:                             ;   in Loop: Header=BB6_9611 Depth=1
	ds_load_b64 v[2:3], v0
	s_and_not1_b32 s6, s6, exec_lo
	s_waitcnt lgkmcnt(0)
	v_cmp_ge_u64_e32 vcc_lo, v[2:3], v[0:1]
	s_or_not1_b32 s11, vcc_lo, exec_lo
	s_branch .LBB6_9610
.LBB6_9615:                             ;   in Loop: Header=BB6_9611 Depth=1
	s_cbranch_execnz .LBB6_9665
; %bb.9616:                             ;   in Loop: Header=BB6_9611 Depth=1
	ds_load_b64 v[2:3], v0
	s_and_not1_b32 s10, s10, exec_lo
	s_mov_b32 s7, 0
	s_mov_b32 s11, -1
	s_waitcnt lgkmcnt(0)
	flat_load_b32 v2, v[2:3] glc
	s_waitcnt vmcnt(0) lgkmcnt(0)
	buffer_gl1_inv
	buffer_gl0_inv
	v_cmp_eq_u32_e32 vcc_lo, 0, v2
	s_and_b32 s12, vcc_lo, exec_lo
	s_delay_alu instid0(SALU_CYCLE_1)
	s_or_b32 s10, s10, s12
	s_branch .LBB6_9612
.LBB6_9617:
	s_trap 2
	s_sendmsg_rtn_b32 s0, sendmsg(MSG_RTN_GET_DOORBELL)
	s_mov_b32 ttmp2, m0
	s_waitcnt lgkmcnt(0)
	s_and_b32 s0, s0, 0x3ff
	s_delay_alu instid0(SALU_CYCLE_1) | instskip(NEXT) | instid1(SALU_CYCLE_1)
	s_bitset1_b32 s0, 10
	s_mov_b32 m0, s0
	s_sendmsg sendmsg(MSG_INTERRUPT)
	s_mov_b32 m0, ttmp2
.LBB6_9618:                             ; =>This Inner Loop Header: Depth=1
	s_sethalt 5
	s_branch .LBB6_9618
.LBB6_9619:
	s_trap 2
	s_sendmsg_rtn_b32 s0, sendmsg(MSG_RTN_GET_DOORBELL)
	s_mov_b32 ttmp2, m0
	s_waitcnt lgkmcnt(0)
	s_and_b32 s0, s0, 0x3ff
	s_delay_alu instid0(SALU_CYCLE_1) | instskip(NEXT) | instid1(SALU_CYCLE_1)
	s_bitset1_b32 s0, 10
	s_mov_b32 m0, s0
	s_sendmsg sendmsg(MSG_INTERRUPT)
	s_mov_b32 m0, ttmp2
.LBB6_9620:                             ; =>This Inner Loop Header: Depth=1
	s_sethalt 5
	s_branch .LBB6_9620
.LBB6_9621:
	s_trap 2
	s_sendmsg_rtn_b32 s0, sendmsg(MSG_RTN_GET_DOORBELL)
	s_mov_b32 ttmp2, m0
	s_waitcnt lgkmcnt(0)
	s_and_b32 s0, s0, 0x3ff
	s_delay_alu instid0(SALU_CYCLE_1) | instskip(NEXT) | instid1(SALU_CYCLE_1)
	s_bitset1_b32 s0, 10
	s_mov_b32 m0, s0
	s_sendmsg sendmsg(MSG_INTERRUPT)
	s_mov_b32 m0, ttmp2
.LBB6_9622:                             ; =>This Inner Loop Header: Depth=1
	s_sethalt 5
	s_branch .LBB6_9622
.LBB6_9623:
	s_trap 2
	s_sendmsg_rtn_b32 s0, sendmsg(MSG_RTN_GET_DOORBELL)
	s_mov_b32 ttmp2, m0
	s_waitcnt lgkmcnt(0)
	s_and_b32 s0, s0, 0x3ff
	s_delay_alu instid0(SALU_CYCLE_1) | instskip(NEXT) | instid1(SALU_CYCLE_1)
	s_bitset1_b32 s0, 10
	s_mov_b32 m0, s0
	s_sendmsg sendmsg(MSG_INTERRUPT)
	s_mov_b32 m0, ttmp2
.LBB6_9624:                             ; =>This Inner Loop Header: Depth=1
	s_sethalt 5
	s_branch .LBB6_9624
.LBB6_9625:
	s_trap 2
	s_sendmsg_rtn_b32 s0, sendmsg(MSG_RTN_GET_DOORBELL)
	s_mov_b32 ttmp2, m0
	s_waitcnt lgkmcnt(0)
	s_and_b32 s0, s0, 0x3ff
	s_delay_alu instid0(SALU_CYCLE_1) | instskip(NEXT) | instid1(SALU_CYCLE_1)
	s_bitset1_b32 s0, 10
	s_mov_b32 m0, s0
	s_sendmsg sendmsg(MSG_INTERRUPT)
	s_mov_b32 m0, ttmp2
.LBB6_9626:                             ; =>This Inner Loop Header: Depth=1
	s_sethalt 5
	s_branch .LBB6_9626
.LBB6_9627:
	s_trap 2
	s_sendmsg_rtn_b32 s0, sendmsg(MSG_RTN_GET_DOORBELL)
	s_mov_b32 ttmp2, m0
	s_waitcnt lgkmcnt(0)
	s_and_b32 s0, s0, 0x3ff
	s_delay_alu instid0(SALU_CYCLE_1) | instskip(NEXT) | instid1(SALU_CYCLE_1)
	s_bitset1_b32 s0, 10
	s_mov_b32 m0, s0
	s_sendmsg sendmsg(MSG_INTERRUPT)
	s_mov_b32 m0, ttmp2
.LBB6_9628:                             ; =>This Inner Loop Header: Depth=1
	s_sethalt 5
	s_branch .LBB6_9628
.LBB6_9629:
	s_trap 2
	s_sendmsg_rtn_b32 s0, sendmsg(MSG_RTN_GET_DOORBELL)
	s_mov_b32 ttmp2, m0
	s_waitcnt lgkmcnt(0)
	s_and_b32 s0, s0, 0x3ff
	s_delay_alu instid0(SALU_CYCLE_1) | instskip(NEXT) | instid1(SALU_CYCLE_1)
	s_bitset1_b32 s0, 10
	s_mov_b32 m0, s0
	s_sendmsg sendmsg(MSG_INTERRUPT)
	s_mov_b32 m0, ttmp2
.LBB6_9630:                             ; =>This Inner Loop Header: Depth=1
	s_sethalt 5
	s_branch .LBB6_9630
.LBB6_9631:
	s_trap 2
	s_sendmsg_rtn_b32 s0, sendmsg(MSG_RTN_GET_DOORBELL)
	s_mov_b32 ttmp2, m0
	s_waitcnt lgkmcnt(0)
	s_and_b32 s0, s0, 0x3ff
	s_delay_alu instid0(SALU_CYCLE_1) | instskip(NEXT) | instid1(SALU_CYCLE_1)
	s_bitset1_b32 s0, 10
	s_mov_b32 m0, s0
	s_sendmsg sendmsg(MSG_INTERRUPT)
	s_mov_b32 m0, ttmp2
.LBB6_9632:                             ; =>This Inner Loop Header: Depth=1
	s_sethalt 5
	s_branch .LBB6_9632
.LBB6_9633:
	s_trap 2
	s_sendmsg_rtn_b32 s0, sendmsg(MSG_RTN_GET_DOORBELL)
	s_mov_b32 ttmp2, m0
	s_waitcnt lgkmcnt(0)
	s_and_b32 s0, s0, 0x3ff
	s_delay_alu instid0(SALU_CYCLE_1) | instskip(NEXT) | instid1(SALU_CYCLE_1)
	s_bitset1_b32 s0, 10
	s_mov_b32 m0, s0
	s_sendmsg sendmsg(MSG_INTERRUPT)
	s_mov_b32 m0, ttmp2
.LBB6_9634:                             ; =>This Inner Loop Header: Depth=1
	s_sethalt 5
	s_branch .LBB6_9634
.LBB6_9635:
	s_trap 2
	s_sendmsg_rtn_b32 s0, sendmsg(MSG_RTN_GET_DOORBELL)
	s_mov_b32 ttmp2, m0
	s_waitcnt lgkmcnt(0)
	s_and_b32 s0, s0, 0x3ff
	s_delay_alu instid0(SALU_CYCLE_1) | instskip(NEXT) | instid1(SALU_CYCLE_1)
	s_bitset1_b32 s0, 10
	s_mov_b32 m0, s0
	s_sendmsg sendmsg(MSG_INTERRUPT)
	s_mov_b32 m0, ttmp2
.LBB6_9636:                             ; =>This Inner Loop Header: Depth=1
	s_sethalt 5
	s_branch .LBB6_9636
.LBB6_9637:
	s_trap 2
	s_sendmsg_rtn_b32 s0, sendmsg(MSG_RTN_GET_DOORBELL)
	s_mov_b32 ttmp2, m0
	s_waitcnt lgkmcnt(0)
	s_and_b32 s0, s0, 0x3ff
	s_delay_alu instid0(SALU_CYCLE_1) | instskip(NEXT) | instid1(SALU_CYCLE_1)
	s_bitset1_b32 s0, 10
	s_mov_b32 m0, s0
	s_sendmsg sendmsg(MSG_INTERRUPT)
	s_mov_b32 m0, ttmp2
.LBB6_9638:                             ; =>This Inner Loop Header: Depth=1
	s_sethalt 5
	s_branch .LBB6_9638
.LBB6_9639:
	s_trap 2
	s_sendmsg_rtn_b32 s0, sendmsg(MSG_RTN_GET_DOORBELL)
	s_mov_b32 ttmp2, m0
	s_waitcnt lgkmcnt(0)
	s_and_b32 s0, s0, 0x3ff
	s_delay_alu instid0(SALU_CYCLE_1) | instskip(NEXT) | instid1(SALU_CYCLE_1)
	s_bitset1_b32 s0, 10
	s_mov_b32 m0, s0
	s_sendmsg sendmsg(MSG_INTERRUPT)
	s_mov_b32 m0, ttmp2
.LBB6_9640:                             ; =>This Inner Loop Header: Depth=1
	s_sethalt 5
	s_branch .LBB6_9640
.LBB6_9641:
	s_trap 2
	s_sendmsg_rtn_b32 s0, sendmsg(MSG_RTN_GET_DOORBELL)
	s_mov_b32 ttmp2, m0
	s_waitcnt lgkmcnt(0)
	s_and_b32 s0, s0, 0x3ff
	s_delay_alu instid0(SALU_CYCLE_1) | instskip(NEXT) | instid1(SALU_CYCLE_1)
	s_bitset1_b32 s0, 10
	s_mov_b32 m0, s0
	s_sendmsg sendmsg(MSG_INTERRUPT)
	s_mov_b32 m0, ttmp2
.LBB6_9642:                             ; =>This Inner Loop Header: Depth=1
	s_sethalt 5
	s_branch .LBB6_9642
.LBB6_9643:
	s_trap 2
	s_sendmsg_rtn_b32 s0, sendmsg(MSG_RTN_GET_DOORBELL)
	s_mov_b32 ttmp2, m0
	s_waitcnt lgkmcnt(0)
	s_and_b32 s0, s0, 0x3ff
	s_delay_alu instid0(SALU_CYCLE_1) | instskip(NEXT) | instid1(SALU_CYCLE_1)
	s_bitset1_b32 s0, 10
	s_mov_b32 m0, s0
	s_sendmsg sendmsg(MSG_INTERRUPT)
	s_mov_b32 m0, ttmp2
.LBB6_9644:                             ; =>This Inner Loop Header: Depth=1
	s_sethalt 5
	s_branch .LBB6_9644
.LBB6_9645:
	s_trap 2
	s_sendmsg_rtn_b32 s0, sendmsg(MSG_RTN_GET_DOORBELL)
	s_mov_b32 ttmp2, m0
	s_waitcnt lgkmcnt(0)
	s_and_b32 s0, s0, 0x3ff
	s_delay_alu instid0(SALU_CYCLE_1) | instskip(NEXT) | instid1(SALU_CYCLE_1)
	s_bitset1_b32 s0, 10
	s_mov_b32 m0, s0
	s_sendmsg sendmsg(MSG_INTERRUPT)
	s_mov_b32 m0, ttmp2
.LBB6_9646:                             ; =>This Inner Loop Header: Depth=1
	s_sethalt 5
	s_branch .LBB6_9646
.LBB6_9647:
	s_trap 2
	s_sendmsg_rtn_b32 s0, sendmsg(MSG_RTN_GET_DOORBELL)
	s_mov_b32 ttmp2, m0
	s_waitcnt lgkmcnt(0)
	s_and_b32 s0, s0, 0x3ff
	s_delay_alu instid0(SALU_CYCLE_1) | instskip(NEXT) | instid1(SALU_CYCLE_1)
	s_bitset1_b32 s0, 10
	s_mov_b32 m0, s0
	s_sendmsg sendmsg(MSG_INTERRUPT)
	s_mov_b32 m0, ttmp2
.LBB6_9648:                             ; =>This Inner Loop Header: Depth=1
	s_sethalt 5
	s_branch .LBB6_9648
.LBB6_9649:
	s_trap 2
	s_sendmsg_rtn_b32 s0, sendmsg(MSG_RTN_GET_DOORBELL)
	s_mov_b32 ttmp2, m0
	s_waitcnt lgkmcnt(0)
	s_and_b32 s0, s0, 0x3ff
	s_delay_alu instid0(SALU_CYCLE_1) | instskip(NEXT) | instid1(SALU_CYCLE_1)
	s_bitset1_b32 s0, 10
	s_mov_b32 m0, s0
	s_sendmsg sendmsg(MSG_INTERRUPT)
	s_mov_b32 m0, ttmp2
.LBB6_9650:                             ; =>This Inner Loop Header: Depth=1
	s_sethalt 5
	s_branch .LBB6_9650
.LBB6_9651:
	s_trap 2
	s_sendmsg_rtn_b32 s0, sendmsg(MSG_RTN_GET_DOORBELL)
	s_mov_b32 ttmp2, m0
	s_waitcnt lgkmcnt(0)
	s_and_b32 s0, s0, 0x3ff
	s_delay_alu instid0(SALU_CYCLE_1) | instskip(NEXT) | instid1(SALU_CYCLE_1)
	s_bitset1_b32 s0, 10
	s_mov_b32 m0, s0
	s_sendmsg sendmsg(MSG_INTERRUPT)
	s_mov_b32 m0, ttmp2
.LBB6_9652:                             ; =>This Inner Loop Header: Depth=1
	s_sethalt 5
	s_branch .LBB6_9652
.LBB6_9653:
	s_trap 2
	s_sendmsg_rtn_b32 s0, sendmsg(MSG_RTN_GET_DOORBELL)
	s_mov_b32 ttmp2, m0
	s_waitcnt lgkmcnt(0)
	s_and_b32 s0, s0, 0x3ff
	s_delay_alu instid0(SALU_CYCLE_1) | instskip(NEXT) | instid1(SALU_CYCLE_1)
	s_bitset1_b32 s0, 10
	s_mov_b32 m0, s0
	s_sendmsg sendmsg(MSG_INTERRUPT)
	s_mov_b32 m0, ttmp2
.LBB6_9654:                             ; =>This Inner Loop Header: Depth=1
	s_sethalt 5
	s_branch .LBB6_9654
.LBB6_9655:
	s_trap 2
	s_sendmsg_rtn_b32 s0, sendmsg(MSG_RTN_GET_DOORBELL)
	s_mov_b32 ttmp2, m0
	s_waitcnt lgkmcnt(0)
	s_and_b32 s0, s0, 0x3ff
	s_delay_alu instid0(SALU_CYCLE_1) | instskip(NEXT) | instid1(SALU_CYCLE_1)
	s_bitset1_b32 s0, 10
	s_mov_b32 m0, s0
	s_sendmsg sendmsg(MSG_INTERRUPT)
	s_mov_b32 m0, ttmp2
.LBB6_9656:                             ; =>This Inner Loop Header: Depth=1
	s_sethalt 5
	s_branch .LBB6_9656
.LBB6_9657:
	s_trap 2
	s_sendmsg_rtn_b32 s0, sendmsg(MSG_RTN_GET_DOORBELL)
	s_mov_b32 ttmp2, m0
	s_waitcnt lgkmcnt(0)
	s_and_b32 s0, s0, 0x3ff
	s_delay_alu instid0(SALU_CYCLE_1) | instskip(NEXT) | instid1(SALU_CYCLE_1)
	s_bitset1_b32 s0, 10
	s_mov_b32 m0, s0
	s_sendmsg sendmsg(MSG_INTERRUPT)
	s_mov_b32 m0, ttmp2
.LBB6_9658:                             ; =>This Inner Loop Header: Depth=1
	s_sethalt 5
	s_branch .LBB6_9658
.LBB6_9659:
	s_trap 2
	s_sendmsg_rtn_b32 s0, sendmsg(MSG_RTN_GET_DOORBELL)
	s_mov_b32 ttmp2, m0
	s_waitcnt lgkmcnt(0)
	s_and_b32 s0, s0, 0x3ff
	s_delay_alu instid0(SALU_CYCLE_1) | instskip(NEXT) | instid1(SALU_CYCLE_1)
	s_bitset1_b32 s0, 10
	s_mov_b32 m0, s0
	s_sendmsg sendmsg(MSG_INTERRUPT)
	s_mov_b32 m0, ttmp2
.LBB6_9660:                             ; =>This Inner Loop Header: Depth=1
	s_sethalt 5
	s_branch .LBB6_9660
.LBB6_9661:
	s_trap 2
	s_sendmsg_rtn_b32 s0, sendmsg(MSG_RTN_GET_DOORBELL)
	s_mov_b32 ttmp2, m0
	s_waitcnt lgkmcnt(0)
	s_and_b32 s0, s0, 0x3ff
	s_delay_alu instid0(SALU_CYCLE_1) | instskip(NEXT) | instid1(SALU_CYCLE_1)
	s_bitset1_b32 s0, 10
	s_mov_b32 m0, s0
	s_sendmsg sendmsg(MSG_INTERRUPT)
	s_mov_b32 m0, ttmp2
.LBB6_9662:                             ; =>This Inner Loop Header: Depth=1
	s_sethalt 5
	s_branch .LBB6_9662
.LBB6_9663:
	s_trap 2
	s_sendmsg_rtn_b32 s0, sendmsg(MSG_RTN_GET_DOORBELL)
	s_mov_b32 ttmp2, m0
	s_waitcnt lgkmcnt(0)
	s_and_b32 s0, s0, 0x3ff
	s_delay_alu instid0(SALU_CYCLE_1) | instskip(NEXT) | instid1(SALU_CYCLE_1)
	s_bitset1_b32 s0, 10
	s_mov_b32 m0, s0
	s_sendmsg sendmsg(MSG_INTERRUPT)
	s_mov_b32 m0, ttmp2
.LBB6_9664:                             ; =>This Inner Loop Header: Depth=1
	s_sethalt 5
	s_branch .LBB6_9664
.LBB6_9665:
	s_trap 2
	s_sendmsg_rtn_b32 s0, sendmsg(MSG_RTN_GET_DOORBELL)
	s_mov_b32 ttmp2, m0
	s_waitcnt lgkmcnt(0)
	s_and_b32 s0, s0, 0x3ff
	s_delay_alu instid0(SALU_CYCLE_1) | instskip(NEXT) | instid1(SALU_CYCLE_1)
	s_bitset1_b32 s0, 10
	s_mov_b32 m0, s0
	s_sendmsg sendmsg(MSG_INTERRUPT)
	s_mov_b32 m0, ttmp2
.LBB6_9666:                             ; =>This Inner Loop Header: Depth=1
	s_sethalt 5
	s_branch .LBB6_9666
.LBB6_9667:
	s_trap 2
	s_sendmsg_rtn_b32 s0, sendmsg(MSG_RTN_GET_DOORBELL)
	s_mov_b32 ttmp2, m0
	s_waitcnt lgkmcnt(0)
	s_and_b32 s0, s0, 0x3ff
	s_delay_alu instid0(SALU_CYCLE_1) | instskip(NEXT) | instid1(SALU_CYCLE_1)
	s_bitset1_b32 s0, 10
	s_mov_b32 m0, s0
	s_sendmsg sendmsg(MSG_INTERRUPT)
	s_mov_b32 m0, ttmp2
.LBB6_9668:                             ; =>This Inner Loop Header: Depth=1
	s_sethalt 5
	s_branch .LBB6_9668
.LBB6_9669:
	s_trap 2
	s_sendmsg_rtn_b32 s0, sendmsg(MSG_RTN_GET_DOORBELL)
	s_mov_b32 ttmp2, m0
	s_waitcnt lgkmcnt(0)
	s_and_b32 s0, s0, 0x3ff
	s_delay_alu instid0(SALU_CYCLE_1) | instskip(NEXT) | instid1(SALU_CYCLE_1)
	s_bitset1_b32 s0, 10
	s_mov_b32 m0, s0
	s_sendmsg sendmsg(MSG_INTERRUPT)
	s_mov_b32 m0, ttmp2
.LBB6_9670:                             ; =>This Inner Loop Header: Depth=1
	s_sethalt 5
	s_branch .LBB6_9670
.LBB6_9671:
	s_trap 2
	s_sendmsg_rtn_b32 s0, sendmsg(MSG_RTN_GET_DOORBELL)
	s_mov_b32 ttmp2, m0
	s_waitcnt lgkmcnt(0)
	s_and_b32 s0, s0, 0x3ff
	s_delay_alu instid0(SALU_CYCLE_1) | instskip(NEXT) | instid1(SALU_CYCLE_1)
	s_bitset1_b32 s0, 10
	s_mov_b32 m0, s0
	s_sendmsg sendmsg(MSG_INTERRUPT)
	s_mov_b32 m0, ttmp2
.LBB6_9672:                             ; =>This Inner Loop Header: Depth=1
	s_sethalt 5
	s_branch .LBB6_9672
.LBB6_9673:
	s_trap 2
	s_sendmsg_rtn_b32 s0, sendmsg(MSG_RTN_GET_DOORBELL)
	s_mov_b32 ttmp2, m0
	s_waitcnt lgkmcnt(0)
	s_and_b32 s0, s0, 0x3ff
	s_delay_alu instid0(SALU_CYCLE_1) | instskip(NEXT) | instid1(SALU_CYCLE_1)
	s_bitset1_b32 s0, 10
	s_mov_b32 m0, s0
	s_sendmsg sendmsg(MSG_INTERRUPT)
	s_mov_b32 m0, ttmp2
.LBB6_9674:                             ; =>This Inner Loop Header: Depth=1
	s_sethalt 5
	s_branch .LBB6_9674
.LBB6_9675:
	s_trap 2
	s_sendmsg_rtn_b32 s0, sendmsg(MSG_RTN_GET_DOORBELL)
	s_mov_b32 ttmp2, m0
	s_waitcnt lgkmcnt(0)
	s_and_b32 s0, s0, 0x3ff
	s_delay_alu instid0(SALU_CYCLE_1) | instskip(NEXT) | instid1(SALU_CYCLE_1)
	s_bitset1_b32 s0, 10
	s_mov_b32 m0, s0
	s_sendmsg sendmsg(MSG_INTERRUPT)
	s_mov_b32 m0, ttmp2
.LBB6_9676:                             ; =>This Inner Loop Header: Depth=1
	s_sethalt 5
	s_branch .LBB6_9676
.LBB6_9677:
	s_trap 2
	s_sendmsg_rtn_b32 s0, sendmsg(MSG_RTN_GET_DOORBELL)
	s_mov_b32 ttmp2, m0
	s_waitcnt lgkmcnt(0)
	s_and_b32 s0, s0, 0x3ff
	s_delay_alu instid0(SALU_CYCLE_1) | instskip(NEXT) | instid1(SALU_CYCLE_1)
	s_bitset1_b32 s0, 10
	s_mov_b32 m0, s0
	s_sendmsg sendmsg(MSG_INTERRUPT)
	s_mov_b32 m0, ttmp2
.LBB6_9678:                             ; =>This Inner Loop Header: Depth=1
	s_sethalt 5
	s_branch .LBB6_9678
.LBB6_9679:
	s_trap 2
	s_sendmsg_rtn_b32 s0, sendmsg(MSG_RTN_GET_DOORBELL)
	s_mov_b32 ttmp2, m0
	s_waitcnt lgkmcnt(0)
	s_and_b32 s0, s0, 0x3ff
	s_delay_alu instid0(SALU_CYCLE_1) | instskip(NEXT) | instid1(SALU_CYCLE_1)
	s_bitset1_b32 s0, 10
	s_mov_b32 m0, s0
	s_sendmsg sendmsg(MSG_INTERRUPT)
	s_mov_b32 m0, ttmp2
.LBB6_9680:                             ; =>This Inner Loop Header: Depth=1
	s_sethalt 5
	s_branch .LBB6_9680
.LBB6_9681:
	s_trap 2
	s_sendmsg_rtn_b32 s0, sendmsg(MSG_RTN_GET_DOORBELL)
	s_mov_b32 ttmp2, m0
	s_waitcnt lgkmcnt(0)
	s_and_b32 s0, s0, 0x3ff
	s_delay_alu instid0(SALU_CYCLE_1) | instskip(NEXT) | instid1(SALU_CYCLE_1)
	s_bitset1_b32 s0, 10
	s_mov_b32 m0, s0
	s_sendmsg sendmsg(MSG_INTERRUPT)
	s_mov_b32 m0, ttmp2
.LBB6_9682:                             ; =>This Inner Loop Header: Depth=1
	s_sethalt 5
	s_branch .LBB6_9682
.LBB6_9683:
	s_trap 2
	s_sendmsg_rtn_b32 s0, sendmsg(MSG_RTN_GET_DOORBELL)
	s_mov_b32 ttmp2, m0
	s_waitcnt lgkmcnt(0)
	s_and_b32 s0, s0, 0x3ff
	s_delay_alu instid0(SALU_CYCLE_1) | instskip(NEXT) | instid1(SALU_CYCLE_1)
	s_bitset1_b32 s0, 10
	s_mov_b32 m0, s0
	s_sendmsg sendmsg(MSG_INTERRUPT)
	s_mov_b32 m0, ttmp2
.LBB6_9684:                             ; =>This Inner Loop Header: Depth=1
	s_sethalt 5
	s_branch .LBB6_9684
.LBB6_9685:
	s_trap 2
	s_sendmsg_rtn_b32 s0, sendmsg(MSG_RTN_GET_DOORBELL)
	s_mov_b32 ttmp2, m0
	s_waitcnt lgkmcnt(0)
	s_and_b32 s0, s0, 0x3ff
	s_delay_alu instid0(SALU_CYCLE_1) | instskip(NEXT) | instid1(SALU_CYCLE_1)
	s_bitset1_b32 s0, 10
	s_mov_b32 m0, s0
	s_sendmsg sendmsg(MSG_INTERRUPT)
	s_mov_b32 m0, ttmp2
.LBB6_9686:                             ; =>This Inner Loop Header: Depth=1
	s_sethalt 5
	s_branch .LBB6_9686
.LBB6_9687:
	s_trap 2
	s_sendmsg_rtn_b32 s0, sendmsg(MSG_RTN_GET_DOORBELL)
	s_mov_b32 ttmp2, m0
	s_waitcnt lgkmcnt(0)
	s_and_b32 s0, s0, 0x3ff
	s_delay_alu instid0(SALU_CYCLE_1) | instskip(NEXT) | instid1(SALU_CYCLE_1)
	s_bitset1_b32 s0, 10
	s_mov_b32 m0, s0
	s_sendmsg sendmsg(MSG_INTERRUPT)
	s_mov_b32 m0, ttmp2
.LBB6_9688:                             ; =>This Inner Loop Header: Depth=1
	s_sethalt 5
	s_branch .LBB6_9688
.LBB6_9689:
	s_trap 2
	s_sendmsg_rtn_b32 s0, sendmsg(MSG_RTN_GET_DOORBELL)
	s_mov_b32 ttmp2, m0
	s_waitcnt lgkmcnt(0)
	s_and_b32 s0, s0, 0x3ff
	s_delay_alu instid0(SALU_CYCLE_1) | instskip(NEXT) | instid1(SALU_CYCLE_1)
	s_bitset1_b32 s0, 10
	s_mov_b32 m0, s0
	s_sendmsg sendmsg(MSG_INTERRUPT)
	s_mov_b32 m0, ttmp2
.LBB6_9690:                             ; =>This Inner Loop Header: Depth=1
	s_sethalt 5
	s_branch .LBB6_9690
.LBB6_9691:
	s_trap 2
	s_sendmsg_rtn_b32 s0, sendmsg(MSG_RTN_GET_DOORBELL)
	s_mov_b32 ttmp2, m0
	s_waitcnt lgkmcnt(0)
	s_and_b32 s0, s0, 0x3ff
	s_delay_alu instid0(SALU_CYCLE_1) | instskip(NEXT) | instid1(SALU_CYCLE_1)
	s_bitset1_b32 s0, 10
	s_mov_b32 m0, s0
	s_sendmsg sendmsg(MSG_INTERRUPT)
	s_mov_b32 m0, ttmp2
.LBB6_9692:                             ; =>This Inner Loop Header: Depth=1
	s_sethalt 5
	s_branch .LBB6_9692
.LBB6_9693:
	s_trap 2
	s_sendmsg_rtn_b32 s0, sendmsg(MSG_RTN_GET_DOORBELL)
	s_mov_b32 ttmp2, m0
	s_waitcnt lgkmcnt(0)
	s_and_b32 s0, s0, 0x3ff
	s_delay_alu instid0(SALU_CYCLE_1) | instskip(NEXT) | instid1(SALU_CYCLE_1)
	s_bitset1_b32 s0, 10
	s_mov_b32 m0, s0
	s_sendmsg sendmsg(MSG_INTERRUPT)
	s_mov_b32 m0, ttmp2
.LBB6_9694:                             ; =>This Inner Loop Header: Depth=1
	s_sethalt 5
	s_branch .LBB6_9694
.LBB6_9695:
	s_trap 2
	s_sendmsg_rtn_b32 s0, sendmsg(MSG_RTN_GET_DOORBELL)
	s_mov_b32 ttmp2, m0
	s_waitcnt lgkmcnt(0)
	s_and_b32 s0, s0, 0x3ff
	s_delay_alu instid0(SALU_CYCLE_1) | instskip(NEXT) | instid1(SALU_CYCLE_1)
	s_bitset1_b32 s0, 10
	s_mov_b32 m0, s0
	s_sendmsg sendmsg(MSG_INTERRUPT)
	s_mov_b32 m0, ttmp2
.LBB6_9696:                             ; =>This Inner Loop Header: Depth=1
	s_sethalt 5
	s_branch .LBB6_9696
.LBB6_9697:
	s_trap 2
	s_sendmsg_rtn_b32 s0, sendmsg(MSG_RTN_GET_DOORBELL)
	s_mov_b32 ttmp2, m0
	s_waitcnt lgkmcnt(0)
	s_and_b32 s0, s0, 0x3ff
	s_delay_alu instid0(SALU_CYCLE_1) | instskip(NEXT) | instid1(SALU_CYCLE_1)
	s_bitset1_b32 s0, 10
	s_mov_b32 m0, s0
	s_sendmsg sendmsg(MSG_INTERRUPT)
	s_mov_b32 m0, ttmp2
.LBB6_9698:                             ; =>This Inner Loop Header: Depth=1
	s_sethalt 5
	s_branch .LBB6_9698
.LBB6_9699:
	s_trap 2
	s_sendmsg_rtn_b32 s0, sendmsg(MSG_RTN_GET_DOORBELL)
	s_mov_b32 ttmp2, m0
	s_waitcnt lgkmcnt(0)
	s_and_b32 s0, s0, 0x3ff
	s_delay_alu instid0(SALU_CYCLE_1) | instskip(NEXT) | instid1(SALU_CYCLE_1)
	s_bitset1_b32 s0, 10
	s_mov_b32 m0, s0
	s_sendmsg sendmsg(MSG_INTERRUPT)
	s_mov_b32 m0, ttmp2
.LBB6_9700:                             ; =>This Inner Loop Header: Depth=1
	s_sethalt 5
	s_branch .LBB6_9700
.LBB6_9701:
	s_trap 2
	s_sendmsg_rtn_b32 s0, sendmsg(MSG_RTN_GET_DOORBELL)
	s_mov_b32 ttmp2, m0
	s_waitcnt lgkmcnt(0)
	s_and_b32 s0, s0, 0x3ff
	s_delay_alu instid0(SALU_CYCLE_1) | instskip(NEXT) | instid1(SALU_CYCLE_1)
	s_bitset1_b32 s0, 10
	s_mov_b32 m0, s0
	s_sendmsg sendmsg(MSG_INTERRUPT)
	s_mov_b32 m0, ttmp2
.LBB6_9702:                             ; =>This Inner Loop Header: Depth=1
	s_sethalt 5
	s_branch .LBB6_9702
.LBB6_9703:
	s_trap 2
	s_sendmsg_rtn_b32 s0, sendmsg(MSG_RTN_GET_DOORBELL)
	s_mov_b32 ttmp2, m0
	s_waitcnt lgkmcnt(0)
	s_and_b32 s0, s0, 0x3ff
	s_delay_alu instid0(SALU_CYCLE_1) | instskip(NEXT) | instid1(SALU_CYCLE_1)
	s_bitset1_b32 s0, 10
	s_mov_b32 m0, s0
	s_sendmsg sendmsg(MSG_INTERRUPT)
	s_mov_b32 m0, ttmp2
.LBB6_9704:                             ; =>This Inner Loop Header: Depth=1
	s_sethalt 5
	s_branch .LBB6_9704
.LBB6_9705:
	s_trap 2
	s_sendmsg_rtn_b32 s0, sendmsg(MSG_RTN_GET_DOORBELL)
	s_mov_b32 ttmp2, m0
	s_waitcnt lgkmcnt(0)
	s_and_b32 s0, s0, 0x3ff
	s_delay_alu instid0(SALU_CYCLE_1) | instskip(NEXT) | instid1(SALU_CYCLE_1)
	s_bitset1_b32 s0, 10
	s_mov_b32 m0, s0
	s_sendmsg sendmsg(MSG_INTERRUPT)
	s_mov_b32 m0, ttmp2
.LBB6_9706:                             ; =>This Inner Loop Header: Depth=1
	s_sethalt 5
	s_branch .LBB6_9706
.LBB6_9707:
	s_trap 2
	s_sendmsg_rtn_b32 s0, sendmsg(MSG_RTN_GET_DOORBELL)
	s_mov_b32 ttmp2, m0
	s_waitcnt lgkmcnt(0)
	s_and_b32 s0, s0, 0x3ff
	s_delay_alu instid0(SALU_CYCLE_1) | instskip(NEXT) | instid1(SALU_CYCLE_1)
	s_bitset1_b32 s0, 10
	s_mov_b32 m0, s0
	s_sendmsg sendmsg(MSG_INTERRUPT)
	s_mov_b32 m0, ttmp2
.LBB6_9708:                             ; =>This Inner Loop Header: Depth=1
	s_sethalt 5
	s_branch .LBB6_9708
.LBB6_9709:
	s_trap 2
	s_sendmsg_rtn_b32 s0, sendmsg(MSG_RTN_GET_DOORBELL)
	s_mov_b32 ttmp2, m0
	s_waitcnt lgkmcnt(0)
	s_and_b32 s0, s0, 0x3ff
	s_delay_alu instid0(SALU_CYCLE_1) | instskip(NEXT) | instid1(SALU_CYCLE_1)
	s_bitset1_b32 s0, 10
	s_mov_b32 m0, s0
	s_sendmsg sendmsg(MSG_INTERRUPT)
	s_mov_b32 m0, ttmp2
.LBB6_9710:                             ; =>This Inner Loop Header: Depth=1
	s_sethalt 5
	s_branch .LBB6_9710
.LBB6_9711:
	s_trap 2
	s_sendmsg_rtn_b32 s0, sendmsg(MSG_RTN_GET_DOORBELL)
	s_mov_b32 ttmp2, m0
	s_waitcnt lgkmcnt(0)
	s_and_b32 s0, s0, 0x3ff
	s_delay_alu instid0(SALU_CYCLE_1) | instskip(NEXT) | instid1(SALU_CYCLE_1)
	s_bitset1_b32 s0, 10
	s_mov_b32 m0, s0
	s_sendmsg sendmsg(MSG_INTERRUPT)
	s_mov_b32 m0, ttmp2
.LBB6_9712:                             ; =>This Inner Loop Header: Depth=1
	s_sethalt 5
	s_branch .LBB6_9712
.LBB6_9713:
	s_trap 2
	s_sendmsg_rtn_b32 s0, sendmsg(MSG_RTN_GET_DOORBELL)
	s_mov_b32 ttmp2, m0
	s_waitcnt lgkmcnt(0)
	s_and_b32 s0, s0, 0x3ff
	s_delay_alu instid0(SALU_CYCLE_1) | instskip(NEXT) | instid1(SALU_CYCLE_1)
	s_bitset1_b32 s0, 10
	s_mov_b32 m0, s0
	s_sendmsg sendmsg(MSG_INTERRUPT)
	s_mov_b32 m0, ttmp2
.LBB6_9714:                             ; =>This Inner Loop Header: Depth=1
	s_sethalt 5
	s_branch .LBB6_9714
.LBB6_9715:
	s_trap 2
	s_sendmsg_rtn_b32 s0, sendmsg(MSG_RTN_GET_DOORBELL)
	s_mov_b32 ttmp2, m0
	s_waitcnt lgkmcnt(0)
	s_and_b32 s0, s0, 0x3ff
	s_delay_alu instid0(SALU_CYCLE_1) | instskip(NEXT) | instid1(SALU_CYCLE_1)
	s_bitset1_b32 s0, 10
	s_mov_b32 m0, s0
	s_sendmsg sendmsg(MSG_INTERRUPT)
	s_mov_b32 m0, ttmp2
.LBB6_9716:                             ; =>This Inner Loop Header: Depth=1
	s_sethalt 5
	s_branch .LBB6_9716
.LBB6_9717:
	s_trap 2
	s_sendmsg_rtn_b32 s0, sendmsg(MSG_RTN_GET_DOORBELL)
	s_mov_b32 ttmp2, m0
	s_waitcnt lgkmcnt(0)
	s_and_b32 s0, s0, 0x3ff
	s_delay_alu instid0(SALU_CYCLE_1) | instskip(NEXT) | instid1(SALU_CYCLE_1)
	s_bitset1_b32 s0, 10
	s_mov_b32 m0, s0
	s_sendmsg sendmsg(MSG_INTERRUPT)
	s_mov_b32 m0, ttmp2
.LBB6_9718:                             ; =>This Inner Loop Header: Depth=1
	s_sethalt 5
	s_branch .LBB6_9718
.LBB6_9719:
	s_trap 2
	s_sendmsg_rtn_b32 s0, sendmsg(MSG_RTN_GET_DOORBELL)
	s_mov_b32 ttmp2, m0
	s_waitcnt lgkmcnt(0)
	s_and_b32 s0, s0, 0x3ff
	s_delay_alu instid0(SALU_CYCLE_1) | instskip(NEXT) | instid1(SALU_CYCLE_1)
	s_bitset1_b32 s0, 10
	s_mov_b32 m0, s0
	s_sendmsg sendmsg(MSG_INTERRUPT)
	s_mov_b32 m0, ttmp2
.LBB6_9720:                             ; =>This Inner Loop Header: Depth=1
	s_sethalt 5
	s_branch .LBB6_9720
.LBB6_9721:
	s_trap 2
	s_sendmsg_rtn_b32 s0, sendmsg(MSG_RTN_GET_DOORBELL)
	s_mov_b32 ttmp2, m0
	s_waitcnt lgkmcnt(0)
	s_and_b32 s0, s0, 0x3ff
	s_delay_alu instid0(SALU_CYCLE_1) | instskip(NEXT) | instid1(SALU_CYCLE_1)
	s_bitset1_b32 s0, 10
	s_mov_b32 m0, s0
	s_sendmsg sendmsg(MSG_INTERRUPT)
	s_mov_b32 m0, ttmp2
.LBB6_9722:                             ; =>This Inner Loop Header: Depth=1
	s_sethalt 5
	s_branch .LBB6_9722
.LBB6_9723:
	s_trap 2
	s_sendmsg_rtn_b32 s0, sendmsg(MSG_RTN_GET_DOORBELL)
	s_mov_b32 ttmp2, m0
	s_waitcnt lgkmcnt(0)
	s_and_b32 s0, s0, 0x3ff
	s_delay_alu instid0(SALU_CYCLE_1) | instskip(NEXT) | instid1(SALU_CYCLE_1)
	s_bitset1_b32 s0, 10
	s_mov_b32 m0, s0
	s_sendmsg sendmsg(MSG_INTERRUPT)
	s_mov_b32 m0, ttmp2
.LBB6_9724:                             ; =>This Inner Loop Header: Depth=1
	s_sethalt 5
	s_branch .LBB6_9724
.LBB6_9725:
	s_trap 2
	s_sendmsg_rtn_b32 s0, sendmsg(MSG_RTN_GET_DOORBELL)
	s_mov_b32 ttmp2, m0
	s_waitcnt lgkmcnt(0)
	s_and_b32 s0, s0, 0x3ff
	s_delay_alu instid0(SALU_CYCLE_1) | instskip(NEXT) | instid1(SALU_CYCLE_1)
	s_bitset1_b32 s0, 10
	s_mov_b32 m0, s0
	s_sendmsg sendmsg(MSG_INTERRUPT)
	s_mov_b32 m0, ttmp2
.LBB6_9726:                             ; =>This Inner Loop Header: Depth=1
	s_sethalt 5
	s_branch .LBB6_9726
.LBB6_9727:
	s_trap 2
	s_sendmsg_rtn_b32 s0, sendmsg(MSG_RTN_GET_DOORBELL)
	s_mov_b32 ttmp2, m0
	s_waitcnt lgkmcnt(0)
	s_and_b32 s0, s0, 0x3ff
	s_delay_alu instid0(SALU_CYCLE_1) | instskip(NEXT) | instid1(SALU_CYCLE_1)
	s_bitset1_b32 s0, 10
	s_mov_b32 m0, s0
	s_sendmsg sendmsg(MSG_INTERRUPT)
	s_mov_b32 m0, ttmp2
.LBB6_9728:                             ; =>This Inner Loop Header: Depth=1
	s_sethalt 5
	s_branch .LBB6_9728
.LBB6_9729:
	s_trap 2
	s_sendmsg_rtn_b32 s0, sendmsg(MSG_RTN_GET_DOORBELL)
	s_mov_b32 ttmp2, m0
	s_waitcnt lgkmcnt(0)
	s_and_b32 s0, s0, 0x3ff
	s_delay_alu instid0(SALU_CYCLE_1) | instskip(NEXT) | instid1(SALU_CYCLE_1)
	s_bitset1_b32 s0, 10
	s_mov_b32 m0, s0
	s_sendmsg sendmsg(MSG_INTERRUPT)
	s_mov_b32 m0, ttmp2
.LBB6_9730:                             ; =>This Inner Loop Header: Depth=1
	s_sethalt 5
	s_branch .LBB6_9730
.LBB6_9731:
	s_trap 2
	s_sendmsg_rtn_b32 s0, sendmsg(MSG_RTN_GET_DOORBELL)
	s_mov_b32 ttmp2, m0
	s_waitcnt lgkmcnt(0)
	s_and_b32 s0, s0, 0x3ff
	s_delay_alu instid0(SALU_CYCLE_1) | instskip(NEXT) | instid1(SALU_CYCLE_1)
	s_bitset1_b32 s0, 10
	s_mov_b32 m0, s0
	s_sendmsg sendmsg(MSG_INTERRUPT)
	s_mov_b32 m0, ttmp2
.LBB6_9732:                             ; =>This Inner Loop Header: Depth=1
	s_sethalt 5
	s_branch .LBB6_9732
.LBB6_9733:
	s_trap 2
	s_sendmsg_rtn_b32 s0, sendmsg(MSG_RTN_GET_DOORBELL)
	s_mov_b32 ttmp2, m0
	s_waitcnt lgkmcnt(0)
	s_and_b32 s0, s0, 0x3ff
	s_delay_alu instid0(SALU_CYCLE_1) | instskip(NEXT) | instid1(SALU_CYCLE_1)
	s_bitset1_b32 s0, 10
	s_mov_b32 m0, s0
	s_sendmsg sendmsg(MSG_INTERRUPT)
	s_mov_b32 m0, ttmp2
.LBB6_9734:                             ; =>This Inner Loop Header: Depth=1
	s_sethalt 5
	s_branch .LBB6_9734
.LBB6_9735:
	s_trap 2
	s_sendmsg_rtn_b32 s0, sendmsg(MSG_RTN_GET_DOORBELL)
	s_mov_b32 ttmp2, m0
	s_waitcnt lgkmcnt(0)
	s_and_b32 s0, s0, 0x3ff
	s_delay_alu instid0(SALU_CYCLE_1) | instskip(NEXT) | instid1(SALU_CYCLE_1)
	s_bitset1_b32 s0, 10
	s_mov_b32 m0, s0
	s_sendmsg sendmsg(MSG_INTERRUPT)
	s_mov_b32 m0, ttmp2
.LBB6_9736:                             ; =>This Inner Loop Header: Depth=1
	s_sethalt 5
	s_branch .LBB6_9736
.LBB6_9737:
	s_trap 2
	s_sendmsg_rtn_b32 s0, sendmsg(MSG_RTN_GET_DOORBELL)
	s_mov_b32 ttmp2, m0
	s_waitcnt lgkmcnt(0)
	s_and_b32 s0, s0, 0x3ff
	s_delay_alu instid0(SALU_CYCLE_1) | instskip(NEXT) | instid1(SALU_CYCLE_1)
	s_bitset1_b32 s0, 10
	s_mov_b32 m0, s0
	s_sendmsg sendmsg(MSG_INTERRUPT)
	s_mov_b32 m0, ttmp2
.LBB6_9738:                             ; =>This Inner Loop Header: Depth=1
	s_sethalt 5
	s_branch .LBB6_9738
.LBB6_9739:
	s_trap 2
	s_sendmsg_rtn_b32 s0, sendmsg(MSG_RTN_GET_DOORBELL)
	s_mov_b32 ttmp2, m0
	s_waitcnt lgkmcnt(0)
	s_and_b32 s0, s0, 0x3ff
	s_delay_alu instid0(SALU_CYCLE_1) | instskip(NEXT) | instid1(SALU_CYCLE_1)
	s_bitset1_b32 s0, 10
	s_mov_b32 m0, s0
	s_sendmsg sendmsg(MSG_INTERRUPT)
	s_mov_b32 m0, ttmp2
.LBB6_9740:                             ; =>This Inner Loop Header: Depth=1
	s_sethalt 5
	s_branch .LBB6_9740
.LBB6_9741:
	s_trap 2
	s_sendmsg_rtn_b32 s0, sendmsg(MSG_RTN_GET_DOORBELL)
	s_mov_b32 ttmp2, m0
	s_waitcnt lgkmcnt(0)
	s_and_b32 s0, s0, 0x3ff
	s_delay_alu instid0(SALU_CYCLE_1) | instskip(NEXT) | instid1(SALU_CYCLE_1)
	s_bitset1_b32 s0, 10
	s_mov_b32 m0, s0
	s_sendmsg sendmsg(MSG_INTERRUPT)
	s_mov_b32 m0, ttmp2
.LBB6_9742:                             ; =>This Inner Loop Header: Depth=1
	s_sethalt 5
	s_branch .LBB6_9742
.LBB6_9743:
	s_trap 2
	s_sendmsg_rtn_b32 s0, sendmsg(MSG_RTN_GET_DOORBELL)
	s_mov_b32 ttmp2, m0
	s_waitcnt lgkmcnt(0)
	s_and_b32 s0, s0, 0x3ff
	s_delay_alu instid0(SALU_CYCLE_1) | instskip(NEXT) | instid1(SALU_CYCLE_1)
	s_bitset1_b32 s0, 10
	s_mov_b32 m0, s0
	s_sendmsg sendmsg(MSG_INTERRUPT)
	s_mov_b32 m0, ttmp2
.LBB6_9744:                             ; =>This Inner Loop Header: Depth=1
	s_sethalt 5
	s_branch .LBB6_9744
.LBB6_9745:
	s_trap 2
	s_sendmsg_rtn_b32 s0, sendmsg(MSG_RTN_GET_DOORBELL)
	s_mov_b32 ttmp2, m0
	s_waitcnt lgkmcnt(0)
	s_and_b32 s0, s0, 0x3ff
	s_delay_alu instid0(SALU_CYCLE_1) | instskip(NEXT) | instid1(SALU_CYCLE_1)
	s_bitset1_b32 s0, 10
	s_mov_b32 m0, s0
	s_sendmsg sendmsg(MSG_INTERRUPT)
	s_mov_b32 m0, ttmp2
.LBB6_9746:                             ; =>This Inner Loop Header: Depth=1
	s_sethalt 5
	s_branch .LBB6_9746
.LBB6_9747:
	s_trap 2
	s_sendmsg_rtn_b32 s0, sendmsg(MSG_RTN_GET_DOORBELL)
	s_mov_b32 ttmp2, m0
	s_waitcnt lgkmcnt(0)
	s_and_b32 s0, s0, 0x3ff
	s_delay_alu instid0(SALU_CYCLE_1) | instskip(NEXT) | instid1(SALU_CYCLE_1)
	s_bitset1_b32 s0, 10
	s_mov_b32 m0, s0
	s_sendmsg sendmsg(MSG_INTERRUPT)
	s_mov_b32 m0, ttmp2
.LBB6_9748:                             ; =>This Inner Loop Header: Depth=1
	s_sethalt 5
	s_branch .LBB6_9748
.LBB6_9749:
	s_trap 2
	s_sendmsg_rtn_b32 s0, sendmsg(MSG_RTN_GET_DOORBELL)
	s_mov_b32 ttmp2, m0
	s_waitcnt lgkmcnt(0)
	s_and_b32 s0, s0, 0x3ff
	s_delay_alu instid0(SALU_CYCLE_1) | instskip(NEXT) | instid1(SALU_CYCLE_1)
	s_bitset1_b32 s0, 10
	s_mov_b32 m0, s0
	s_sendmsg sendmsg(MSG_INTERRUPT)
	s_mov_b32 m0, ttmp2
.LBB6_9750:                             ; =>This Inner Loop Header: Depth=1
	s_sethalt 5
	s_branch .LBB6_9750
.LBB6_9751:
	s_trap 2
	s_sendmsg_rtn_b32 s0, sendmsg(MSG_RTN_GET_DOORBELL)
	s_mov_b32 ttmp2, m0
	s_waitcnt lgkmcnt(0)
	s_and_b32 s0, s0, 0x3ff
	s_delay_alu instid0(SALU_CYCLE_1) | instskip(NEXT) | instid1(SALU_CYCLE_1)
	s_bitset1_b32 s0, 10
	s_mov_b32 m0, s0
	s_sendmsg sendmsg(MSG_INTERRUPT)
	s_mov_b32 m0, ttmp2
.LBB6_9752:                             ; =>This Inner Loop Header: Depth=1
	s_sethalt 5
	s_branch .LBB6_9752
.LBB6_9753:
	s_trap 2
	s_sendmsg_rtn_b32 s0, sendmsg(MSG_RTN_GET_DOORBELL)
	s_mov_b32 ttmp2, m0
	s_waitcnt lgkmcnt(0)
	s_and_b32 s0, s0, 0x3ff
	s_delay_alu instid0(SALU_CYCLE_1) | instskip(NEXT) | instid1(SALU_CYCLE_1)
	s_bitset1_b32 s0, 10
	s_mov_b32 m0, s0
	s_sendmsg sendmsg(MSG_INTERRUPT)
	s_mov_b32 m0, ttmp2
.LBB6_9754:                             ; =>This Inner Loop Header: Depth=1
	s_sethalt 5
	s_branch .LBB6_9754
.LBB6_9755:
	s_trap 2
	s_sendmsg_rtn_b32 s0, sendmsg(MSG_RTN_GET_DOORBELL)
	s_mov_b32 ttmp2, m0
	s_waitcnt lgkmcnt(0)
	s_and_b32 s0, s0, 0x3ff
	s_delay_alu instid0(SALU_CYCLE_1) | instskip(NEXT) | instid1(SALU_CYCLE_1)
	s_bitset1_b32 s0, 10
	s_mov_b32 m0, s0
	s_sendmsg sendmsg(MSG_INTERRUPT)
	s_mov_b32 m0, ttmp2
.LBB6_9756:                             ; =>This Inner Loop Header: Depth=1
	s_sethalt 5
	s_branch .LBB6_9756
.LBB6_9757:
	s_trap 2
	s_sendmsg_rtn_b32 s0, sendmsg(MSG_RTN_GET_DOORBELL)
	s_mov_b32 ttmp2, m0
	s_waitcnt lgkmcnt(0)
	s_and_b32 s0, s0, 0x3ff
	s_delay_alu instid0(SALU_CYCLE_1) | instskip(NEXT) | instid1(SALU_CYCLE_1)
	s_bitset1_b32 s0, 10
	s_mov_b32 m0, s0
	s_sendmsg sendmsg(MSG_INTERRUPT)
	s_mov_b32 m0, ttmp2
.LBB6_9758:                             ; =>This Inner Loop Header: Depth=1
	s_sethalt 5
	s_branch .LBB6_9758
.LBB6_9759:
	s_trap 2
	s_sendmsg_rtn_b32 s0, sendmsg(MSG_RTN_GET_DOORBELL)
	s_mov_b32 ttmp2, m0
	s_waitcnt lgkmcnt(0)
	s_and_b32 s0, s0, 0x3ff
	s_delay_alu instid0(SALU_CYCLE_1) | instskip(NEXT) | instid1(SALU_CYCLE_1)
	s_bitset1_b32 s0, 10
	s_mov_b32 m0, s0
	s_sendmsg sendmsg(MSG_INTERRUPT)
	s_mov_b32 m0, ttmp2
.LBB6_9760:                             ; =>This Inner Loop Header: Depth=1
	s_sethalt 5
	s_branch .LBB6_9760
.LBB6_9761:
	s_trap 2
	s_sendmsg_rtn_b32 s0, sendmsg(MSG_RTN_GET_DOORBELL)
	s_mov_b32 ttmp2, m0
	s_waitcnt lgkmcnt(0)
	s_and_b32 s0, s0, 0x3ff
	s_delay_alu instid0(SALU_CYCLE_1) | instskip(NEXT) | instid1(SALU_CYCLE_1)
	s_bitset1_b32 s0, 10
	s_mov_b32 m0, s0
	s_sendmsg sendmsg(MSG_INTERRUPT)
	s_mov_b32 m0, ttmp2
.LBB6_9762:                             ; =>This Inner Loop Header: Depth=1
	s_sethalt 5
	s_branch .LBB6_9762
.LBB6_9763:
	s_trap 2
	s_sendmsg_rtn_b32 s0, sendmsg(MSG_RTN_GET_DOORBELL)
	s_mov_b32 ttmp2, m0
	s_waitcnt lgkmcnt(0)
	s_and_b32 s0, s0, 0x3ff
	s_delay_alu instid0(SALU_CYCLE_1) | instskip(NEXT) | instid1(SALU_CYCLE_1)
	s_bitset1_b32 s0, 10
	s_mov_b32 m0, s0
	s_sendmsg sendmsg(MSG_INTERRUPT)
	s_mov_b32 m0, ttmp2
.LBB6_9764:                             ; =>This Inner Loop Header: Depth=1
	s_sethalt 5
	s_branch .LBB6_9764
.LBB6_9765:
	s_trap 2
	s_sendmsg_rtn_b32 s0, sendmsg(MSG_RTN_GET_DOORBELL)
	s_mov_b32 ttmp2, m0
	s_waitcnt lgkmcnt(0)
	s_and_b32 s0, s0, 0x3ff
	s_delay_alu instid0(SALU_CYCLE_1) | instskip(NEXT) | instid1(SALU_CYCLE_1)
	s_bitset1_b32 s0, 10
	s_mov_b32 m0, s0
	s_sendmsg sendmsg(MSG_INTERRUPT)
	s_mov_b32 m0, ttmp2
.LBB6_9766:                             ; =>This Inner Loop Header: Depth=1
	s_sethalt 5
	s_branch .LBB6_9766
.LBB6_9767:
	s_trap 2
	s_sendmsg_rtn_b32 s0, sendmsg(MSG_RTN_GET_DOORBELL)
	s_mov_b32 ttmp2, m0
	s_waitcnt lgkmcnt(0)
	s_and_b32 s0, s0, 0x3ff
	s_delay_alu instid0(SALU_CYCLE_1) | instskip(NEXT) | instid1(SALU_CYCLE_1)
	s_bitset1_b32 s0, 10
	s_mov_b32 m0, s0
	s_sendmsg sendmsg(MSG_INTERRUPT)
	s_mov_b32 m0, ttmp2
.LBB6_9768:                             ; =>This Inner Loop Header: Depth=1
	s_sethalt 5
	s_branch .LBB6_9768
.LBB6_9769:
	s_trap 2
	s_sendmsg_rtn_b32 s0, sendmsg(MSG_RTN_GET_DOORBELL)
	s_mov_b32 ttmp2, m0
	s_waitcnt lgkmcnt(0)
	s_and_b32 s0, s0, 0x3ff
	s_delay_alu instid0(SALU_CYCLE_1) | instskip(NEXT) | instid1(SALU_CYCLE_1)
	s_bitset1_b32 s0, 10
	s_mov_b32 m0, s0
	s_sendmsg sendmsg(MSG_INTERRUPT)
	s_mov_b32 m0, ttmp2
.LBB6_9770:                             ; =>This Inner Loop Header: Depth=1
	s_sethalt 5
	s_branch .LBB6_9770
.LBB6_9771:
	s_trap 2
	s_sendmsg_rtn_b32 s0, sendmsg(MSG_RTN_GET_DOORBELL)
	s_mov_b32 ttmp2, m0
	s_waitcnt lgkmcnt(0)
	s_and_b32 s0, s0, 0x3ff
	s_delay_alu instid0(SALU_CYCLE_1) | instskip(NEXT) | instid1(SALU_CYCLE_1)
	s_bitset1_b32 s0, 10
	s_mov_b32 m0, s0
	s_sendmsg sendmsg(MSG_INTERRUPT)
	s_mov_b32 m0, ttmp2
.LBB6_9772:                             ; =>This Inner Loop Header: Depth=1
	s_sethalt 5
	s_branch .LBB6_9772
.LBB6_9773:
	s_trap 2
	s_sendmsg_rtn_b32 s0, sendmsg(MSG_RTN_GET_DOORBELL)
	s_mov_b32 ttmp2, m0
	s_waitcnt lgkmcnt(0)
	s_and_b32 s0, s0, 0x3ff
	s_delay_alu instid0(SALU_CYCLE_1) | instskip(NEXT) | instid1(SALU_CYCLE_1)
	s_bitset1_b32 s0, 10
	s_mov_b32 m0, s0
	s_sendmsg sendmsg(MSG_INTERRUPT)
	s_mov_b32 m0, ttmp2
.LBB6_9774:                             ; =>This Inner Loop Header: Depth=1
	s_sethalt 5
	s_branch .LBB6_9774
.LBB6_9775:
	s_or_b32 exec_lo, exec_lo, s4
	s_and_saveexec_b32 s4, s5
	s_delay_alu instid0(SALU_CYCLE_1)
	s_xor_b32 s4, exec_lo, s4
	s_cbranch_execz .LBB6_9777
; %bb.9776:
	v_mov_b32_e32 v0, 1
	ds_store_b32 v0, v0
	s_cbranch_execnz .LBB6_9869
.LBB6_9777:
	s_or_b32 exec_lo, exec_lo, s3
	;;#ASMSTART
	s_wakeup
	;;#ASMEND
.LBB6_9778:
	s_or_b32 exec_lo, exec_lo, s2
.LBB6_9779:
	s_and_not1_saveexec_b32 s1, s1
	s_cbranch_execz .LBB6_9781
; %bb.9780:
	s_waitcnt lgkmcnt(0)
	s_waitcnt_vscnt null, 0x0
	buffer_gl1_inv
	buffer_gl0_inv
	s_barrier
.LBB6_9781:
	s_or_b32 exec_lo, exec_lo, s0
.LBB6_9782:
	s_and_not1_saveexec_b32 s21, s18
	s_cbranch_execz .LBB6_9784
; %bb.9783:
	s_getpc_b64 s[0:1]
	s_add_u32 s0, s0, __PRETTY_FUNCTION__._ZN10PrimitivesI11rccl_float87FuncSumIS0_E12FanSymmetricILi1EELi0E11ProtoSimpleILi2ELi2ELi0ELi4ELi0ELi0EELi0ELb0ELi0ELi0ELi0EEC2EiiPKiS9_PKvPvmhhhP15ncclDevWorkCollP14ncclDevWorkP2pii@rel32@lo+4
	s_addc_u32 s1, s1, __PRETTY_FUNCTION__._ZN10PrimitivesI11rccl_float87FuncSumIS0_E12FanSymmetricILi1EELi0E11ProtoSimpleILi2ELi2ELi0ELi4ELi0ELi0EELi0ELb0ELi0ELi0ELi0EEC2EiiPKiS9_PKvPvmhhhP15ncclDevWorkCollP14ncclDevWorkP2pii@rel32@hi+12
	s_delay_alu instid0(SALU_CYCLE_1) | instskip(SKIP_3) | instid1(SALU_CYCLE_1)
	v_dual_mov_b32 v0, s0 :: v_dual_mov_b32 v1, s1
	s_getpc_b64 s[2:3]
	s_add_u32 s2, s2, __assert_fail@rel32@lo+4
	s_addc_u32 s3, s3, __assert_fail@rel32@hi+12
	s_swappc_b64 s[30:31], s[2:3]
	; divergent unreachable
.LBB6_9784:
	s_or_b32 exec_lo, exec_lo, s21
	s_clause 0x1f
	scratch_load_b32 v120, off, s33
	scratch_load_b32 v111, off, s33 offset:4
	scratch_load_b32 v110, off, s33 offset:8
	;; [unrolled: 1-line block ×31, first 2 shown]
	s_clause 0x8
	scratch_load_b32 v56, off, s33 offset:128
	scratch_load_b32 v47, off, s33 offset:132
	;; [unrolled: 1-line block ×9, first 2 shown]
	v_readlane_b32 s30, v121, 12
	v_readlane_b32 s31, v121, 13
	;; [unrolled: 1-line block ×15, first 2 shown]
	s_or_saveexec_b32 s1, -1
	s_clause 0x1
	scratch_load_b32 v121, off, s33 offset:164
	scratch_load_b32 v122, off, s33 offset:168
	s_mov_b32 exec_lo, s1
	s_addk_i32 s32, 0xff50
	s_mov_b32 s33, s0
	s_waitcnt vmcnt(0) lgkmcnt(0)
	s_setpc_b64 s[30:31]
.LBB6_9785:
	s_trap 2
	s_sendmsg_rtn_b32 s0, sendmsg(MSG_RTN_GET_DOORBELL)
	s_mov_b32 ttmp2, m0
	s_waitcnt lgkmcnt(0)
	s_and_b32 s0, s0, 0x3ff
	s_delay_alu instid0(SALU_CYCLE_1) | instskip(NEXT) | instid1(SALU_CYCLE_1)
	s_bitset1_b32 s0, 10
	s_mov_b32 m0, s0
	s_sendmsg sendmsg(MSG_INTERRUPT)
	s_mov_b32 m0, ttmp2
.LBB6_9786:                             ; =>This Inner Loop Header: Depth=1
	s_sethalt 5
	s_branch .LBB6_9786
.LBB6_9787:
	s_trap 2
	s_sendmsg_rtn_b32 s0, sendmsg(MSG_RTN_GET_DOORBELL)
	s_mov_b32 ttmp2, m0
	s_waitcnt lgkmcnt(0)
	s_and_b32 s0, s0, 0x3ff
	s_delay_alu instid0(SALU_CYCLE_1) | instskip(NEXT) | instid1(SALU_CYCLE_1)
	s_bitset1_b32 s0, 10
	s_mov_b32 m0, s0
	s_sendmsg sendmsg(MSG_INTERRUPT)
	s_mov_b32 m0, ttmp2
.LBB6_9788:                             ; =>This Inner Loop Header: Depth=1
	s_sethalt 5
	s_branch .LBB6_9788
.LBB6_9789:
	s_trap 2
	s_sendmsg_rtn_b32 s0, sendmsg(MSG_RTN_GET_DOORBELL)
	s_mov_b32 ttmp2, m0
	s_waitcnt lgkmcnt(0)
	s_and_b32 s0, s0, 0x3ff
	s_delay_alu instid0(SALU_CYCLE_1) | instskip(NEXT) | instid1(SALU_CYCLE_1)
	s_bitset1_b32 s0, 10
	s_mov_b32 m0, s0
	s_sendmsg sendmsg(MSG_INTERRUPT)
	s_mov_b32 m0, ttmp2
.LBB6_9790:                             ; =>This Inner Loop Header: Depth=1
	s_sethalt 5
	s_branch .LBB6_9790
.LBB6_9791:
	s_trap 2
	s_sendmsg_rtn_b32 s0, sendmsg(MSG_RTN_GET_DOORBELL)
	s_mov_b32 ttmp2, m0
	s_waitcnt lgkmcnt(0)
	s_and_b32 s0, s0, 0x3ff
	s_delay_alu instid0(SALU_CYCLE_1) | instskip(NEXT) | instid1(SALU_CYCLE_1)
	s_bitset1_b32 s0, 10
	s_mov_b32 m0, s0
	s_sendmsg sendmsg(MSG_INTERRUPT)
	s_mov_b32 m0, ttmp2
.LBB6_9792:                             ; =>This Inner Loop Header: Depth=1
	s_sethalt 5
	s_branch .LBB6_9792
.LBB6_9793:
	s_trap 2
	s_sendmsg_rtn_b32 s0, sendmsg(MSG_RTN_GET_DOORBELL)
	s_mov_b32 ttmp2, m0
	s_waitcnt lgkmcnt(0)
	s_and_b32 s0, s0, 0x3ff
	s_delay_alu instid0(SALU_CYCLE_1) | instskip(NEXT) | instid1(SALU_CYCLE_1)
	s_bitset1_b32 s0, 10
	s_mov_b32 m0, s0
	s_sendmsg sendmsg(MSG_INTERRUPT)
	s_mov_b32 m0, ttmp2
.LBB6_9794:                             ; =>This Inner Loop Header: Depth=1
	s_sethalt 5
	s_branch .LBB6_9794
.LBB6_9795:
	s_trap 2
	s_sendmsg_rtn_b32 s0, sendmsg(MSG_RTN_GET_DOORBELL)
	s_mov_b32 ttmp2, m0
	s_waitcnt lgkmcnt(0)
	s_and_b32 s0, s0, 0x3ff
	s_delay_alu instid0(SALU_CYCLE_1) | instskip(NEXT) | instid1(SALU_CYCLE_1)
	s_bitset1_b32 s0, 10
	s_mov_b32 m0, s0
	s_sendmsg sendmsg(MSG_INTERRUPT)
	s_mov_b32 m0, ttmp2
.LBB6_9796:                             ; =>This Inner Loop Header: Depth=1
	s_sethalt 5
	s_branch .LBB6_9796
.LBB6_9797:
	s_trap 2
	s_sendmsg_rtn_b32 s0, sendmsg(MSG_RTN_GET_DOORBELL)
	s_mov_b32 ttmp2, m0
	s_waitcnt lgkmcnt(0)
	s_and_b32 s0, s0, 0x3ff
	s_delay_alu instid0(SALU_CYCLE_1) | instskip(NEXT) | instid1(SALU_CYCLE_1)
	s_bitset1_b32 s0, 10
	s_mov_b32 m0, s0
	s_sendmsg sendmsg(MSG_INTERRUPT)
	s_mov_b32 m0, ttmp2
.LBB6_9798:                             ; =>This Inner Loop Header: Depth=1
	s_sethalt 5
	s_branch .LBB6_9798
.LBB6_9799:
	s_trap 2
	s_sendmsg_rtn_b32 s0, sendmsg(MSG_RTN_GET_DOORBELL)
	s_mov_b32 ttmp2, m0
	s_waitcnt lgkmcnt(0)
	s_and_b32 s0, s0, 0x3ff
	s_delay_alu instid0(SALU_CYCLE_1) | instskip(NEXT) | instid1(SALU_CYCLE_1)
	s_bitset1_b32 s0, 10
	s_mov_b32 m0, s0
	s_sendmsg sendmsg(MSG_INTERRUPT)
	s_mov_b32 m0, ttmp2
.LBB6_9800:                             ; =>This Inner Loop Header: Depth=1
	s_sethalt 5
	s_branch .LBB6_9800
.LBB6_9801:
	s_trap 2
	s_sendmsg_rtn_b32 s0, sendmsg(MSG_RTN_GET_DOORBELL)
	s_mov_b32 ttmp2, m0
	s_waitcnt lgkmcnt(0)
	s_and_b32 s0, s0, 0x3ff
	s_delay_alu instid0(SALU_CYCLE_1) | instskip(NEXT) | instid1(SALU_CYCLE_1)
	s_bitset1_b32 s0, 10
	s_mov_b32 m0, s0
	s_sendmsg sendmsg(MSG_INTERRUPT)
	s_mov_b32 m0, ttmp2
.LBB6_9802:                             ; =>This Inner Loop Header: Depth=1
	s_sethalt 5
	s_branch .LBB6_9802
.LBB6_9803:
	s_trap 2
	s_sendmsg_rtn_b32 s0, sendmsg(MSG_RTN_GET_DOORBELL)
	s_mov_b32 ttmp2, m0
	s_waitcnt lgkmcnt(0)
	s_and_b32 s0, s0, 0x3ff
	s_delay_alu instid0(SALU_CYCLE_1) | instskip(NEXT) | instid1(SALU_CYCLE_1)
	s_bitset1_b32 s0, 10
	s_mov_b32 m0, s0
	s_sendmsg sendmsg(MSG_INTERRUPT)
	s_mov_b32 m0, ttmp2
.LBB6_9804:                             ; =>This Inner Loop Header: Depth=1
	s_sethalt 5
	s_branch .LBB6_9804
.LBB6_9805:
	s_trap 2
	s_sendmsg_rtn_b32 s0, sendmsg(MSG_RTN_GET_DOORBELL)
	s_mov_b32 ttmp2, m0
	s_waitcnt lgkmcnt(0)
	s_and_b32 s0, s0, 0x3ff
	s_delay_alu instid0(SALU_CYCLE_1) | instskip(NEXT) | instid1(SALU_CYCLE_1)
	s_bitset1_b32 s0, 10
	s_mov_b32 m0, s0
	s_sendmsg sendmsg(MSG_INTERRUPT)
	s_mov_b32 m0, ttmp2
.LBB6_9806:                             ; =>This Inner Loop Header: Depth=1
	s_sethalt 5
	s_branch .LBB6_9806
.LBB6_9807:
	s_trap 2
	s_sendmsg_rtn_b32 s0, sendmsg(MSG_RTN_GET_DOORBELL)
	s_mov_b32 ttmp2, m0
	s_waitcnt lgkmcnt(0)
	s_and_b32 s0, s0, 0x3ff
	s_delay_alu instid0(SALU_CYCLE_1) | instskip(NEXT) | instid1(SALU_CYCLE_1)
	s_bitset1_b32 s0, 10
	s_mov_b32 m0, s0
	s_sendmsg sendmsg(MSG_INTERRUPT)
	s_mov_b32 m0, ttmp2
.LBB6_9808:                             ; =>This Inner Loop Header: Depth=1
	s_sethalt 5
	s_branch .LBB6_9808
.LBB6_9809:
	s_trap 2
	s_sendmsg_rtn_b32 s0, sendmsg(MSG_RTN_GET_DOORBELL)
	s_mov_b32 ttmp2, m0
	s_waitcnt lgkmcnt(0)
	s_and_b32 s0, s0, 0x3ff
	s_delay_alu instid0(SALU_CYCLE_1) | instskip(NEXT) | instid1(SALU_CYCLE_1)
	s_bitset1_b32 s0, 10
	s_mov_b32 m0, s0
	s_sendmsg sendmsg(MSG_INTERRUPT)
	s_mov_b32 m0, ttmp2
.LBB6_9810:                             ; =>This Inner Loop Header: Depth=1
	s_sethalt 5
	s_branch .LBB6_9810
.LBB6_9811:
	s_trap 2
	s_sendmsg_rtn_b32 s0, sendmsg(MSG_RTN_GET_DOORBELL)
	s_mov_b32 ttmp2, m0
	s_waitcnt lgkmcnt(0)
	s_and_b32 s0, s0, 0x3ff
	s_delay_alu instid0(SALU_CYCLE_1) | instskip(NEXT) | instid1(SALU_CYCLE_1)
	s_bitset1_b32 s0, 10
	s_mov_b32 m0, s0
	s_sendmsg sendmsg(MSG_INTERRUPT)
	s_mov_b32 m0, ttmp2
.LBB6_9812:                             ; =>This Inner Loop Header: Depth=1
	s_sethalt 5
	s_branch .LBB6_9812
.LBB6_9813:
	s_trap 2
	s_sendmsg_rtn_b32 s0, sendmsg(MSG_RTN_GET_DOORBELL)
	s_mov_b32 ttmp2, m0
	s_waitcnt lgkmcnt(0)
	s_and_b32 s0, s0, 0x3ff
	s_delay_alu instid0(SALU_CYCLE_1) | instskip(NEXT) | instid1(SALU_CYCLE_1)
	s_bitset1_b32 s0, 10
	s_mov_b32 m0, s0
	s_sendmsg sendmsg(MSG_INTERRUPT)
	s_mov_b32 m0, ttmp2
.LBB6_9814:                             ; =>This Inner Loop Header: Depth=1
	s_sethalt 5
	s_branch .LBB6_9814
.LBB6_9815:
	s_trap 2
	s_sendmsg_rtn_b32 s0, sendmsg(MSG_RTN_GET_DOORBELL)
	s_mov_b32 ttmp2, m0
	s_waitcnt lgkmcnt(0)
	s_and_b32 s0, s0, 0x3ff
	s_delay_alu instid0(SALU_CYCLE_1) | instskip(NEXT) | instid1(SALU_CYCLE_1)
	s_bitset1_b32 s0, 10
	s_mov_b32 m0, s0
	s_sendmsg sendmsg(MSG_INTERRUPT)
	s_mov_b32 m0, ttmp2
.LBB6_9816:                             ; =>This Inner Loop Header: Depth=1
	s_sethalt 5
	s_branch .LBB6_9816
.LBB6_9817:
	s_trap 2
	s_sendmsg_rtn_b32 s0, sendmsg(MSG_RTN_GET_DOORBELL)
	s_mov_b32 ttmp2, m0
	s_waitcnt lgkmcnt(0)
	s_and_b32 s0, s0, 0x3ff
	s_delay_alu instid0(SALU_CYCLE_1) | instskip(NEXT) | instid1(SALU_CYCLE_1)
	s_bitset1_b32 s0, 10
	s_mov_b32 m0, s0
	s_sendmsg sendmsg(MSG_INTERRUPT)
	s_mov_b32 m0, ttmp2
.LBB6_9818:                             ; =>This Inner Loop Header: Depth=1
	s_sethalt 5
	s_branch .LBB6_9818
.LBB6_9819:
	s_trap 2
	s_sendmsg_rtn_b32 s0, sendmsg(MSG_RTN_GET_DOORBELL)
	s_mov_b32 ttmp2, m0
	s_waitcnt lgkmcnt(0)
	s_and_b32 s0, s0, 0x3ff
	s_delay_alu instid0(SALU_CYCLE_1) | instskip(NEXT) | instid1(SALU_CYCLE_1)
	s_bitset1_b32 s0, 10
	s_mov_b32 m0, s0
	s_sendmsg sendmsg(MSG_INTERRUPT)
	s_mov_b32 m0, ttmp2
.LBB6_9820:                             ; =>This Inner Loop Header: Depth=1
	s_sethalt 5
	s_branch .LBB6_9820
.LBB6_9821:
	s_trap 2
	s_sendmsg_rtn_b32 s0, sendmsg(MSG_RTN_GET_DOORBELL)
	s_mov_b32 ttmp2, m0
	s_waitcnt lgkmcnt(0)
	s_and_b32 s0, s0, 0x3ff
	s_delay_alu instid0(SALU_CYCLE_1) | instskip(NEXT) | instid1(SALU_CYCLE_1)
	s_bitset1_b32 s0, 10
	s_mov_b32 m0, s0
	s_sendmsg sendmsg(MSG_INTERRUPT)
	s_mov_b32 m0, ttmp2
.LBB6_9822:                             ; =>This Inner Loop Header: Depth=1
	s_sethalt 5
	s_branch .LBB6_9822
.LBB6_9823:
	s_trap 2
	s_sendmsg_rtn_b32 s0, sendmsg(MSG_RTN_GET_DOORBELL)
	s_mov_b32 ttmp2, m0
	s_waitcnt lgkmcnt(0)
	s_and_b32 s0, s0, 0x3ff
	s_delay_alu instid0(SALU_CYCLE_1) | instskip(NEXT) | instid1(SALU_CYCLE_1)
	s_bitset1_b32 s0, 10
	s_mov_b32 m0, s0
	s_sendmsg sendmsg(MSG_INTERRUPT)
	s_mov_b32 m0, ttmp2
.LBB6_9824:                             ; =>This Inner Loop Header: Depth=1
	s_sethalt 5
	s_branch .LBB6_9824
.LBB6_9825:
	s_trap 2
	s_sendmsg_rtn_b32 s0, sendmsg(MSG_RTN_GET_DOORBELL)
	s_mov_b32 ttmp2, m0
	s_waitcnt lgkmcnt(0)
	s_and_b32 s0, s0, 0x3ff
	s_delay_alu instid0(SALU_CYCLE_1) | instskip(NEXT) | instid1(SALU_CYCLE_1)
	s_bitset1_b32 s0, 10
	s_mov_b32 m0, s0
	s_sendmsg sendmsg(MSG_INTERRUPT)
	s_mov_b32 m0, ttmp2
.LBB6_9826:                             ; =>This Inner Loop Header: Depth=1
	s_sethalt 5
	s_branch .LBB6_9826
.LBB6_9827:
	s_trap 2
	s_sendmsg_rtn_b32 s0, sendmsg(MSG_RTN_GET_DOORBELL)
	s_mov_b32 ttmp2, m0
	s_waitcnt lgkmcnt(0)
	s_and_b32 s0, s0, 0x3ff
	s_delay_alu instid0(SALU_CYCLE_1) | instskip(NEXT) | instid1(SALU_CYCLE_1)
	s_bitset1_b32 s0, 10
	s_mov_b32 m0, s0
	s_sendmsg sendmsg(MSG_INTERRUPT)
	s_mov_b32 m0, ttmp2
.LBB6_9828:                             ; =>This Inner Loop Header: Depth=1
	s_sethalt 5
	s_branch .LBB6_9828
.LBB6_9829:
	s_trap 2
	s_sendmsg_rtn_b32 s0, sendmsg(MSG_RTN_GET_DOORBELL)
	s_mov_b32 ttmp2, m0
	s_waitcnt lgkmcnt(0)
	s_and_b32 s0, s0, 0x3ff
	s_delay_alu instid0(SALU_CYCLE_1) | instskip(NEXT) | instid1(SALU_CYCLE_1)
	s_bitset1_b32 s0, 10
	s_mov_b32 m0, s0
	s_sendmsg sendmsg(MSG_INTERRUPT)
	s_mov_b32 m0, ttmp2
.LBB6_9830:                             ; =>This Inner Loop Header: Depth=1
	s_sethalt 5
	s_branch .LBB6_9830
.LBB6_9831:
	s_trap 2
	s_sendmsg_rtn_b32 s0, sendmsg(MSG_RTN_GET_DOORBELL)
	s_mov_b32 ttmp2, m0
	s_waitcnt lgkmcnt(0)
	s_and_b32 s0, s0, 0x3ff
	s_delay_alu instid0(SALU_CYCLE_1) | instskip(NEXT) | instid1(SALU_CYCLE_1)
	s_bitset1_b32 s0, 10
	s_mov_b32 m0, s0
	s_sendmsg sendmsg(MSG_INTERRUPT)
	s_mov_b32 m0, ttmp2
.LBB6_9832:                             ; =>This Inner Loop Header: Depth=1
	s_sethalt 5
	s_branch .LBB6_9832
.LBB6_9833:
	s_trap 2
	s_sendmsg_rtn_b32 s0, sendmsg(MSG_RTN_GET_DOORBELL)
	s_mov_b32 ttmp2, m0
	s_waitcnt lgkmcnt(0)
	s_and_b32 s0, s0, 0x3ff
	s_delay_alu instid0(SALU_CYCLE_1) | instskip(NEXT) | instid1(SALU_CYCLE_1)
	s_bitset1_b32 s0, 10
	s_mov_b32 m0, s0
	s_sendmsg sendmsg(MSG_INTERRUPT)
	s_mov_b32 m0, ttmp2
.LBB6_9834:                             ; =>This Inner Loop Header: Depth=1
	s_sethalt 5
	s_branch .LBB6_9834
.LBB6_9835:
	s_trap 2
	s_sendmsg_rtn_b32 s0, sendmsg(MSG_RTN_GET_DOORBELL)
	s_mov_b32 ttmp2, m0
	s_waitcnt lgkmcnt(0)
	s_and_b32 s0, s0, 0x3ff
	s_delay_alu instid0(SALU_CYCLE_1) | instskip(NEXT) | instid1(SALU_CYCLE_1)
	s_bitset1_b32 s0, 10
	s_mov_b32 m0, s0
	s_sendmsg sendmsg(MSG_INTERRUPT)
	s_mov_b32 m0, ttmp2
.LBB6_9836:                             ; =>This Inner Loop Header: Depth=1
	s_sethalt 5
	s_branch .LBB6_9836
.LBB6_9837:
	s_trap 2
	s_sendmsg_rtn_b32 s0, sendmsg(MSG_RTN_GET_DOORBELL)
	s_mov_b32 ttmp2, m0
	s_waitcnt lgkmcnt(0)
	s_and_b32 s0, s0, 0x3ff
	s_delay_alu instid0(SALU_CYCLE_1) | instskip(NEXT) | instid1(SALU_CYCLE_1)
	s_bitset1_b32 s0, 10
	s_mov_b32 m0, s0
	s_sendmsg sendmsg(MSG_INTERRUPT)
	s_mov_b32 m0, ttmp2
.LBB6_9838:                             ; =>This Inner Loop Header: Depth=1
	s_sethalt 5
	s_branch .LBB6_9838
.LBB6_9839:
	s_trap 2
	s_sendmsg_rtn_b32 s0, sendmsg(MSG_RTN_GET_DOORBELL)
	s_mov_b32 ttmp2, m0
	s_waitcnt lgkmcnt(0)
	s_and_b32 s0, s0, 0x3ff
	s_delay_alu instid0(SALU_CYCLE_1) | instskip(NEXT) | instid1(SALU_CYCLE_1)
	s_bitset1_b32 s0, 10
	s_mov_b32 m0, s0
	s_sendmsg sendmsg(MSG_INTERRUPT)
	s_mov_b32 m0, ttmp2
.LBB6_9840:                             ; =>This Inner Loop Header: Depth=1
	s_sethalt 5
	s_branch .LBB6_9840
.LBB6_9841:
	s_trap 2
	s_sendmsg_rtn_b32 s0, sendmsg(MSG_RTN_GET_DOORBELL)
	s_mov_b32 ttmp2, m0
	s_waitcnt lgkmcnt(0)
	s_and_b32 s0, s0, 0x3ff
	s_delay_alu instid0(SALU_CYCLE_1) | instskip(NEXT) | instid1(SALU_CYCLE_1)
	s_bitset1_b32 s0, 10
	s_mov_b32 m0, s0
	s_sendmsg sendmsg(MSG_INTERRUPT)
	s_mov_b32 m0, ttmp2
.LBB6_9842:                             ; =>This Inner Loop Header: Depth=1
	s_sethalt 5
	s_branch .LBB6_9842
.LBB6_9843:
	s_trap 2
	s_sendmsg_rtn_b32 s0, sendmsg(MSG_RTN_GET_DOORBELL)
	s_mov_b32 ttmp2, m0
	s_waitcnt lgkmcnt(0)
	s_and_b32 s0, s0, 0x3ff
	s_delay_alu instid0(SALU_CYCLE_1) | instskip(NEXT) | instid1(SALU_CYCLE_1)
	s_bitset1_b32 s0, 10
	s_mov_b32 m0, s0
	s_sendmsg sendmsg(MSG_INTERRUPT)
	s_mov_b32 m0, ttmp2
.LBB6_9844:                             ; =>This Inner Loop Header: Depth=1
	s_sethalt 5
	s_branch .LBB6_9844
.LBB6_9845:
	s_trap 2
	s_sendmsg_rtn_b32 s0, sendmsg(MSG_RTN_GET_DOORBELL)
	s_mov_b32 ttmp2, m0
	s_waitcnt lgkmcnt(0)
	s_and_b32 s0, s0, 0x3ff
	s_delay_alu instid0(SALU_CYCLE_1) | instskip(NEXT) | instid1(SALU_CYCLE_1)
	s_bitset1_b32 s0, 10
	s_mov_b32 m0, s0
	s_sendmsg sendmsg(MSG_INTERRUPT)
	s_mov_b32 m0, ttmp2
.LBB6_9846:                             ; =>This Inner Loop Header: Depth=1
	s_sethalt 5
	s_branch .LBB6_9846
.LBB6_9847:
	s_trap 2
	s_sendmsg_rtn_b32 s0, sendmsg(MSG_RTN_GET_DOORBELL)
	s_mov_b32 ttmp2, m0
	s_waitcnt lgkmcnt(0)
	s_and_b32 s0, s0, 0x3ff
	s_delay_alu instid0(SALU_CYCLE_1) | instskip(NEXT) | instid1(SALU_CYCLE_1)
	s_bitset1_b32 s0, 10
	s_mov_b32 m0, s0
	s_sendmsg sendmsg(MSG_INTERRUPT)
	s_mov_b32 m0, ttmp2
.LBB6_9848:                             ; =>This Inner Loop Header: Depth=1
	s_sethalt 5
	s_branch .LBB6_9848
.LBB6_9849:
	s_trap 2
	s_sendmsg_rtn_b32 s0, sendmsg(MSG_RTN_GET_DOORBELL)
	s_mov_b32 ttmp2, m0
	s_waitcnt lgkmcnt(0)
	s_and_b32 s0, s0, 0x3ff
	s_delay_alu instid0(SALU_CYCLE_1) | instskip(NEXT) | instid1(SALU_CYCLE_1)
	s_bitset1_b32 s0, 10
	s_mov_b32 m0, s0
	s_sendmsg sendmsg(MSG_INTERRUPT)
	s_mov_b32 m0, ttmp2
.LBB6_9850:                             ; =>This Inner Loop Header: Depth=1
	s_sethalt 5
	s_branch .LBB6_9850
.LBB6_9851:
	s_trap 2
	s_sendmsg_rtn_b32 s0, sendmsg(MSG_RTN_GET_DOORBELL)
	s_mov_b32 ttmp2, m0
	s_waitcnt lgkmcnt(0)
	s_and_b32 s0, s0, 0x3ff
	s_delay_alu instid0(SALU_CYCLE_1) | instskip(NEXT) | instid1(SALU_CYCLE_1)
	s_bitset1_b32 s0, 10
	s_mov_b32 m0, s0
	s_sendmsg sendmsg(MSG_INTERRUPT)
	s_mov_b32 m0, ttmp2
.LBB6_9852:                             ; =>This Inner Loop Header: Depth=1
	s_sethalt 5
	s_branch .LBB6_9852
.LBB6_9853:
	s_trap 2
	s_sendmsg_rtn_b32 s0, sendmsg(MSG_RTN_GET_DOORBELL)
	s_mov_b32 ttmp2, m0
	s_waitcnt lgkmcnt(0)
	s_and_b32 s0, s0, 0x3ff
	s_delay_alu instid0(SALU_CYCLE_1) | instskip(NEXT) | instid1(SALU_CYCLE_1)
	s_bitset1_b32 s0, 10
	s_mov_b32 m0, s0
	s_sendmsg sendmsg(MSG_INTERRUPT)
	s_mov_b32 m0, ttmp2
.LBB6_9854:                             ; =>This Inner Loop Header: Depth=1
	s_sethalt 5
	s_branch .LBB6_9854
.LBB6_9855:
	s_trap 2
	s_sendmsg_rtn_b32 s0, sendmsg(MSG_RTN_GET_DOORBELL)
	s_mov_b32 ttmp2, m0
	s_waitcnt lgkmcnt(0)
	s_and_b32 s0, s0, 0x3ff
	s_delay_alu instid0(SALU_CYCLE_1) | instskip(NEXT) | instid1(SALU_CYCLE_1)
	s_bitset1_b32 s0, 10
	s_mov_b32 m0, s0
	s_sendmsg sendmsg(MSG_INTERRUPT)
	s_mov_b32 m0, ttmp2
.LBB6_9856:                             ; =>This Inner Loop Header: Depth=1
	s_sethalt 5
	s_branch .LBB6_9856
.LBB6_9857:
	s_trap 2
	s_sendmsg_rtn_b32 s0, sendmsg(MSG_RTN_GET_DOORBELL)
	s_mov_b32 ttmp2, m0
	s_waitcnt lgkmcnt(0)
	s_and_b32 s0, s0, 0x3ff
	s_delay_alu instid0(SALU_CYCLE_1) | instskip(NEXT) | instid1(SALU_CYCLE_1)
	s_bitset1_b32 s0, 10
	s_mov_b32 m0, s0
	s_sendmsg sendmsg(MSG_INTERRUPT)
	s_mov_b32 m0, ttmp2
.LBB6_9858:                             ; =>This Inner Loop Header: Depth=1
	s_sethalt 5
	s_branch .LBB6_9858
.LBB6_9859:
	s_trap 2
	s_sendmsg_rtn_b32 s0, sendmsg(MSG_RTN_GET_DOORBELL)
	s_mov_b32 ttmp2, m0
	s_waitcnt lgkmcnt(0)
	s_and_b32 s0, s0, 0x3ff
	s_delay_alu instid0(SALU_CYCLE_1) | instskip(NEXT) | instid1(SALU_CYCLE_1)
	s_bitset1_b32 s0, 10
	s_mov_b32 m0, s0
	s_sendmsg sendmsg(MSG_INTERRUPT)
	s_mov_b32 m0, ttmp2
.LBB6_9860:                             ; =>This Inner Loop Header: Depth=1
	s_sethalt 5
	s_branch .LBB6_9860
.LBB6_9861:
	s_trap 2
	s_sendmsg_rtn_b32 s0, sendmsg(MSG_RTN_GET_DOORBELL)
	s_mov_b32 ttmp2, m0
	s_waitcnt lgkmcnt(0)
	s_and_b32 s0, s0, 0x3ff
	s_delay_alu instid0(SALU_CYCLE_1) | instskip(NEXT) | instid1(SALU_CYCLE_1)
	s_bitset1_b32 s0, 10
	s_mov_b32 m0, s0
	s_sendmsg sendmsg(MSG_INTERRUPT)
	s_mov_b32 m0, ttmp2
.LBB6_9862:                             ; =>This Inner Loop Header: Depth=1
	s_sethalt 5
	s_branch .LBB6_9862
.LBB6_9863:
	s_trap 2
	s_sendmsg_rtn_b32 s0, sendmsg(MSG_RTN_GET_DOORBELL)
	s_mov_b32 ttmp2, m0
	s_waitcnt lgkmcnt(0)
	s_and_b32 s0, s0, 0x3ff
	s_delay_alu instid0(SALU_CYCLE_1) | instskip(NEXT) | instid1(SALU_CYCLE_1)
	s_bitset1_b32 s0, 10
	s_mov_b32 m0, s0
	s_sendmsg sendmsg(MSG_INTERRUPT)
	s_mov_b32 m0, ttmp2
.LBB6_9864:                             ; =>This Inner Loop Header: Depth=1
	s_sethalt 5
	s_branch .LBB6_9864
.LBB6_9865:
	s_trap 2
	s_sendmsg_rtn_b32 s0, sendmsg(MSG_RTN_GET_DOORBELL)
	s_mov_b32 ttmp2, m0
	s_waitcnt lgkmcnt(0)
	s_and_b32 s0, s0, 0x3ff
	s_delay_alu instid0(SALU_CYCLE_1) | instskip(NEXT) | instid1(SALU_CYCLE_1)
	s_bitset1_b32 s0, 10
	s_mov_b32 m0, s0
	s_sendmsg sendmsg(MSG_INTERRUPT)
	s_mov_b32 m0, ttmp2
.LBB6_9866:                             ; =>This Inner Loop Header: Depth=1
	s_sethalt 5
	s_branch .LBB6_9866
.LBB6_9867:
	s_trap 2
	s_sendmsg_rtn_b32 s0, sendmsg(MSG_RTN_GET_DOORBELL)
	s_mov_b32 ttmp2, m0
	s_waitcnt lgkmcnt(0)
	s_and_b32 s0, s0, 0x3ff
	s_delay_alu instid0(SALU_CYCLE_1) | instskip(NEXT) | instid1(SALU_CYCLE_1)
	s_bitset1_b32 s0, 10
	s_mov_b32 m0, s0
	s_sendmsg sendmsg(MSG_INTERRUPT)
	s_mov_b32 m0, ttmp2
.LBB6_9868:                             ; =>This Inner Loop Header: Depth=1
	s_sethalt 5
	s_branch .LBB6_9868
.LBB6_9869:
	s_trap 2
	s_sendmsg_rtn_b32 s0, sendmsg(MSG_RTN_GET_DOORBELL)
	s_mov_b32 ttmp2, m0
	s_waitcnt lgkmcnt(0)
	s_and_b32 s0, s0, 0x3ff
	s_delay_alu instid0(SALU_CYCLE_1) | instskip(NEXT) | instid1(SALU_CYCLE_1)
	s_bitset1_b32 s0, 10
	s_mov_b32 m0, s0
	s_sendmsg sendmsg(MSG_INTERRUPT)
	s_mov_b32 m0, ttmp2
.LBB6_9870:                             ; =>This Inner Loop Header: Depth=1
	s_sethalt 5
	s_branch .LBB6_9870
.LBB6_9871:
	s_trap 2
	s_sendmsg_rtn_b32 s0, sendmsg(MSG_RTN_GET_DOORBELL)
	s_mov_b32 ttmp2, m0
	s_waitcnt lgkmcnt(0)
	s_and_b32 s0, s0, 0x3ff
	s_delay_alu instid0(SALU_CYCLE_1) | instskip(NEXT) | instid1(SALU_CYCLE_1)
	s_bitset1_b32 s0, 10
	s_mov_b32 m0, s0
	s_sendmsg sendmsg(MSG_INTERRUPT)
	s_mov_b32 m0, ttmp2
.LBB6_9872:                             ; =>This Inner Loop Header: Depth=1
	s_sethalt 5
	s_branch .LBB6_9872
.LBB6_9873:
	s_trap 2
	s_sendmsg_rtn_b32 s0, sendmsg(MSG_RTN_GET_DOORBELL)
	s_mov_b32 ttmp2, m0
	s_waitcnt lgkmcnt(0)
	s_and_b32 s0, s0, 0x3ff
	s_delay_alu instid0(SALU_CYCLE_1) | instskip(NEXT) | instid1(SALU_CYCLE_1)
	s_bitset1_b32 s0, 10
	s_mov_b32 m0, s0
	s_sendmsg sendmsg(MSG_INTERRUPT)
	s_mov_b32 m0, ttmp2
.LBB6_9874:                             ; =>This Inner Loop Header: Depth=1
	s_sethalt 5
	s_branch .LBB6_9874
.LBB6_9875:
	s_trap 2
	s_sendmsg_rtn_b32 s0, sendmsg(MSG_RTN_GET_DOORBELL)
	s_mov_b32 ttmp2, m0
	s_waitcnt lgkmcnt(0)
	s_and_b32 s0, s0, 0x3ff
	s_delay_alu instid0(SALU_CYCLE_1) | instskip(NEXT) | instid1(SALU_CYCLE_1)
	s_bitset1_b32 s0, 10
	s_mov_b32 m0, s0
	s_sendmsg sendmsg(MSG_INTERRUPT)
	s_mov_b32 m0, ttmp2
.LBB6_9876:                             ; =>This Inner Loop Header: Depth=1
	s_sethalt 5
	s_branch .LBB6_9876
.LBB6_9877:
	s_trap 2
	s_sendmsg_rtn_b32 s0, sendmsg(MSG_RTN_GET_DOORBELL)
	s_mov_b32 ttmp2, m0
	s_waitcnt lgkmcnt(0)
	s_and_b32 s0, s0, 0x3ff
	s_delay_alu instid0(SALU_CYCLE_1) | instskip(NEXT) | instid1(SALU_CYCLE_1)
	s_bitset1_b32 s0, 10
	s_mov_b32 m0, s0
	s_sendmsg sendmsg(MSG_INTERRUPT)
	s_mov_b32 m0, ttmp2
.LBB6_9878:                             ; =>This Inner Loop Header: Depth=1
	s_sethalt 5
	s_branch .LBB6_9878
.LBB6_9879:
	s_trap 2
	s_sendmsg_rtn_b32 s0, sendmsg(MSG_RTN_GET_DOORBELL)
	s_mov_b32 ttmp2, m0
	s_waitcnt lgkmcnt(0)
	s_and_b32 s0, s0, 0x3ff
	s_delay_alu instid0(SALU_CYCLE_1) | instskip(NEXT) | instid1(SALU_CYCLE_1)
	s_bitset1_b32 s0, 10
	s_mov_b32 m0, s0
	s_sendmsg sendmsg(MSG_INTERRUPT)
	s_mov_b32 m0, ttmp2
.LBB6_9880:                             ; =>This Inner Loop Header: Depth=1
	s_sethalt 5
	s_branch .LBB6_9880
.LBB6_9881:
	s_trap 2
	s_sendmsg_rtn_b32 s0, sendmsg(MSG_RTN_GET_DOORBELL)
	s_mov_b32 ttmp2, m0
	s_waitcnt lgkmcnt(0)
	s_and_b32 s0, s0, 0x3ff
	s_delay_alu instid0(SALU_CYCLE_1) | instskip(NEXT) | instid1(SALU_CYCLE_1)
	s_bitset1_b32 s0, 10
	s_mov_b32 m0, s0
	s_sendmsg sendmsg(MSG_INTERRUPT)
	s_mov_b32 m0, ttmp2
.LBB6_9882:                             ; =>This Inner Loop Header: Depth=1
	s_sethalt 5
	s_branch .LBB6_9882
.LBB6_9883:
	s_trap 2
	s_sendmsg_rtn_b32 s0, sendmsg(MSG_RTN_GET_DOORBELL)
	s_mov_b32 ttmp2, m0
	s_waitcnt lgkmcnt(0)
	s_and_b32 s0, s0, 0x3ff
	s_delay_alu instid0(SALU_CYCLE_1) | instskip(NEXT) | instid1(SALU_CYCLE_1)
	s_bitset1_b32 s0, 10
	s_mov_b32 m0, s0
	s_sendmsg sendmsg(MSG_INTERRUPT)
	s_mov_b32 m0, ttmp2
.LBB6_9884:                             ; =>This Inner Loop Header: Depth=1
	s_sethalt 5
	s_branch .LBB6_9884
.LBB6_9885:
	s_trap 2
	s_sendmsg_rtn_b32 s0, sendmsg(MSG_RTN_GET_DOORBELL)
	s_mov_b32 ttmp2, m0
	s_waitcnt lgkmcnt(0)
	s_and_b32 s0, s0, 0x3ff
	s_delay_alu instid0(SALU_CYCLE_1) | instskip(NEXT) | instid1(SALU_CYCLE_1)
	s_bitset1_b32 s0, 10
	s_mov_b32 m0, s0
	s_sendmsg sendmsg(MSG_INTERRUPT)
	s_mov_b32 m0, ttmp2
.LBB6_9886:                             ; =>This Inner Loop Header: Depth=1
	s_sethalt 5
	s_branch .LBB6_9886
.LBB6_9887:
	s_trap 2
	s_sendmsg_rtn_b32 s0, sendmsg(MSG_RTN_GET_DOORBELL)
	s_mov_b32 ttmp2, m0
	s_waitcnt lgkmcnt(0)
	s_and_b32 s0, s0, 0x3ff
	s_delay_alu instid0(SALU_CYCLE_1) | instskip(NEXT) | instid1(SALU_CYCLE_1)
	s_bitset1_b32 s0, 10
	s_mov_b32 m0, s0
	s_sendmsg sendmsg(MSG_INTERRUPT)
	s_mov_b32 m0, ttmp2
.LBB6_9888:                             ; =>This Inner Loop Header: Depth=1
	s_sethalt 5
	s_branch .LBB6_9888
.LBB6_9889:
	s_trap 2
	s_sendmsg_rtn_b32 s0, sendmsg(MSG_RTN_GET_DOORBELL)
	s_mov_b32 ttmp2, m0
	s_waitcnt lgkmcnt(0)
	s_and_b32 s0, s0, 0x3ff
	s_delay_alu instid0(SALU_CYCLE_1) | instskip(NEXT) | instid1(SALU_CYCLE_1)
	s_bitset1_b32 s0, 10
	s_mov_b32 m0, s0
	s_sendmsg sendmsg(MSG_INTERRUPT)
	s_mov_b32 m0, ttmp2
.LBB6_9890:                             ; =>This Inner Loop Header: Depth=1
	s_sethalt 5
	s_branch .LBB6_9890
.LBB6_9891:
	s_trap 2
	s_sendmsg_rtn_b32 s0, sendmsg(MSG_RTN_GET_DOORBELL)
	s_mov_b32 ttmp2, m0
	s_waitcnt lgkmcnt(0)
	s_and_b32 s0, s0, 0x3ff
	s_delay_alu instid0(SALU_CYCLE_1) | instskip(NEXT) | instid1(SALU_CYCLE_1)
	s_bitset1_b32 s0, 10
	s_mov_b32 m0, s0
	s_sendmsg sendmsg(MSG_INTERRUPT)
	s_mov_b32 m0, ttmp2
.LBB6_9892:                             ; =>This Inner Loop Header: Depth=1
	s_sethalt 5
	s_branch .LBB6_9892
.LBB6_9893:
	s_trap 2
	s_sendmsg_rtn_b32 s0, sendmsg(MSG_RTN_GET_DOORBELL)
	s_mov_b32 ttmp2, m0
	s_waitcnt lgkmcnt(0)
	s_and_b32 s0, s0, 0x3ff
	s_delay_alu instid0(SALU_CYCLE_1) | instskip(NEXT) | instid1(SALU_CYCLE_1)
	s_bitset1_b32 s0, 10
	s_mov_b32 m0, s0
	s_sendmsg sendmsg(MSG_INTERRUPT)
	s_mov_b32 m0, ttmp2
.LBB6_9894:                             ; =>This Inner Loop Header: Depth=1
	s_sethalt 5
	s_branch .LBB6_9894
.LBB6_9895:
	s_trap 2
	s_sendmsg_rtn_b32 s0, sendmsg(MSG_RTN_GET_DOORBELL)
	s_mov_b32 ttmp2, m0
	s_waitcnt lgkmcnt(0)
	s_and_b32 s0, s0, 0x3ff
	s_delay_alu instid0(SALU_CYCLE_1) | instskip(NEXT) | instid1(SALU_CYCLE_1)
	s_bitset1_b32 s0, 10
	s_mov_b32 m0, s0
	s_sendmsg sendmsg(MSG_INTERRUPT)
	s_mov_b32 m0, ttmp2
.LBB6_9896:                             ; =>This Inner Loop Header: Depth=1
	s_sethalt 5
	s_branch .LBB6_9896
.LBB6_9897:
	s_trap 2
	s_sendmsg_rtn_b32 s0, sendmsg(MSG_RTN_GET_DOORBELL)
	s_mov_b32 ttmp2, m0
	s_waitcnt lgkmcnt(0)
	s_and_b32 s0, s0, 0x3ff
	s_delay_alu instid0(SALU_CYCLE_1) | instskip(NEXT) | instid1(SALU_CYCLE_1)
	s_bitset1_b32 s0, 10
	s_mov_b32 m0, s0
	s_sendmsg sendmsg(MSG_INTERRUPT)
	s_mov_b32 m0, ttmp2
.LBB6_9898:                             ; =>This Inner Loop Header: Depth=1
	s_sethalt 5
	s_branch .LBB6_9898
.LBB6_9899:
	s_trap 2
	s_sendmsg_rtn_b32 s0, sendmsg(MSG_RTN_GET_DOORBELL)
	s_mov_b32 ttmp2, m0
	s_waitcnt lgkmcnt(0)
	s_and_b32 s0, s0, 0x3ff
	s_delay_alu instid0(SALU_CYCLE_1) | instskip(NEXT) | instid1(SALU_CYCLE_1)
	s_bitset1_b32 s0, 10
	s_mov_b32 m0, s0
	s_sendmsg sendmsg(MSG_INTERRUPT)
	s_mov_b32 m0, ttmp2
.LBB6_9900:                             ; =>This Inner Loop Header: Depth=1
	s_sethalt 5
	s_branch .LBB6_9900
.LBB6_9901:
	s_trap 2
	s_sendmsg_rtn_b32 s0, sendmsg(MSG_RTN_GET_DOORBELL)
	s_mov_b32 ttmp2, m0
	s_waitcnt lgkmcnt(0)
	s_and_b32 s0, s0, 0x3ff
	s_delay_alu instid0(SALU_CYCLE_1) | instskip(NEXT) | instid1(SALU_CYCLE_1)
	s_bitset1_b32 s0, 10
	s_mov_b32 m0, s0
	s_sendmsg sendmsg(MSG_INTERRUPT)
	s_mov_b32 m0, ttmp2
.LBB6_9902:                             ; =>This Inner Loop Header: Depth=1
	s_sethalt 5
	s_branch .LBB6_9902
.LBB6_9903:
	s_trap 2
	s_sendmsg_rtn_b32 s0, sendmsg(MSG_RTN_GET_DOORBELL)
	s_mov_b32 ttmp2, m0
	s_waitcnt lgkmcnt(0)
	s_and_b32 s0, s0, 0x3ff
	s_delay_alu instid0(SALU_CYCLE_1) | instskip(NEXT) | instid1(SALU_CYCLE_1)
	s_bitset1_b32 s0, 10
	s_mov_b32 m0, s0
	s_sendmsg sendmsg(MSG_INTERRUPT)
	s_mov_b32 m0, ttmp2
.LBB6_9904:                             ; =>This Inner Loop Header: Depth=1
	s_sethalt 5
	s_branch .LBB6_9904
.LBB6_9905:
	s_trap 2
	s_sendmsg_rtn_b32 s0, sendmsg(MSG_RTN_GET_DOORBELL)
	s_mov_b32 ttmp2, m0
	s_waitcnt lgkmcnt(0)
	s_and_b32 s0, s0, 0x3ff
	s_delay_alu instid0(SALU_CYCLE_1) | instskip(NEXT) | instid1(SALU_CYCLE_1)
	s_bitset1_b32 s0, 10
	s_mov_b32 m0, s0
	s_sendmsg sendmsg(MSG_INTERRUPT)
	s_mov_b32 m0, ttmp2
.LBB6_9906:                             ; =>This Inner Loop Header: Depth=1
	s_sethalt 5
	s_branch .LBB6_9906
.LBB6_9907:
	s_trap 2
	s_sendmsg_rtn_b32 s0, sendmsg(MSG_RTN_GET_DOORBELL)
	s_mov_b32 ttmp2, m0
	s_waitcnt lgkmcnt(0)
	s_and_b32 s0, s0, 0x3ff
	s_delay_alu instid0(SALU_CYCLE_1) | instskip(NEXT) | instid1(SALU_CYCLE_1)
	s_bitset1_b32 s0, 10
	s_mov_b32 m0, s0
	s_sendmsg sendmsg(MSG_INTERRUPT)
	s_mov_b32 m0, ttmp2
.LBB6_9908:                             ; =>This Inner Loop Header: Depth=1
	s_sethalt 5
	s_branch .LBB6_9908
.LBB6_9909:
	s_trap 2
	s_sendmsg_rtn_b32 s0, sendmsg(MSG_RTN_GET_DOORBELL)
	s_mov_b32 ttmp2, m0
	s_waitcnt lgkmcnt(0)
	s_and_b32 s0, s0, 0x3ff
	s_delay_alu instid0(SALU_CYCLE_1) | instskip(NEXT) | instid1(SALU_CYCLE_1)
	s_bitset1_b32 s0, 10
	s_mov_b32 m0, s0
	s_sendmsg sendmsg(MSG_INTERRUPT)
	s_mov_b32 m0, ttmp2
.LBB6_9910:                             ; =>This Inner Loop Header: Depth=1
	s_sethalt 5
	s_branch .LBB6_9910
.LBB6_9911:
	s_trap 2
	s_sendmsg_rtn_b32 s0, sendmsg(MSG_RTN_GET_DOORBELL)
	s_mov_b32 ttmp2, m0
	s_waitcnt lgkmcnt(0)
	s_and_b32 s0, s0, 0x3ff
	s_delay_alu instid0(SALU_CYCLE_1) | instskip(NEXT) | instid1(SALU_CYCLE_1)
	s_bitset1_b32 s0, 10
	s_mov_b32 m0, s0
	s_sendmsg sendmsg(MSG_INTERRUPT)
	s_mov_b32 m0, ttmp2
.LBB6_9912:                             ; =>This Inner Loop Header: Depth=1
	s_sethalt 5
	s_branch .LBB6_9912
.LBB6_9913:
	s_trap 2
	s_sendmsg_rtn_b32 s0, sendmsg(MSG_RTN_GET_DOORBELL)
	s_mov_b32 ttmp2, m0
	s_waitcnt lgkmcnt(0)
	s_and_b32 s0, s0, 0x3ff
	s_delay_alu instid0(SALU_CYCLE_1) | instskip(NEXT) | instid1(SALU_CYCLE_1)
	s_bitset1_b32 s0, 10
	s_mov_b32 m0, s0
	s_sendmsg sendmsg(MSG_INTERRUPT)
	s_mov_b32 m0, ttmp2
.LBB6_9914:                             ; =>This Inner Loop Header: Depth=1
	s_sethalt 5
	s_branch .LBB6_9914
.LBB6_9915:
	s_trap 2
	s_sendmsg_rtn_b32 s0, sendmsg(MSG_RTN_GET_DOORBELL)
	s_mov_b32 ttmp2, m0
	s_waitcnt lgkmcnt(0)
	s_and_b32 s0, s0, 0x3ff
	s_delay_alu instid0(SALU_CYCLE_1) | instskip(NEXT) | instid1(SALU_CYCLE_1)
	s_bitset1_b32 s0, 10
	s_mov_b32 m0, s0
	s_sendmsg sendmsg(MSG_INTERRUPT)
	s_mov_b32 m0, ttmp2
.LBB6_9916:                             ; =>This Inner Loop Header: Depth=1
	s_sethalt 5
	s_branch .LBB6_9916
.LBB6_9917:
	s_trap 2
	s_sendmsg_rtn_b32 s0, sendmsg(MSG_RTN_GET_DOORBELL)
	s_mov_b32 ttmp2, m0
	s_waitcnt lgkmcnt(0)
	s_and_b32 s0, s0, 0x3ff
	s_delay_alu instid0(SALU_CYCLE_1) | instskip(NEXT) | instid1(SALU_CYCLE_1)
	s_bitset1_b32 s0, 10
	s_mov_b32 m0, s0
	s_sendmsg sendmsg(MSG_INTERRUPT)
	s_mov_b32 m0, ttmp2
.LBB6_9918:                             ; =>This Inner Loop Header: Depth=1
	s_sethalt 5
	s_branch .LBB6_9918
.LBB6_9919:
	s_trap 2
	s_sendmsg_rtn_b32 s0, sendmsg(MSG_RTN_GET_DOORBELL)
	s_mov_b32 ttmp2, m0
	s_waitcnt lgkmcnt(0)
	s_and_b32 s0, s0, 0x3ff
	s_delay_alu instid0(SALU_CYCLE_1) | instskip(NEXT) | instid1(SALU_CYCLE_1)
	s_bitset1_b32 s0, 10
	s_mov_b32 m0, s0
	s_sendmsg sendmsg(MSG_INTERRUPT)
	s_mov_b32 m0, ttmp2
.LBB6_9920:                             ; =>This Inner Loop Header: Depth=1
	s_sethalt 5
	s_branch .LBB6_9920
.LBB6_9921:
	s_trap 2
	s_sendmsg_rtn_b32 s0, sendmsg(MSG_RTN_GET_DOORBELL)
	s_mov_b32 ttmp2, m0
	s_waitcnt lgkmcnt(0)
	s_and_b32 s0, s0, 0x3ff
	s_delay_alu instid0(SALU_CYCLE_1) | instskip(NEXT) | instid1(SALU_CYCLE_1)
	s_bitset1_b32 s0, 10
	s_mov_b32 m0, s0
	s_sendmsg sendmsg(MSG_INTERRUPT)
	s_mov_b32 m0, ttmp2
.LBB6_9922:                             ; =>This Inner Loop Header: Depth=1
	s_sethalt 5
	s_branch .LBB6_9922
.LBB6_9923:
	s_trap 2
	s_sendmsg_rtn_b32 s0, sendmsg(MSG_RTN_GET_DOORBELL)
	s_mov_b32 ttmp2, m0
	s_waitcnt lgkmcnt(0)
	s_and_b32 s0, s0, 0x3ff
	s_delay_alu instid0(SALU_CYCLE_1) | instskip(NEXT) | instid1(SALU_CYCLE_1)
	s_bitset1_b32 s0, 10
	s_mov_b32 m0, s0
	s_sendmsg sendmsg(MSG_INTERRUPT)
	s_mov_b32 m0, ttmp2
.LBB6_9924:                             ; =>This Inner Loop Header: Depth=1
	s_sethalt 5
	s_branch .LBB6_9924
.LBB6_9925:
	s_trap 2
	s_sendmsg_rtn_b32 s0, sendmsg(MSG_RTN_GET_DOORBELL)
	s_mov_b32 ttmp2, m0
	s_waitcnt lgkmcnt(0)
	s_and_b32 s0, s0, 0x3ff
	s_delay_alu instid0(SALU_CYCLE_1) | instskip(NEXT) | instid1(SALU_CYCLE_1)
	s_bitset1_b32 s0, 10
	s_mov_b32 m0, s0
	s_sendmsg sendmsg(MSG_INTERRUPT)
	s_mov_b32 m0, ttmp2
.LBB6_9926:                             ; =>This Inner Loop Header: Depth=1
	s_sethalt 5
	s_branch .LBB6_9926
.LBB6_9927:
	s_trap 2
	s_sendmsg_rtn_b32 s0, sendmsg(MSG_RTN_GET_DOORBELL)
	s_mov_b32 ttmp2, m0
	s_waitcnt lgkmcnt(0)
	s_and_b32 s0, s0, 0x3ff
	s_delay_alu instid0(SALU_CYCLE_1) | instskip(NEXT) | instid1(SALU_CYCLE_1)
	s_bitset1_b32 s0, 10
	s_mov_b32 m0, s0
	s_sendmsg sendmsg(MSG_INTERRUPT)
	s_mov_b32 m0, ttmp2
.LBB6_9928:                             ; =>This Inner Loop Header: Depth=1
	s_sethalt 5
	s_branch .LBB6_9928
.LBB6_9929:
	s_trap 2
	s_sendmsg_rtn_b32 s0, sendmsg(MSG_RTN_GET_DOORBELL)
	s_mov_b32 ttmp2, m0
	s_waitcnt lgkmcnt(0)
	s_and_b32 s0, s0, 0x3ff
	s_delay_alu instid0(SALU_CYCLE_1) | instskip(NEXT) | instid1(SALU_CYCLE_1)
	s_bitset1_b32 s0, 10
	s_mov_b32 m0, s0
	s_sendmsg sendmsg(MSG_INTERRUPT)
	s_mov_b32 m0, ttmp2
.LBB6_9930:                             ; =>This Inner Loop Header: Depth=1
	s_sethalt 5
	s_branch .LBB6_9930
.LBB6_9931:
	s_trap 2
	s_sendmsg_rtn_b32 s0, sendmsg(MSG_RTN_GET_DOORBELL)
	s_mov_b32 ttmp2, m0
	s_waitcnt lgkmcnt(0)
	s_and_b32 s0, s0, 0x3ff
	s_delay_alu instid0(SALU_CYCLE_1) | instskip(NEXT) | instid1(SALU_CYCLE_1)
	s_bitset1_b32 s0, 10
	s_mov_b32 m0, s0
	s_sendmsg sendmsg(MSG_INTERRUPT)
	s_mov_b32 m0, ttmp2
.LBB6_9932:                             ; =>This Inner Loop Header: Depth=1
	s_sethalt 5
	s_branch .LBB6_9932
.LBB6_9933:
	s_trap 2
	s_sendmsg_rtn_b32 s0, sendmsg(MSG_RTN_GET_DOORBELL)
	s_mov_b32 ttmp2, m0
	s_waitcnt lgkmcnt(0)
	s_and_b32 s0, s0, 0x3ff
	s_delay_alu instid0(SALU_CYCLE_1) | instskip(NEXT) | instid1(SALU_CYCLE_1)
	s_bitset1_b32 s0, 10
	s_mov_b32 m0, s0
	s_sendmsg sendmsg(MSG_INTERRUPT)
	s_mov_b32 m0, ttmp2
.LBB6_9934:                             ; =>This Inner Loop Header: Depth=1
	s_sethalt 5
	s_branch .LBB6_9934
.LBB6_9935:
	s_trap 2
	s_sendmsg_rtn_b32 s0, sendmsg(MSG_RTN_GET_DOORBELL)
	s_mov_b32 ttmp2, m0
	s_waitcnt lgkmcnt(0)
	s_and_b32 s0, s0, 0x3ff
	s_delay_alu instid0(SALU_CYCLE_1) | instskip(NEXT) | instid1(SALU_CYCLE_1)
	s_bitset1_b32 s0, 10
	s_mov_b32 m0, s0
	s_sendmsg sendmsg(MSG_INTERRUPT)
	s_mov_b32 m0, ttmp2
.LBB6_9936:                             ; =>This Inner Loop Header: Depth=1
	s_sethalt 5
	s_branch .LBB6_9936
.LBB6_9937:
	s_trap 2
	s_sendmsg_rtn_b32 s0, sendmsg(MSG_RTN_GET_DOORBELL)
	s_mov_b32 ttmp2, m0
	s_waitcnt lgkmcnt(0)
	s_and_b32 s0, s0, 0x3ff
	s_delay_alu instid0(SALU_CYCLE_1) | instskip(NEXT) | instid1(SALU_CYCLE_1)
	s_bitset1_b32 s0, 10
	s_mov_b32 m0, s0
	s_sendmsg sendmsg(MSG_INTERRUPT)
	s_mov_b32 m0, ttmp2
.LBB6_9938:                             ; =>This Inner Loop Header: Depth=1
	s_sethalt 5
	s_branch .LBB6_9938
.LBB6_9939:
	s_trap 2
	s_sendmsg_rtn_b32 s0, sendmsg(MSG_RTN_GET_DOORBELL)
	s_mov_b32 ttmp2, m0
	s_waitcnt lgkmcnt(0)
	s_and_b32 s0, s0, 0x3ff
	s_delay_alu instid0(SALU_CYCLE_1) | instskip(NEXT) | instid1(SALU_CYCLE_1)
	s_bitset1_b32 s0, 10
	s_mov_b32 m0, s0
	s_sendmsg sendmsg(MSG_INTERRUPT)
	s_mov_b32 m0, ttmp2
.LBB6_9940:                             ; =>This Inner Loop Header: Depth=1
	s_sethalt 5
	s_branch .LBB6_9940
.LBB6_9941:
	s_trap 2
	s_sendmsg_rtn_b32 s0, sendmsg(MSG_RTN_GET_DOORBELL)
	s_mov_b32 ttmp2, m0
	s_waitcnt lgkmcnt(0)
	s_and_b32 s0, s0, 0x3ff
	s_delay_alu instid0(SALU_CYCLE_1) | instskip(NEXT) | instid1(SALU_CYCLE_1)
	s_bitset1_b32 s0, 10
	s_mov_b32 m0, s0
	s_sendmsg sendmsg(MSG_INTERRUPT)
	s_mov_b32 m0, ttmp2
.LBB6_9942:                             ; =>This Inner Loop Header: Depth=1
	s_sethalt 5
	s_branch .LBB6_9942
.LBB6_9943:
	s_trap 2
	s_sendmsg_rtn_b32 s0, sendmsg(MSG_RTN_GET_DOORBELL)
	s_mov_b32 ttmp2, m0
	s_waitcnt lgkmcnt(0)
	s_and_b32 s0, s0, 0x3ff
	s_delay_alu instid0(SALU_CYCLE_1) | instskip(NEXT) | instid1(SALU_CYCLE_1)
	s_bitset1_b32 s0, 10
	s_mov_b32 m0, s0
	s_sendmsg sendmsg(MSG_INTERRUPT)
	s_mov_b32 m0, ttmp2
.LBB6_9944:                             ; =>This Inner Loop Header: Depth=1
	s_sethalt 5
	s_branch .LBB6_9944
.LBB6_9945:
	s_trap 2
	s_sendmsg_rtn_b32 s0, sendmsg(MSG_RTN_GET_DOORBELL)
	s_mov_b32 ttmp2, m0
	s_waitcnt lgkmcnt(0)
	s_and_b32 s0, s0, 0x3ff
	s_delay_alu instid0(SALU_CYCLE_1) | instskip(NEXT) | instid1(SALU_CYCLE_1)
	s_bitset1_b32 s0, 10
	s_mov_b32 m0, s0
	s_sendmsg sendmsg(MSG_INTERRUPT)
	s_mov_b32 m0, ttmp2
.LBB6_9946:                             ; =>This Inner Loop Header: Depth=1
	s_sethalt 5
	s_branch .LBB6_9946
.LBB6_9947:
	s_trap 2
	s_sendmsg_rtn_b32 s0, sendmsg(MSG_RTN_GET_DOORBELL)
	s_mov_b32 ttmp2, m0
	s_waitcnt lgkmcnt(0)
	s_and_b32 s0, s0, 0x3ff
	s_delay_alu instid0(SALU_CYCLE_1) | instskip(NEXT) | instid1(SALU_CYCLE_1)
	s_bitset1_b32 s0, 10
	s_mov_b32 m0, s0
	s_sendmsg sendmsg(MSG_INTERRUPT)
	s_mov_b32 m0, ttmp2
.LBB6_9948:                             ; =>This Inner Loop Header: Depth=1
	s_sethalt 5
	s_branch .LBB6_9948
.LBB6_9949:
	s_trap 2
	s_sendmsg_rtn_b32 s0, sendmsg(MSG_RTN_GET_DOORBELL)
	s_mov_b32 ttmp2, m0
	s_waitcnt lgkmcnt(0)
	s_and_b32 s0, s0, 0x3ff
	s_delay_alu instid0(SALU_CYCLE_1) | instskip(NEXT) | instid1(SALU_CYCLE_1)
	s_bitset1_b32 s0, 10
	s_mov_b32 m0, s0
	s_sendmsg sendmsg(MSG_INTERRUPT)
	s_mov_b32 m0, ttmp2
.LBB6_9950:                             ; =>This Inner Loop Header: Depth=1
	s_sethalt 5
	s_branch .LBB6_9950
.LBB6_9951:
	s_trap 2
	s_sendmsg_rtn_b32 s0, sendmsg(MSG_RTN_GET_DOORBELL)
	s_mov_b32 ttmp2, m0
	s_waitcnt lgkmcnt(0)
	s_and_b32 s0, s0, 0x3ff
	s_delay_alu instid0(SALU_CYCLE_1) | instskip(NEXT) | instid1(SALU_CYCLE_1)
	s_bitset1_b32 s0, 10
	s_mov_b32 m0, s0
	s_sendmsg sendmsg(MSG_INTERRUPT)
	s_mov_b32 m0, ttmp2
.LBB6_9952:                             ; =>This Inner Loop Header: Depth=1
	s_sethalt 5
	s_branch .LBB6_9952
.LBB6_9953:
	s_trap 2
	s_sendmsg_rtn_b32 s0, sendmsg(MSG_RTN_GET_DOORBELL)
	s_mov_b32 ttmp2, m0
	s_waitcnt lgkmcnt(0)
	s_and_b32 s0, s0, 0x3ff
	s_delay_alu instid0(SALU_CYCLE_1) | instskip(NEXT) | instid1(SALU_CYCLE_1)
	s_bitset1_b32 s0, 10
	s_mov_b32 m0, s0
	s_sendmsg sendmsg(MSG_INTERRUPT)
	s_mov_b32 m0, ttmp2
.LBB6_9954:                             ; =>This Inner Loop Header: Depth=1
	s_sethalt 5
	s_branch .LBB6_9954
.LBB6_9955:
	s_trap 2
	s_sendmsg_rtn_b32 s0, sendmsg(MSG_RTN_GET_DOORBELL)
	s_mov_b32 ttmp2, m0
	s_waitcnt lgkmcnt(0)
	s_and_b32 s0, s0, 0x3ff
	s_delay_alu instid0(SALU_CYCLE_1) | instskip(NEXT) | instid1(SALU_CYCLE_1)
	s_bitset1_b32 s0, 10
	s_mov_b32 m0, s0
	s_sendmsg sendmsg(MSG_INTERRUPT)
	s_mov_b32 m0, ttmp2
.LBB6_9956:                             ; =>This Inner Loop Header: Depth=1
	s_sethalt 5
	s_branch .LBB6_9956
.LBB6_9957:
	s_trap 2
	s_sendmsg_rtn_b32 s0, sendmsg(MSG_RTN_GET_DOORBELL)
	s_mov_b32 ttmp2, m0
	s_waitcnt lgkmcnt(0)
	s_and_b32 s0, s0, 0x3ff
	s_delay_alu instid0(SALU_CYCLE_1) | instskip(NEXT) | instid1(SALU_CYCLE_1)
	s_bitset1_b32 s0, 10
	s_mov_b32 m0, s0
	s_sendmsg sendmsg(MSG_INTERRUPT)
	s_mov_b32 m0, ttmp2
.LBB6_9958:                             ; =>This Inner Loop Header: Depth=1
	s_sethalt 5
	s_branch .LBB6_9958
.LBB6_9959:
	s_trap 2
	s_sendmsg_rtn_b32 s0, sendmsg(MSG_RTN_GET_DOORBELL)
	s_mov_b32 ttmp2, m0
	s_waitcnt lgkmcnt(0)
	s_and_b32 s0, s0, 0x3ff
	s_delay_alu instid0(SALU_CYCLE_1) | instskip(NEXT) | instid1(SALU_CYCLE_1)
	s_bitset1_b32 s0, 10
	s_mov_b32 m0, s0
	s_sendmsg sendmsg(MSG_INTERRUPT)
	s_mov_b32 m0, ttmp2
.LBB6_9960:                             ; =>This Inner Loop Header: Depth=1
	s_sethalt 5
	s_branch .LBB6_9960
.LBB6_9961:
	s_trap 2
	s_sendmsg_rtn_b32 s0, sendmsg(MSG_RTN_GET_DOORBELL)
	s_mov_b32 ttmp2, m0
	s_waitcnt lgkmcnt(0)
	s_and_b32 s0, s0, 0x3ff
	s_delay_alu instid0(SALU_CYCLE_1) | instskip(NEXT) | instid1(SALU_CYCLE_1)
	s_bitset1_b32 s0, 10
	s_mov_b32 m0, s0
	s_sendmsg sendmsg(MSG_INTERRUPT)
	s_mov_b32 m0, ttmp2
.LBB6_9962:                             ; =>This Inner Loop Header: Depth=1
	s_sethalt 5
	s_branch .LBB6_9962
.LBB6_9963:
	s_trap 2
	s_sendmsg_rtn_b32 s0, sendmsg(MSG_RTN_GET_DOORBELL)
	s_mov_b32 ttmp2, m0
	s_waitcnt lgkmcnt(0)
	s_and_b32 s0, s0, 0x3ff
	s_delay_alu instid0(SALU_CYCLE_1) | instskip(NEXT) | instid1(SALU_CYCLE_1)
	s_bitset1_b32 s0, 10
	s_mov_b32 m0, s0
	s_sendmsg sendmsg(MSG_INTERRUPT)
	s_mov_b32 m0, ttmp2
.LBB6_9964:                             ; =>This Inner Loop Header: Depth=1
	s_sethalt 5
	s_branch .LBB6_9964
.LBB6_9965:
	s_trap 2
	s_sendmsg_rtn_b32 s0, sendmsg(MSG_RTN_GET_DOORBELL)
	s_mov_b32 ttmp2, m0
	s_waitcnt lgkmcnt(0)
	s_and_b32 s0, s0, 0x3ff
	s_delay_alu instid0(SALU_CYCLE_1) | instskip(NEXT) | instid1(SALU_CYCLE_1)
	s_bitset1_b32 s0, 10
	s_mov_b32 m0, s0
	s_sendmsg sendmsg(MSG_INTERRUPT)
	s_mov_b32 m0, ttmp2
.LBB6_9966:                             ; =>This Inner Loop Header: Depth=1
	s_sethalt 5
	s_branch .LBB6_9966
.LBB6_9967:
	s_trap 2
	s_sendmsg_rtn_b32 s0, sendmsg(MSG_RTN_GET_DOORBELL)
	s_mov_b32 ttmp2, m0
	s_waitcnt lgkmcnt(0)
	s_and_b32 s0, s0, 0x3ff
	s_delay_alu instid0(SALU_CYCLE_1) | instskip(NEXT) | instid1(SALU_CYCLE_1)
	s_bitset1_b32 s0, 10
	s_mov_b32 m0, s0
	s_sendmsg sendmsg(MSG_INTERRUPT)
	s_mov_b32 m0, ttmp2
.LBB6_9968:                             ; =>This Inner Loop Header: Depth=1
	s_sethalt 5
	s_branch .LBB6_9968
.LBB6_9969:
	s_trap 2
	s_sendmsg_rtn_b32 s0, sendmsg(MSG_RTN_GET_DOORBELL)
	s_mov_b32 ttmp2, m0
	s_waitcnt lgkmcnt(0)
	s_and_b32 s0, s0, 0x3ff
	s_delay_alu instid0(SALU_CYCLE_1) | instskip(NEXT) | instid1(SALU_CYCLE_1)
	s_bitset1_b32 s0, 10
	s_mov_b32 m0, s0
	s_sendmsg sendmsg(MSG_INTERRUPT)
	s_mov_b32 m0, ttmp2
.LBB6_9970:                             ; =>This Inner Loop Header: Depth=1
	s_sethalt 5
	s_branch .LBB6_9970
.LBB6_9971:
	s_trap 2
	s_sendmsg_rtn_b32 s0, sendmsg(MSG_RTN_GET_DOORBELL)
	s_mov_b32 ttmp2, m0
	s_waitcnt lgkmcnt(0)
	s_and_b32 s0, s0, 0x3ff
	s_delay_alu instid0(SALU_CYCLE_1) | instskip(NEXT) | instid1(SALU_CYCLE_1)
	s_bitset1_b32 s0, 10
	s_mov_b32 m0, s0
	s_sendmsg sendmsg(MSG_INTERRUPT)
	s_mov_b32 m0, ttmp2
.LBB6_9972:                             ; =>This Inner Loop Header: Depth=1
	s_sethalt 5
	s_branch .LBB6_9972
.LBB6_9973:
	s_trap 2
	s_sendmsg_rtn_b32 s0, sendmsg(MSG_RTN_GET_DOORBELL)
	s_mov_b32 ttmp2, m0
	s_waitcnt lgkmcnt(0)
	s_and_b32 s0, s0, 0x3ff
	s_delay_alu instid0(SALU_CYCLE_1) | instskip(NEXT) | instid1(SALU_CYCLE_1)
	s_bitset1_b32 s0, 10
	s_mov_b32 m0, s0
	s_sendmsg sendmsg(MSG_INTERRUPT)
	s_mov_b32 m0, ttmp2
.LBB6_9974:                             ; =>This Inner Loop Header: Depth=1
	s_sethalt 5
	s_branch .LBB6_9974
.LBB6_9975:
	s_trap 2
	s_sendmsg_rtn_b32 s0, sendmsg(MSG_RTN_GET_DOORBELL)
	s_mov_b32 ttmp2, m0
	s_waitcnt lgkmcnt(0)
	s_and_b32 s0, s0, 0x3ff
	s_delay_alu instid0(SALU_CYCLE_1) | instskip(NEXT) | instid1(SALU_CYCLE_1)
	s_bitset1_b32 s0, 10
	s_mov_b32 m0, s0
	s_sendmsg sendmsg(MSG_INTERRUPT)
	s_mov_b32 m0, ttmp2
.LBB6_9976:                             ; =>This Inner Loop Header: Depth=1
	s_sethalt 5
	s_branch .LBB6_9976
.LBB6_9977:
	s_trap 2
	s_sendmsg_rtn_b32 s0, sendmsg(MSG_RTN_GET_DOORBELL)
	s_mov_b32 ttmp2, m0
	s_waitcnt lgkmcnt(0)
	s_and_b32 s0, s0, 0x3ff
	s_delay_alu instid0(SALU_CYCLE_1) | instskip(NEXT) | instid1(SALU_CYCLE_1)
	s_bitset1_b32 s0, 10
	s_mov_b32 m0, s0
	s_sendmsg sendmsg(MSG_INTERRUPT)
	s_mov_b32 m0, ttmp2
.LBB6_9978:                             ; =>This Inner Loop Header: Depth=1
	s_sethalt 5
	s_branch .LBB6_9978
.LBB6_9979:
	s_trap 2
	s_sendmsg_rtn_b32 s0, sendmsg(MSG_RTN_GET_DOORBELL)
	s_mov_b32 ttmp2, m0
	s_waitcnt lgkmcnt(0)
	s_and_b32 s0, s0, 0x3ff
	s_delay_alu instid0(SALU_CYCLE_1) | instskip(NEXT) | instid1(SALU_CYCLE_1)
	s_bitset1_b32 s0, 10
	s_mov_b32 m0, s0
	s_sendmsg sendmsg(MSG_INTERRUPT)
	s_mov_b32 m0, ttmp2
.LBB6_9980:                             ; =>This Inner Loop Header: Depth=1
	s_sethalt 5
	s_branch .LBB6_9980
.LBB6_9981:
	s_trap 2
	s_sendmsg_rtn_b32 s0, sendmsg(MSG_RTN_GET_DOORBELL)
	s_mov_b32 ttmp2, m0
	s_waitcnt lgkmcnt(0)
	s_and_b32 s0, s0, 0x3ff
	s_delay_alu instid0(SALU_CYCLE_1) | instskip(NEXT) | instid1(SALU_CYCLE_1)
	s_bitset1_b32 s0, 10
	s_mov_b32 m0, s0
	s_sendmsg sendmsg(MSG_INTERRUPT)
	s_mov_b32 m0, ttmp2
.LBB6_9982:                             ; =>This Inner Loop Header: Depth=1
	s_sethalt 5
	s_branch .LBB6_9982
.LBB6_9983:
	s_trap 2
	s_sendmsg_rtn_b32 s0, sendmsg(MSG_RTN_GET_DOORBELL)
	s_mov_b32 ttmp2, m0
	s_waitcnt lgkmcnt(0)
	s_and_b32 s0, s0, 0x3ff
	s_delay_alu instid0(SALU_CYCLE_1) | instskip(NEXT) | instid1(SALU_CYCLE_1)
	s_bitset1_b32 s0, 10
	s_mov_b32 m0, s0
	s_sendmsg sendmsg(MSG_INTERRUPT)
	s_mov_b32 m0, ttmp2
.LBB6_9984:                             ; =>This Inner Loop Header: Depth=1
	s_sethalt 5
	s_branch .LBB6_9984
.LBB6_9985:
	s_trap 2
	s_sendmsg_rtn_b32 s0, sendmsg(MSG_RTN_GET_DOORBELL)
	s_mov_b32 ttmp2, m0
	s_waitcnt lgkmcnt(0)
	s_and_b32 s0, s0, 0x3ff
	s_delay_alu instid0(SALU_CYCLE_1) | instskip(NEXT) | instid1(SALU_CYCLE_1)
	s_bitset1_b32 s0, 10
	s_mov_b32 m0, s0
	s_sendmsg sendmsg(MSG_INTERRUPT)
	s_mov_b32 m0, ttmp2
.LBB6_9986:                             ; =>This Inner Loop Header: Depth=1
	s_sethalt 5
	s_branch .LBB6_9986
.LBB6_9987:
	s_trap 2
	s_sendmsg_rtn_b32 s0, sendmsg(MSG_RTN_GET_DOORBELL)
	s_mov_b32 ttmp2, m0
	s_waitcnt lgkmcnt(0)
	s_and_b32 s0, s0, 0x3ff
	s_delay_alu instid0(SALU_CYCLE_1) | instskip(NEXT) | instid1(SALU_CYCLE_1)
	s_bitset1_b32 s0, 10
	s_mov_b32 m0, s0
	s_sendmsg sendmsg(MSG_INTERRUPT)
	s_mov_b32 m0, ttmp2
.LBB6_9988:                             ; =>This Inner Loop Header: Depth=1
	s_sethalt 5
	s_branch .LBB6_9988
.LBB6_9989:
	s_trap 2
	s_sendmsg_rtn_b32 s0, sendmsg(MSG_RTN_GET_DOORBELL)
	s_mov_b32 ttmp2, m0
	s_waitcnt lgkmcnt(0)
	s_and_b32 s0, s0, 0x3ff
	s_delay_alu instid0(SALU_CYCLE_1) | instskip(NEXT) | instid1(SALU_CYCLE_1)
	s_bitset1_b32 s0, 10
	s_mov_b32 m0, s0
	s_sendmsg sendmsg(MSG_INTERRUPT)
	s_mov_b32 m0, ttmp2
.LBB6_9990:                             ; =>This Inner Loop Header: Depth=1
	s_sethalt 5
	s_branch .LBB6_9990
.LBB6_9991:
	s_trap 2
	s_sendmsg_rtn_b32 s0, sendmsg(MSG_RTN_GET_DOORBELL)
	s_mov_b32 ttmp2, m0
	s_waitcnt lgkmcnt(0)
	s_and_b32 s0, s0, 0x3ff
	s_delay_alu instid0(SALU_CYCLE_1) | instskip(NEXT) | instid1(SALU_CYCLE_1)
	s_bitset1_b32 s0, 10
	s_mov_b32 m0, s0
	s_sendmsg sendmsg(MSG_INTERRUPT)
	s_mov_b32 m0, ttmp2
.LBB6_9992:                             ; =>This Inner Loop Header: Depth=1
	s_sethalt 5
	s_branch .LBB6_9992
.LBB6_9993:
	s_trap 2
	s_sendmsg_rtn_b32 s0, sendmsg(MSG_RTN_GET_DOORBELL)
	s_mov_b32 ttmp2, m0
	s_waitcnt lgkmcnt(0)
	s_and_b32 s0, s0, 0x3ff
	s_delay_alu instid0(SALU_CYCLE_1) | instskip(NEXT) | instid1(SALU_CYCLE_1)
	s_bitset1_b32 s0, 10
	s_mov_b32 m0, s0
	s_sendmsg sendmsg(MSG_INTERRUPT)
	s_mov_b32 m0, ttmp2
.LBB6_9994:                             ; =>This Inner Loop Header: Depth=1
	s_sethalt 5
	s_branch .LBB6_9994
.LBB6_9995:
	s_trap 2
	s_sendmsg_rtn_b32 s0, sendmsg(MSG_RTN_GET_DOORBELL)
	s_mov_b32 ttmp2, m0
	s_waitcnt lgkmcnt(0)
	s_and_b32 s0, s0, 0x3ff
	s_delay_alu instid0(SALU_CYCLE_1) | instskip(NEXT) | instid1(SALU_CYCLE_1)
	s_bitset1_b32 s0, 10
	s_mov_b32 m0, s0
	s_sendmsg sendmsg(MSG_INTERRUPT)
	s_mov_b32 m0, ttmp2
.LBB6_9996:                             ; =>This Inner Loop Header: Depth=1
	s_sethalt 5
	s_branch .LBB6_9996
.LBB6_9997:
	s_trap 2
	s_sendmsg_rtn_b32 s0, sendmsg(MSG_RTN_GET_DOORBELL)
	s_mov_b32 ttmp2, m0
	s_waitcnt lgkmcnt(0)
	s_and_b32 s0, s0, 0x3ff
	s_delay_alu instid0(SALU_CYCLE_1) | instskip(NEXT) | instid1(SALU_CYCLE_1)
	s_bitset1_b32 s0, 10
	s_mov_b32 m0, s0
	s_sendmsg sendmsg(MSG_INTERRUPT)
	s_mov_b32 m0, ttmp2
.LBB6_9998:                             ; =>This Inner Loop Header: Depth=1
	s_sethalt 5
	s_branch .LBB6_9998
.LBB6_9999:
	s_trap 2
	s_sendmsg_rtn_b32 s0, sendmsg(MSG_RTN_GET_DOORBELL)
	s_mov_b32 ttmp2, m0
	s_waitcnt lgkmcnt(0)
	s_and_b32 s0, s0, 0x3ff
	s_delay_alu instid0(SALU_CYCLE_1) | instskip(NEXT) | instid1(SALU_CYCLE_1)
	s_bitset1_b32 s0, 10
	s_mov_b32 m0, s0
	s_sendmsg sendmsg(MSG_INTERRUPT)
	s_mov_b32 m0, ttmp2
.LBB6_10000:                            ; =>This Inner Loop Header: Depth=1
	s_sethalt 5
	s_branch .LBB6_10000
.LBB6_10001:
	s_trap 2
	s_sendmsg_rtn_b32 s0, sendmsg(MSG_RTN_GET_DOORBELL)
	s_mov_b32 ttmp2, m0
	s_waitcnt lgkmcnt(0)
	s_and_b32 s0, s0, 0x3ff
	s_delay_alu instid0(SALU_CYCLE_1) | instskip(NEXT) | instid1(SALU_CYCLE_1)
	s_bitset1_b32 s0, 10
	s_mov_b32 m0, s0
	s_sendmsg sendmsg(MSG_INTERRUPT)
	s_mov_b32 m0, ttmp2
.LBB6_10002:                            ; =>This Inner Loop Header: Depth=1
	s_sethalt 5
	s_branch .LBB6_10002
.LBB6_10003:
	s_trap 2
	s_sendmsg_rtn_b32 s0, sendmsg(MSG_RTN_GET_DOORBELL)
	s_mov_b32 ttmp2, m0
	s_waitcnt lgkmcnt(0)
	s_and_b32 s0, s0, 0x3ff
	s_delay_alu instid0(SALU_CYCLE_1) | instskip(NEXT) | instid1(SALU_CYCLE_1)
	s_bitset1_b32 s0, 10
	s_mov_b32 m0, s0
	s_sendmsg sendmsg(MSG_INTERRUPT)
	s_mov_b32 m0, ttmp2
.LBB6_10004:                            ; =>This Inner Loop Header: Depth=1
	s_sethalt 5
	s_branch .LBB6_10004
.LBB6_10005:
	s_trap 2
	s_sendmsg_rtn_b32 s0, sendmsg(MSG_RTN_GET_DOORBELL)
	s_mov_b32 ttmp2, m0
	s_waitcnt lgkmcnt(0)
	s_and_b32 s0, s0, 0x3ff
	s_delay_alu instid0(SALU_CYCLE_1) | instskip(NEXT) | instid1(SALU_CYCLE_1)
	s_bitset1_b32 s0, 10
	s_mov_b32 m0, s0
	s_sendmsg sendmsg(MSG_INTERRUPT)
	s_mov_b32 m0, ttmp2
.LBB6_10006:                            ; =>This Inner Loop Header: Depth=1
	s_sethalt 5
	s_branch .LBB6_10006
.LBB6_10007:
	s_trap 2
	s_sendmsg_rtn_b32 s0, sendmsg(MSG_RTN_GET_DOORBELL)
	s_mov_b32 ttmp2, m0
	s_waitcnt lgkmcnt(0)
	s_and_b32 s0, s0, 0x3ff
	s_delay_alu instid0(SALU_CYCLE_1) | instskip(NEXT) | instid1(SALU_CYCLE_1)
	s_bitset1_b32 s0, 10
	s_mov_b32 m0, s0
	s_sendmsg sendmsg(MSG_INTERRUPT)
	s_mov_b32 m0, ttmp2
.LBB6_10008:                            ; =>This Inner Loop Header: Depth=1
	s_sethalt 5
	s_branch .LBB6_10008
.LBB6_10009:
	s_trap 2
	s_sendmsg_rtn_b32 s0, sendmsg(MSG_RTN_GET_DOORBELL)
	s_mov_b32 ttmp2, m0
	s_waitcnt lgkmcnt(0)
	s_and_b32 s0, s0, 0x3ff
	s_delay_alu instid0(SALU_CYCLE_1) | instskip(NEXT) | instid1(SALU_CYCLE_1)
	s_bitset1_b32 s0, 10
	s_mov_b32 m0, s0
	s_sendmsg sendmsg(MSG_INTERRUPT)
	s_mov_b32 m0, ttmp2
.LBB6_10010:                            ; =>This Inner Loop Header: Depth=1
	s_sethalt 5
	s_branch .LBB6_10010
.LBB6_10011:
	s_trap 2
	s_sendmsg_rtn_b32 s0, sendmsg(MSG_RTN_GET_DOORBELL)
	s_mov_b32 ttmp2, m0
	s_waitcnt lgkmcnt(0)
	s_and_b32 s0, s0, 0x3ff
	s_delay_alu instid0(SALU_CYCLE_1) | instskip(NEXT) | instid1(SALU_CYCLE_1)
	s_bitset1_b32 s0, 10
	s_mov_b32 m0, s0
	s_sendmsg sendmsg(MSG_INTERRUPT)
	s_mov_b32 m0, ttmp2
.LBB6_10012:                            ; =>This Inner Loop Header: Depth=1
	s_sethalt 5
	s_branch .LBB6_10012
.LBB6_10013:
	s_trap 2
	s_sendmsg_rtn_b32 s0, sendmsg(MSG_RTN_GET_DOORBELL)
	s_mov_b32 ttmp2, m0
	s_waitcnt lgkmcnt(0)
	s_and_b32 s0, s0, 0x3ff
	s_delay_alu instid0(SALU_CYCLE_1) | instskip(NEXT) | instid1(SALU_CYCLE_1)
	s_bitset1_b32 s0, 10
	s_mov_b32 m0, s0
	s_sendmsg sendmsg(MSG_INTERRUPT)
	s_mov_b32 m0, ttmp2
.LBB6_10014:                            ; =>This Inner Loop Header: Depth=1
	s_sethalt 5
	s_branch .LBB6_10014
.LBB6_10015:
	s_trap 2
	s_sendmsg_rtn_b32 s0, sendmsg(MSG_RTN_GET_DOORBELL)
	s_mov_b32 ttmp2, m0
	s_waitcnt lgkmcnt(0)
	s_and_b32 s0, s0, 0x3ff
	s_delay_alu instid0(SALU_CYCLE_1) | instskip(NEXT) | instid1(SALU_CYCLE_1)
	s_bitset1_b32 s0, 10
	s_mov_b32 m0, s0
	s_sendmsg sendmsg(MSG_INTERRUPT)
	s_mov_b32 m0, ttmp2
.LBB6_10016:                            ; =>This Inner Loop Header: Depth=1
	s_sethalt 5
	s_branch .LBB6_10016
.LBB6_10017:
	s_trap 2
	s_sendmsg_rtn_b32 s0, sendmsg(MSG_RTN_GET_DOORBELL)
	s_mov_b32 ttmp2, m0
	s_waitcnt lgkmcnt(0)
	s_and_b32 s0, s0, 0x3ff
	s_delay_alu instid0(SALU_CYCLE_1) | instskip(NEXT) | instid1(SALU_CYCLE_1)
	s_bitset1_b32 s0, 10
	s_mov_b32 m0, s0
	s_sendmsg sendmsg(MSG_INTERRUPT)
	s_mov_b32 m0, ttmp2
.LBB6_10018:                            ; =>This Inner Loop Header: Depth=1
	s_sethalt 5
	s_branch .LBB6_10018
.LBB6_10019:
	s_trap 2
	s_sendmsg_rtn_b32 s0, sendmsg(MSG_RTN_GET_DOORBELL)
	s_mov_b32 ttmp2, m0
	s_waitcnt lgkmcnt(0)
	s_and_b32 s0, s0, 0x3ff
	s_delay_alu instid0(SALU_CYCLE_1) | instskip(NEXT) | instid1(SALU_CYCLE_1)
	s_bitset1_b32 s0, 10
	s_mov_b32 m0, s0
	s_sendmsg sendmsg(MSG_INTERRUPT)
	s_mov_b32 m0, ttmp2
.LBB6_10020:                            ; =>This Inner Loop Header: Depth=1
	s_sethalt 5
	s_branch .LBB6_10020
.LBB6_10021:
	s_trap 2
	s_sendmsg_rtn_b32 s0, sendmsg(MSG_RTN_GET_DOORBELL)
	s_mov_b32 ttmp2, m0
	s_waitcnt lgkmcnt(0)
	s_and_b32 s0, s0, 0x3ff
	s_delay_alu instid0(SALU_CYCLE_1) | instskip(NEXT) | instid1(SALU_CYCLE_1)
	s_bitset1_b32 s0, 10
	s_mov_b32 m0, s0
	s_sendmsg sendmsg(MSG_INTERRUPT)
	s_mov_b32 m0, ttmp2
.LBB6_10022:                            ; =>This Inner Loop Header: Depth=1
	s_sethalt 5
	s_branch .LBB6_10022
.LBB6_10023:
	s_trap 2
	s_sendmsg_rtn_b32 s0, sendmsg(MSG_RTN_GET_DOORBELL)
	s_mov_b32 ttmp2, m0
	s_waitcnt lgkmcnt(0)
	s_and_b32 s0, s0, 0x3ff
	s_delay_alu instid0(SALU_CYCLE_1) | instskip(NEXT) | instid1(SALU_CYCLE_1)
	s_bitset1_b32 s0, 10
	s_mov_b32 m0, s0
	s_sendmsg sendmsg(MSG_INTERRUPT)
	s_mov_b32 m0, ttmp2
.LBB6_10024:                            ; =>This Inner Loop Header: Depth=1
	s_sethalt 5
	s_branch .LBB6_10024
.LBB6_10025:
	s_trap 2
	s_sendmsg_rtn_b32 s0, sendmsg(MSG_RTN_GET_DOORBELL)
	s_mov_b32 ttmp2, m0
	s_waitcnt lgkmcnt(0)
	s_and_b32 s0, s0, 0x3ff
	s_delay_alu instid0(SALU_CYCLE_1) | instskip(NEXT) | instid1(SALU_CYCLE_1)
	s_bitset1_b32 s0, 10
	s_mov_b32 m0, s0
	s_sendmsg sendmsg(MSG_INTERRUPT)
	s_mov_b32 m0, ttmp2
.LBB6_10026:                            ; =>This Inner Loop Header: Depth=1
	s_sethalt 5
	s_branch .LBB6_10026
.LBB6_10027:
	s_trap 2
	s_sendmsg_rtn_b32 s0, sendmsg(MSG_RTN_GET_DOORBELL)
	s_mov_b32 ttmp2, m0
	s_waitcnt lgkmcnt(0)
	s_and_b32 s0, s0, 0x3ff
	s_delay_alu instid0(SALU_CYCLE_1) | instskip(NEXT) | instid1(SALU_CYCLE_1)
	s_bitset1_b32 s0, 10
	s_mov_b32 m0, s0
	s_sendmsg sendmsg(MSG_INTERRUPT)
	s_mov_b32 m0, ttmp2
.LBB6_10028:                            ; =>This Inner Loop Header: Depth=1
	s_sethalt 5
	s_branch .LBB6_10028
.LBB6_10029:
	s_trap 2
	s_sendmsg_rtn_b32 s0, sendmsg(MSG_RTN_GET_DOORBELL)
	s_mov_b32 ttmp2, m0
	s_waitcnt lgkmcnt(0)
	s_and_b32 s0, s0, 0x3ff
	s_delay_alu instid0(SALU_CYCLE_1) | instskip(NEXT) | instid1(SALU_CYCLE_1)
	s_bitset1_b32 s0, 10
	s_mov_b32 m0, s0
	s_sendmsg sendmsg(MSG_INTERRUPT)
	s_mov_b32 m0, ttmp2
.LBB6_10030:                            ; =>This Inner Loop Header: Depth=1
	s_sethalt 5
	s_branch .LBB6_10030
.LBB6_10031:
	s_trap 2
	s_sendmsg_rtn_b32 s0, sendmsg(MSG_RTN_GET_DOORBELL)
	s_mov_b32 ttmp2, m0
	s_waitcnt lgkmcnt(0)
	s_and_b32 s0, s0, 0x3ff
	s_delay_alu instid0(SALU_CYCLE_1) | instskip(NEXT) | instid1(SALU_CYCLE_1)
	s_bitset1_b32 s0, 10
	s_mov_b32 m0, s0
	s_sendmsg sendmsg(MSG_INTERRUPT)
	s_mov_b32 m0, ttmp2
.LBB6_10032:                            ; =>This Inner Loop Header: Depth=1
	s_sethalt 5
	s_branch .LBB6_10032
.LBB6_10033:
	s_trap 2
	s_sendmsg_rtn_b32 s0, sendmsg(MSG_RTN_GET_DOORBELL)
	s_mov_b32 ttmp2, m0
	s_waitcnt lgkmcnt(0)
	s_and_b32 s0, s0, 0x3ff
	s_delay_alu instid0(SALU_CYCLE_1) | instskip(NEXT) | instid1(SALU_CYCLE_1)
	s_bitset1_b32 s0, 10
	s_mov_b32 m0, s0
	s_sendmsg sendmsg(MSG_INTERRUPT)
	s_mov_b32 m0, ttmp2
.LBB6_10034:                            ; =>This Inner Loop Header: Depth=1
	s_sethalt 5
	s_branch .LBB6_10034
.LBB6_10035:
	s_trap 2
	s_sendmsg_rtn_b32 s0, sendmsg(MSG_RTN_GET_DOORBELL)
	s_mov_b32 ttmp2, m0
	s_waitcnt lgkmcnt(0)
	s_and_b32 s0, s0, 0x3ff
	s_delay_alu instid0(SALU_CYCLE_1) | instskip(NEXT) | instid1(SALU_CYCLE_1)
	s_bitset1_b32 s0, 10
	s_mov_b32 m0, s0
	s_sendmsg sendmsg(MSG_INTERRUPT)
	s_mov_b32 m0, ttmp2
.LBB6_10036:                            ; =>This Inner Loop Header: Depth=1
	s_sethalt 5
	s_branch .LBB6_10036
.LBB6_10037:
	s_trap 2
	s_sendmsg_rtn_b32 s0, sendmsg(MSG_RTN_GET_DOORBELL)
	s_mov_b32 ttmp2, m0
	s_waitcnt lgkmcnt(0)
	s_and_b32 s0, s0, 0x3ff
	s_delay_alu instid0(SALU_CYCLE_1) | instskip(NEXT) | instid1(SALU_CYCLE_1)
	s_bitset1_b32 s0, 10
	s_mov_b32 m0, s0
	s_sendmsg sendmsg(MSG_INTERRUPT)
	s_mov_b32 m0, ttmp2
.LBB6_10038:                            ; =>This Inner Loop Header: Depth=1
	s_sethalt 5
	s_branch .LBB6_10038
.LBB6_10039:
	s_trap 2
	s_sendmsg_rtn_b32 s0, sendmsg(MSG_RTN_GET_DOORBELL)
	s_mov_b32 ttmp2, m0
	s_waitcnt lgkmcnt(0)
	s_and_b32 s0, s0, 0x3ff
	s_delay_alu instid0(SALU_CYCLE_1) | instskip(NEXT) | instid1(SALU_CYCLE_1)
	s_bitset1_b32 s0, 10
	s_mov_b32 m0, s0
	s_sendmsg sendmsg(MSG_INTERRUPT)
	s_mov_b32 m0, ttmp2
.LBB6_10040:                            ; =>This Inner Loop Header: Depth=1
	s_sethalt 5
	s_branch .LBB6_10040
.LBB6_10041:
	s_trap 2
	s_sendmsg_rtn_b32 s0, sendmsg(MSG_RTN_GET_DOORBELL)
	s_mov_b32 ttmp2, m0
	s_waitcnt lgkmcnt(0)
	s_and_b32 s0, s0, 0x3ff
	s_delay_alu instid0(SALU_CYCLE_1) | instskip(NEXT) | instid1(SALU_CYCLE_1)
	s_bitset1_b32 s0, 10
	s_mov_b32 m0, s0
	s_sendmsg sendmsg(MSG_INTERRUPT)
	s_mov_b32 m0, ttmp2
.LBB6_10042:                            ; =>This Inner Loop Header: Depth=1
	s_sethalt 5
	s_branch .LBB6_10042
.LBB6_10043:
	s_trap 2
	s_sendmsg_rtn_b32 s0, sendmsg(MSG_RTN_GET_DOORBELL)
	s_mov_b32 ttmp2, m0
	s_waitcnt lgkmcnt(0)
	s_and_b32 s0, s0, 0x3ff
	s_delay_alu instid0(SALU_CYCLE_1) | instskip(NEXT) | instid1(SALU_CYCLE_1)
	s_bitset1_b32 s0, 10
	s_mov_b32 m0, s0
	s_sendmsg sendmsg(MSG_INTERRUPT)
	s_mov_b32 m0, ttmp2
.LBB6_10044:                            ; =>This Inner Loop Header: Depth=1
	s_sethalt 5
	s_branch .LBB6_10044
.LBB6_10045:
	s_trap 2
	s_sendmsg_rtn_b32 s0, sendmsg(MSG_RTN_GET_DOORBELL)
	s_mov_b32 ttmp2, m0
	s_waitcnt lgkmcnt(0)
	s_and_b32 s0, s0, 0x3ff
	s_delay_alu instid0(SALU_CYCLE_1) | instskip(NEXT) | instid1(SALU_CYCLE_1)
	s_bitset1_b32 s0, 10
	s_mov_b32 m0, s0
	s_sendmsg sendmsg(MSG_INTERRUPT)
	s_mov_b32 m0, ttmp2
.LBB6_10046:                            ; =>This Inner Loop Header: Depth=1
	s_sethalt 5
	s_branch .LBB6_10046
.LBB6_10047:
	s_trap 2
	s_sendmsg_rtn_b32 s0, sendmsg(MSG_RTN_GET_DOORBELL)
	s_mov_b32 ttmp2, m0
	s_waitcnt lgkmcnt(0)
	s_and_b32 s0, s0, 0x3ff
	s_delay_alu instid0(SALU_CYCLE_1) | instskip(NEXT) | instid1(SALU_CYCLE_1)
	s_bitset1_b32 s0, 10
	s_mov_b32 m0, s0
	s_sendmsg sendmsg(MSG_INTERRUPT)
	s_mov_b32 m0, ttmp2
.LBB6_10048:                            ; =>This Inner Loop Header: Depth=1
	s_sethalt 5
	s_branch .LBB6_10048
.LBB6_10049:
	s_trap 2
	s_sendmsg_rtn_b32 s0, sendmsg(MSG_RTN_GET_DOORBELL)
	s_mov_b32 ttmp2, m0
	s_waitcnt lgkmcnt(0)
	s_and_b32 s0, s0, 0x3ff
	s_delay_alu instid0(SALU_CYCLE_1) | instskip(NEXT) | instid1(SALU_CYCLE_1)
	s_bitset1_b32 s0, 10
	s_mov_b32 m0, s0
	s_sendmsg sendmsg(MSG_INTERRUPT)
	s_mov_b32 m0, ttmp2
.LBB6_10050:                            ; =>This Inner Loop Header: Depth=1
	s_sethalt 5
	s_branch .LBB6_10050
.LBB6_10051:
	s_trap 2
	s_sendmsg_rtn_b32 s0, sendmsg(MSG_RTN_GET_DOORBELL)
	s_mov_b32 ttmp2, m0
	s_waitcnt lgkmcnt(0)
	s_and_b32 s0, s0, 0x3ff
	s_delay_alu instid0(SALU_CYCLE_1) | instskip(NEXT) | instid1(SALU_CYCLE_1)
	s_bitset1_b32 s0, 10
	s_mov_b32 m0, s0
	s_sendmsg sendmsg(MSG_INTERRUPT)
	s_mov_b32 m0, ttmp2
.LBB6_10052:                            ; =>This Inner Loop Header: Depth=1
	s_sethalt 5
	s_branch .LBB6_10052
.LBB6_10053:
	s_trap 2
	s_sendmsg_rtn_b32 s0, sendmsg(MSG_RTN_GET_DOORBELL)
	s_mov_b32 ttmp2, m0
	s_waitcnt lgkmcnt(0)
	s_and_b32 s0, s0, 0x3ff
	s_delay_alu instid0(SALU_CYCLE_1) | instskip(NEXT) | instid1(SALU_CYCLE_1)
	s_bitset1_b32 s0, 10
	s_mov_b32 m0, s0
	s_sendmsg sendmsg(MSG_INTERRUPT)
	s_mov_b32 m0, ttmp2
.LBB6_10054:                            ; =>This Inner Loop Header: Depth=1
	s_sethalt 5
	s_branch .LBB6_10054
.LBB6_10055:
	s_trap 2
	s_sendmsg_rtn_b32 s0, sendmsg(MSG_RTN_GET_DOORBELL)
	s_mov_b32 ttmp2, m0
	s_waitcnt lgkmcnt(0)
	s_and_b32 s0, s0, 0x3ff
	s_delay_alu instid0(SALU_CYCLE_1) | instskip(NEXT) | instid1(SALU_CYCLE_1)
	s_bitset1_b32 s0, 10
	s_mov_b32 m0, s0
	s_sendmsg sendmsg(MSG_INTERRUPT)
	s_mov_b32 m0, ttmp2
.LBB6_10056:                            ; =>This Inner Loop Header: Depth=1
	s_sethalt 5
	s_branch .LBB6_10056
.LBB6_10057:
	s_trap 2
	s_sendmsg_rtn_b32 s0, sendmsg(MSG_RTN_GET_DOORBELL)
	s_mov_b32 ttmp2, m0
	s_waitcnt lgkmcnt(0)
	s_and_b32 s0, s0, 0x3ff
	s_delay_alu instid0(SALU_CYCLE_1) | instskip(NEXT) | instid1(SALU_CYCLE_1)
	s_bitset1_b32 s0, 10
	s_mov_b32 m0, s0
	s_sendmsg sendmsg(MSG_INTERRUPT)
	s_mov_b32 m0, ttmp2
.LBB6_10058:                            ; =>This Inner Loop Header: Depth=1
	s_sethalt 5
	s_branch .LBB6_10058
.LBB6_10059:
	s_trap 2
	s_sendmsg_rtn_b32 s0, sendmsg(MSG_RTN_GET_DOORBELL)
	s_mov_b32 ttmp2, m0
	s_waitcnt lgkmcnt(0)
	s_and_b32 s0, s0, 0x3ff
	s_delay_alu instid0(SALU_CYCLE_1) | instskip(NEXT) | instid1(SALU_CYCLE_1)
	s_bitset1_b32 s0, 10
	s_mov_b32 m0, s0
	s_sendmsg sendmsg(MSG_INTERRUPT)
	s_mov_b32 m0, ttmp2
.LBB6_10060:                            ; =>This Inner Loop Header: Depth=1
	s_sethalt 5
	s_branch .LBB6_10060
.LBB6_10061:
	s_trap 2
	s_sendmsg_rtn_b32 s0, sendmsg(MSG_RTN_GET_DOORBELL)
	s_mov_b32 ttmp2, m0
	s_waitcnt lgkmcnt(0)
	s_and_b32 s0, s0, 0x3ff
	s_delay_alu instid0(SALU_CYCLE_1) | instskip(NEXT) | instid1(SALU_CYCLE_1)
	s_bitset1_b32 s0, 10
	s_mov_b32 m0, s0
	s_sendmsg sendmsg(MSG_INTERRUPT)
	s_mov_b32 m0, ttmp2
.LBB6_10062:                            ; =>This Inner Loop Header: Depth=1
	s_sethalt 5
	s_branch .LBB6_10062
.LBB6_10063:
	s_trap 2
	s_sendmsg_rtn_b32 s0, sendmsg(MSG_RTN_GET_DOORBELL)
	s_mov_b32 ttmp2, m0
	s_waitcnt lgkmcnt(0)
	s_and_b32 s0, s0, 0x3ff
	s_delay_alu instid0(SALU_CYCLE_1) | instskip(NEXT) | instid1(SALU_CYCLE_1)
	s_bitset1_b32 s0, 10
	s_mov_b32 m0, s0
	s_sendmsg sendmsg(MSG_INTERRUPT)
	s_mov_b32 m0, ttmp2
.LBB6_10064:                            ; =>This Inner Loop Header: Depth=1
	s_sethalt 5
	s_branch .LBB6_10064
.LBB6_10065:
	s_trap 2
	s_sendmsg_rtn_b32 s0, sendmsg(MSG_RTN_GET_DOORBELL)
	s_mov_b32 ttmp2, m0
	s_waitcnt lgkmcnt(0)
	s_and_b32 s0, s0, 0x3ff
	s_delay_alu instid0(SALU_CYCLE_1) | instskip(NEXT) | instid1(SALU_CYCLE_1)
	s_bitset1_b32 s0, 10
	s_mov_b32 m0, s0
	s_sendmsg sendmsg(MSG_INTERRUPT)
	s_mov_b32 m0, ttmp2
.LBB6_10066:                            ; =>This Inner Loop Header: Depth=1
	s_sethalt 5
	s_branch .LBB6_10066
.LBB6_10067:
	s_trap 2
	s_sendmsg_rtn_b32 s0, sendmsg(MSG_RTN_GET_DOORBELL)
	s_mov_b32 ttmp2, m0
	s_waitcnt lgkmcnt(0)
	s_and_b32 s0, s0, 0x3ff
	s_delay_alu instid0(SALU_CYCLE_1) | instskip(NEXT) | instid1(SALU_CYCLE_1)
	s_bitset1_b32 s0, 10
	s_mov_b32 m0, s0
	s_sendmsg sendmsg(MSG_INTERRUPT)
	s_mov_b32 m0, ttmp2
.LBB6_10068:                            ; =>This Inner Loop Header: Depth=1
	s_sethalt 5
	s_branch .LBB6_10068
.Lfunc_end6:
	.size	_ZN12_GLOBAL__N_17runRingI11rccl_float87FuncSumIS1_E11ProtoSimpleILi2ELi2ELi0ELi4ELi0ELi0EELi0ELi0ELi4ELi0EEEviiP15ncclDevWorkColl, .Lfunc_end6-_ZN12_GLOBAL__N_17runRingI11rccl_float87FuncSumIS1_E11ProtoSimpleILi2ELi2ELi0ELi4ELi0ELi0EELi0ELi0ELi4ELi0EEEviiP15ncclDevWorkColl
                                        ; -- End function
	.section	.AMDGPU.csdata,"",@progbits
; Function info:
; codeLenInByte = 399052
; NumSgprs: 52
; NumVgprs: 184
; ScratchSize: 240
; MemoryBound: 1
	.text
	.p2align	2                               ; -- Begin function _Z50ncclDevFunc_AllReduce_RING_SIMPLE_Sum_f8e4m3_0_0_4v
	.type	_Z50ncclDevFunc_AllReduce_RING_SIMPLE_Sum_f8e4m3_0_0_4v,@function
_Z50ncclDevFunc_AllReduce_RING_SIMPLE_Sum_f8e4m3_0_0_4v: ; @_Z50ncclDevFunc_AllReduce_RING_SIMPLE_Sum_f8e4m3_0_0_4v
; %bb.0:
	s_waitcnt vmcnt(0) expcnt(0) lgkmcnt(0)
	s_mov_b32 s0, s33
	s_mov_b32 s33, s32
	s_or_saveexec_b32 s1, -1
	scratch_store_b32 off, v42, s33 offset:16 ; 4-byte Folded Spill
	s_mov_b32 exec_lo, s1
	v_writelane_b32 v42, s0, 22
	s_add_i32 s32, s32, 32
	s_clause 0x3
	scratch_store_b32 off, v40, s33 offset:12
	; meta instruction
	scratch_store_b32 off, v41, s33 offset:8
	; meta instruction
	;; [unrolled: 2-line block ×3, first 2 shown]
	scratch_store_b32 off, v122, s33
	v_writelane_b32 v42, s34, 0
	v_writelane_b32 v42, s35, 1
	;; [unrolled: 1-line block ×22, first 2 shown]
	s_cbranch_execnz .LBB7_13
; %bb.1:
	ds_load_b32 v0, v0
	s_waitcnt lgkmcnt(0)
	v_cmp_gt_i32_e32 vcc_lo, 1, v0
	s_cbranch_vccnz .LBB7_12
; %bb.2:
	v_and_b32_e32 v40, 0x3ff, v31
	s_mov_b32 s52, 0
	s_mov_b64 s[50:51], src_shared_base
.LBB7_3:                                ; =>This Inner Loop Header: Depth=1
	s_cbranch_execnz .LBB7_15
; %bb.4:                                ;   in Loop: Header=BB7_3 Depth=1
	ds_load_b32 v0, v0
	s_cmp_eq_u32 s52, 0
	s_cbranch_scc1 .LBB7_8
; %bb.5:                                ;   in Loop: Header=BB7_3 Depth=1
	s_cbranch_execnz .LBB7_19
; %bb.6:                                ;   in Loop: Header=BB7_3 Depth=1
	s_waitcnt lgkmcnt(0)
	ds_load_b32 v1, v0
	s_waitcnt lgkmcnt(0)
	v_xor_b32_e32 v1, v1, v0
	s_delay_alu instid0(VALU_DEP_1) | instskip(NEXT) | instid1(VALU_DEP_1)
	v_and_b32_e32 v1, 0xff0000, v1
	v_cmp_eq_u32_e32 vcc_lo, 0, v1
	s_cbranch_vccnz .LBB7_8
; %bb.7:                                ;   in Loop: Header=BB7_3 Depth=1
	s_waitcnt_vscnt null, 0x0
	s_barrier
	buffer_gl0_inv
	ds_load_b32 v0, v0
.LBB7_8:                                ;   in Loop: Header=BB7_3 Depth=1
	s_waitcnt lgkmcnt(0)
	v_lshrrev_b32_e32 v0, 11, v0
	s_mov_b32 s53, exec_lo
	s_delay_alu instid0(VALU_DEP_1) | instskip(NEXT) | instid1(VALU_DEP_1)
	v_and_b32_e32 v1, 0x1fe0, v0
	v_cmpx_lt_u32_e64 v40, v1
	s_cbranch_execz .LBB7_10
; %bb.9:                                ;   in Loop: Header=BB7_3 Depth=1
	v_dual_mov_b32 v41, v31 :: v_dual_mov_b32 v0, v40
	v_mov_b32_e32 v3, s51
	s_getpc_b64 s[0:1]
	s_add_u32 s0, s0, _ZN12_GLOBAL__N_17runRingI11rccl_float87FuncSumIS1_E11ProtoSimpleILi2ELi2ELi0ELi4ELi0ELi0EELi0ELi0ELi4ELi0EEEviiP15ncclDevWorkColl@rel32@lo+4
	s_addc_u32 s1, s1, _ZN12_GLOBAL__N_17runRingI11rccl_float87FuncSumIS1_E11ProtoSimpleILi2ELi2ELi0ELi4ELi0ELi0EELi0ELi0ELi4ELi0EEEviiP15ncclDevWorkColl@rel32@hi+12
	s_mov_b64 s[46:47], s[8:9]
	s_mov_b32 s50, s12
	s_swappc_b64 s[30:31], s[0:1]
	v_mov_b32_e32 v31, v41
	s_mov_b32 s12, s50
	s_mov_b64 s[8:9], s[46:47]
.LBB7_10:                               ;   in Loop: Header=BB7_3 Depth=1
	s_or_b32 exec_lo, exec_lo, s53
	s_cbranch_execnz .LBB7_17
; %bb.11:                               ;   in Loop: Header=BB7_3 Depth=1
	ds_load_b32 v0, v0
	s_add_i32 s52, s52, 1
	s_waitcnt lgkmcnt(0)
	v_cmp_lt_i32_e32 vcc_lo, s52, v0
	s_cbranch_vccnz .LBB7_3
.LBB7_12:
	s_clause 0x3
	scratch_load_b32 v122, off, s33
	scratch_load_b32 v121, off, s33 offset:4
	scratch_load_b32 v41, off, s33 offset:8
	;; [unrolled: 1-line block ×3, first 2 shown]
	v_readlane_b32 s30, v42, 20
	v_readlane_b32 s31, v42, 21
	;; [unrolled: 1-line block ×23, first 2 shown]
	s_or_saveexec_b32 s1, -1
	scratch_load_b32 v42, off, s33 offset:16 ; 4-byte Folded Reload
	s_mov_b32 exec_lo, s1
	s_addk_i32 s32, 0xffe0
	s_mov_b32 s33, s0
	s_waitcnt vmcnt(0)
	s_setpc_b64 s[30:31]
.LBB7_13:
	s_trap 2
	s_sendmsg_rtn_b32 s0, sendmsg(MSG_RTN_GET_DOORBELL)
	s_mov_b32 ttmp2, m0
	s_waitcnt lgkmcnt(0)
	s_and_b32 s0, s0, 0x3ff
	s_delay_alu instid0(SALU_CYCLE_1) | instskip(NEXT) | instid1(SALU_CYCLE_1)
	s_bitset1_b32 s0, 10
	s_mov_b32 m0, s0
	s_sendmsg sendmsg(MSG_INTERRUPT)
	s_mov_b32 m0, ttmp2
.LBB7_14:                               ; =>This Inner Loop Header: Depth=1
	s_sethalt 5
	s_branch .LBB7_14
.LBB7_15:
	s_trap 2
	s_sendmsg_rtn_b32 s0, sendmsg(MSG_RTN_GET_DOORBELL)
	s_mov_b32 ttmp2, m0
	s_waitcnt lgkmcnt(0)
	s_and_b32 s0, s0, 0x3ff
	s_delay_alu instid0(SALU_CYCLE_1) | instskip(NEXT) | instid1(SALU_CYCLE_1)
	s_bitset1_b32 s0, 10
	s_mov_b32 m0, s0
	s_sendmsg sendmsg(MSG_INTERRUPT)
	s_mov_b32 m0, ttmp2
.LBB7_16:                               ; =>This Inner Loop Header: Depth=1
	s_sethalt 5
	s_branch .LBB7_16
.LBB7_17:
	s_trap 2
	s_sendmsg_rtn_b32 s0, sendmsg(MSG_RTN_GET_DOORBELL)
	s_mov_b32 ttmp2, m0
	s_waitcnt lgkmcnt(0)
	s_and_b32 s0, s0, 0x3ff
	s_delay_alu instid0(SALU_CYCLE_1) | instskip(NEXT) | instid1(SALU_CYCLE_1)
	s_bitset1_b32 s0, 10
	s_mov_b32 m0, s0
	s_sendmsg sendmsg(MSG_INTERRUPT)
	s_mov_b32 m0, ttmp2
.LBB7_18:                               ; =>This Inner Loop Header: Depth=1
	s_sethalt 5
	s_branch .LBB7_18
.LBB7_19:
	s_trap 2
	s_sendmsg_rtn_b32 s0, sendmsg(MSG_RTN_GET_DOORBELL)
	s_mov_b32 ttmp2, m0
	s_waitcnt lgkmcnt(0)
	s_and_b32 s0, s0, 0x3ff
	s_delay_alu instid0(SALU_CYCLE_1) | instskip(NEXT) | instid1(SALU_CYCLE_1)
	s_bitset1_b32 s0, 10
	s_mov_b32 m0, s0
	s_sendmsg sendmsg(MSG_INTERRUPT)
	s_mov_b32 m0, ttmp2
.LBB7_20:                               ; =>This Inner Loop Header: Depth=1
	s_sethalt 5
	s_branch .LBB7_20
.Lfunc_end7:
	.size	_Z50ncclDevFunc_AllReduce_RING_SIMPLE_Sum_f8e4m3_0_0_4v, .Lfunc_end7-_Z50ncclDevFunc_AllReduce_RING_SIMPLE_Sum_f8e4m3_0_0_4v
                                        ; -- End function
	.section	.AMDGPU.csdata,"",@progbits
; Function info:
; codeLenInByte = 964
; NumSgprs: 56
; NumVgprs: 184
; ScratchSize: 272
; MemoryBound: 0
	.text
	.p2alignl 7, 3214868480
	.fill 96, 4, 3214868480
	.type	__const.__assert_fail.fmt,@object ; @__const.__assert_fail.fmt
	.section	.rodata.str1.16,"aMS",@progbits,1
	.p2align	4, 0x0
__const.__assert_fail.fmt:
	.asciz	"%s:%u: %s: Device-side assertion `%s' failed.\n"
	.size	__const.__assert_fail.fmt, 47

	.type	.str.1,@object                  ; @.str.1
	.section	.rodata.str1.1,"aMS",@progbits,1
.str.1:
	.asciz	"2*(nrecv+nsend) <= nthreads"
	.size	.str.1, 28

	.type	.str.2,@object                  ; @.str.2
.str.2:
	.asciz	"/root/src/amdgpu-assembly/repos/ROCm__rccl/hipify/src/device/prims_simple.h"
	.size	.str.2, 76

	.type	__PRETTY_FUNCTION__._ZN10PrimitivesI11rccl_float87FuncSumIS0_E12FanSymmetricILi1EELi0E11ProtoSimpleILi2ELi2ELi0ELi1ELi0ELi0EELi0ELb0ELi0ELi0ELi0EEC2EiiPKiS9_PKvPvmhhhP15ncclDevWorkCollP14ncclDevWorkP2pii,@object ; @__PRETTY_FUNCTION__._ZN10PrimitivesI11rccl_float87FuncSumIS0_E12FanSymmetricILi1EELi0E11ProtoSimpleILi2ELi2ELi0ELi1ELi0ELi0EELi0ELb0ELi0ELi0ELi0EEC2EiiPKiS9_PKvPvmhhhP15ncclDevWorkCollP14ncclDevWorkP2pii
__PRETTY_FUNCTION__._ZN10PrimitivesI11rccl_float87FuncSumIS0_E12FanSymmetricILi1EELi0E11ProtoSimpleILi2ELi2ELi0ELi1ELi0ELi0EELi0ELb0ELi0ELi0ELi0EEC2EiiPKiS9_PKvPvmhhhP15ncclDevWorkCollP14ncclDevWorkP2pii:
	.asciz	"Primitives<rccl_float8, FuncSum<rccl_float8>, FanSymmetric<1>, 0, ProtoSimple<2, 2, 0, 1>, 0>::Primitives(int, int, const int *, const int *, const void *, void *, uint64_t, uint8_t, uint8_t, uint8_t, struct ncclDevWorkColl *, struct ncclDevWorkP2p *, int, int) [T = rccl_float8, RedOp = FuncSum<rccl_float8>, Fan = FanSymmetric<1>, Direct = 0, Proto = ProtoSimple<2, 2, 0, 1>, P2p = 0, isNetOffload = false, Metadata = 0, Pipeline = 0, useAcc = 0]"
	.size	__PRETTY_FUNCTION__._ZN10PrimitivesI11rccl_float87FuncSumIS0_E12FanSymmetricILi1EELi0E11ProtoSimpleILi2ELi2ELi0ELi1ELi0ELi0EELi0ELb0ELi0ELi0ELi0EEC2EiiPKiS9_PKvPvmhhhP15ncclDevWorkCollP14ncclDevWorkP2pii, 449

	.type	__PRETTY_FUNCTION__._ZN10PrimitivesI11rccl_float87FuncSumIS0_E12FanSymmetricILi1EELi0E11ProtoSimpleILi2ELi2ELi0ELi2ELi0ELi0EELi0ELb0ELi0ELi0ELi0EEC2EiiPKiS9_PKvPvmhhhP15ncclDevWorkCollP14ncclDevWorkP2pii,@object ; @__PRETTY_FUNCTION__._ZN10PrimitivesI11rccl_float87FuncSumIS0_E12FanSymmetricILi1EELi0E11ProtoSimpleILi2ELi2ELi0ELi2ELi0ELi0EELi0ELb0ELi0ELi0ELi0EEC2EiiPKiS9_PKvPvmhhhP15ncclDevWorkCollP14ncclDevWorkP2pii
__PRETTY_FUNCTION__._ZN10PrimitivesI11rccl_float87FuncSumIS0_E12FanSymmetricILi1EELi0E11ProtoSimpleILi2ELi2ELi0ELi2ELi0ELi0EELi0ELb0ELi0ELi0ELi0EEC2EiiPKiS9_PKvPvmhhhP15ncclDevWorkCollP14ncclDevWorkP2pii:
	.asciz	"Primitives<rccl_float8, FuncSum<rccl_float8>, FanSymmetric<1>, 0, ProtoSimple<2, 2, 0, 2>, 0>::Primitives(int, int, const int *, const int *, const void *, void *, uint64_t, uint8_t, uint8_t, uint8_t, struct ncclDevWorkColl *, struct ncclDevWorkP2p *, int, int) [T = rccl_float8, RedOp = FuncSum<rccl_float8>, Fan = FanSymmetric<1>, Direct = 0, Proto = ProtoSimple<2, 2, 0, 2>, P2p = 0, isNetOffload = false, Metadata = 0, Pipeline = 0, useAcc = 0]"
	.size	__PRETTY_FUNCTION__._ZN10PrimitivesI11rccl_float87FuncSumIS0_E12FanSymmetricILi1EELi0E11ProtoSimpleILi2ELi2ELi0ELi2ELi0ELi0EELi0ELb0ELi0ELi0ELi0EEC2EiiPKiS9_PKvPvmhhhP15ncclDevWorkCollP14ncclDevWorkP2pii, 449

	.type	__PRETTY_FUNCTION__._ZN10PrimitivesI11rccl_float87FuncSumIS0_E12FanSymmetricILi1EELi0E11ProtoSimpleILi2ELi2ELi0ELi4ELi0ELi0EELi0ELb0ELi0ELi0ELi0EEC2EiiPKiS9_PKvPvmhhhP15ncclDevWorkCollP14ncclDevWorkP2pii,@object ; @__PRETTY_FUNCTION__._ZN10PrimitivesI11rccl_float87FuncSumIS0_E12FanSymmetricILi1EELi0E11ProtoSimpleILi2ELi2ELi0ELi4ELi0ELi0EELi0ELb0ELi0ELi0ELi0EEC2EiiPKiS9_PKvPvmhhhP15ncclDevWorkCollP14ncclDevWorkP2pii
__PRETTY_FUNCTION__._ZN10PrimitivesI11rccl_float87FuncSumIS0_E12FanSymmetricILi1EELi0E11ProtoSimpleILi2ELi2ELi0ELi4ELi0ELi0EELi0ELb0ELi0ELi0ELi0EEC2EiiPKiS9_PKvPvmhhhP15ncclDevWorkCollP14ncclDevWorkP2pii:
	.asciz	"Primitives<rccl_float8, FuncSum<rccl_float8>, FanSymmetric<1>, 0, ProtoSimple<2, 2, 0, 4>, 0>::Primitives(int, int, const int *, const int *, const void *, void *, uint64_t, uint8_t, uint8_t, uint8_t, struct ncclDevWorkColl *, struct ncclDevWorkP2p *, int, int) [T = rccl_float8, RedOp = FuncSum<rccl_float8>, Fan = FanSymmetric<1>, Direct = 0, Proto = ProtoSimple<2, 2, 0, 4>, P2p = 0, isNetOffload = false, Metadata = 0, Pipeline = 0, useAcc = 0]"
	.size	__PRETTY_FUNCTION__._ZN10PrimitivesI11rccl_float87FuncSumIS0_E12FanSymmetricILi1EELi0E11ProtoSimpleILi2ELi2ELi0ELi4ELi0ELi0EELi0ELb0ELi0ELi0ELi0EEC2EiiPKiS9_PKvPvmhhhP15ncclDevWorkCollP14ncclDevWorkP2pii, 449

	.type	__hip_cuid_80a1ea8fcf45017b,@object ; @__hip_cuid_80a1ea8fcf45017b
	.section	.bss,"aw",@nobits
	.globl	__hip_cuid_80a1ea8fcf45017b
__hip_cuid_80a1ea8fcf45017b:
	.byte	0                               ; 0x0
	.size	__hip_cuid_80a1ea8fcf45017b, 1

	.ident	"AMD clang version 19.0.0git (https://github.com/RadeonOpenCompute/llvm-project roc-6.4.0 25133 c7fe45cf4b819c5991fe208aaa96edf142730f1d)"
	.section	".note.GNU-stack","",@progbits
	.addrsig
	.addrsig_sym _Z50ncclDevFunc_AllReduce_RING_SIMPLE_Sum_f8e4m3_0_0_1v
	.addrsig_sym _Z50ncclDevFunc_AllReduce_RING_SIMPLE_Sum_f8e4m3_0_0_2v
	.addrsig_sym _Z50ncclDevFunc_AllReduce_RING_SIMPLE_Sum_f8e4m3_0_0_4v
	.addrsig_sym ncclShmem
	.addrsig_sym __hip_cuid_80a1ea8fcf45017b
	.amdgpu_metadata
---
amdhsa.kernels:  []
amdhsa.target:   amdgcn-amd-amdhsa--gfx1100
amdhsa.version:
  - 1
  - 2
...

	.end_amdgpu_metadata
